;; amdgpu-corpus repo=ROCm/rocThrust kind=compiled arch=gfx1030 opt=O3
	.amdgcn_target "amdgcn-amd-amdhsa--gfx1030"
	.amdhsa_code_object_version 6
	.section	.text._ZN6thrust23THRUST_200600_302600_NS11hip_rocprim14__parallel_for6kernelILj256ENS1_20__uninitialized_fill7functorINS0_10device_ptrIdEEdEEmLj1EEEvT0_T1_SA_,"axG",@progbits,_ZN6thrust23THRUST_200600_302600_NS11hip_rocprim14__parallel_for6kernelILj256ENS1_20__uninitialized_fill7functorINS0_10device_ptrIdEEdEEmLj1EEEvT0_T1_SA_,comdat
	.protected	_ZN6thrust23THRUST_200600_302600_NS11hip_rocprim14__parallel_for6kernelILj256ENS1_20__uninitialized_fill7functorINS0_10device_ptrIdEEdEEmLj1EEEvT0_T1_SA_ ; -- Begin function _ZN6thrust23THRUST_200600_302600_NS11hip_rocprim14__parallel_for6kernelILj256ENS1_20__uninitialized_fill7functorINS0_10device_ptrIdEEdEEmLj1EEEvT0_T1_SA_
	.globl	_ZN6thrust23THRUST_200600_302600_NS11hip_rocprim14__parallel_for6kernelILj256ENS1_20__uninitialized_fill7functorINS0_10device_ptrIdEEdEEmLj1EEEvT0_T1_SA_
	.p2align	8
	.type	_ZN6thrust23THRUST_200600_302600_NS11hip_rocprim14__parallel_for6kernelILj256ENS1_20__uninitialized_fill7functorINS0_10device_ptrIdEEdEEmLj1EEEvT0_T1_SA_,@function
_ZN6thrust23THRUST_200600_302600_NS11hip_rocprim14__parallel_for6kernelILj256ENS1_20__uninitialized_fill7functorINS0_10device_ptrIdEEdEEmLj1EEEvT0_T1_SA_: ; @_ZN6thrust23THRUST_200600_302600_NS11hip_rocprim14__parallel_for6kernelILj256ENS1_20__uninitialized_fill7functorINS0_10device_ptrIdEEdEEmLj1EEEvT0_T1_SA_
; %bb.0:
	s_load_dwordx8 s[8:15], s[4:5], 0x0
	s_lshl_b32 s0, s6, 8
	s_waitcnt lgkmcnt(0)
	s_add_u32 s0, s14, s0
	s_addc_u32 s1, s15, 0
	s_sub_u32 s2, s12, s0
	s_subb_u32 s3, s13, s1
	v_cmp_lt_u64_e64 s3, 0xff, s[2:3]
	s_and_b32 vcc_lo, exec_lo, s3
	s_mov_b32 s3, -1
	s_cbranch_vccz .LBB0_3
; %bb.1:
	s_andn2_b32 vcc_lo, exec_lo, s3
	s_cbranch_vccz .LBB0_6
.LBB0_2:
	s_endpgm
.LBB0_3:
	v_cmp_gt_u32_e32 vcc_lo, s2, v0
	s_and_saveexec_b32 s2, vcc_lo
	s_cbranch_execz .LBB0_5
; %bb.4:
	v_lshlrev_b32_e32 v1, 3, v0
	s_lshl_b64 s[4:5], s[0:1], 3
	v_mov_b32_e32 v3, s10
	s_add_u32 s3, s8, s4
	s_addc_u32 s4, s9, s5
	v_add_co_u32 v1, s3, s3, v1
	v_add_co_ci_u32_e64 v2, null, s4, 0, s3
	v_mov_b32_e32 v4, s11
	flat_store_dwordx2 v[1:2], v[3:4]
.LBB0_5:
	s_or_b32 exec_lo, exec_lo, s2
	s_cbranch_execnz .LBB0_2
.LBB0_6:
	v_lshlrev_b32_e32 v0, 3, v0
	s_lshl_b64 s[0:1], s[0:1], 3
	v_mov_b32_e32 v2, s10
	s_add_u32 s0, s8, s0
	s_addc_u32 s1, s9, s1
	v_add_co_u32 v0, s0, s0, v0
	v_add_co_ci_u32_e64 v1, null, s1, 0, s0
	v_mov_b32_e32 v3, s11
	flat_store_dwordx2 v[0:1], v[2:3]
	s_endpgm
	.section	.rodata,"a",@progbits
	.p2align	6, 0x0
	.amdhsa_kernel _ZN6thrust23THRUST_200600_302600_NS11hip_rocprim14__parallel_for6kernelILj256ENS1_20__uninitialized_fill7functorINS0_10device_ptrIdEEdEEmLj1EEEvT0_T1_SA_
		.amdhsa_group_segment_fixed_size 0
		.amdhsa_private_segment_fixed_size 0
		.amdhsa_kernarg_size 32
		.amdhsa_user_sgpr_count 6
		.amdhsa_user_sgpr_private_segment_buffer 1
		.amdhsa_user_sgpr_dispatch_ptr 0
		.amdhsa_user_sgpr_queue_ptr 0
		.amdhsa_user_sgpr_kernarg_segment_ptr 1
		.amdhsa_user_sgpr_dispatch_id 0
		.amdhsa_user_sgpr_flat_scratch_init 0
		.amdhsa_user_sgpr_private_segment_size 0
		.amdhsa_wavefront_size32 1
		.amdhsa_uses_dynamic_stack 0
		.amdhsa_system_sgpr_private_segment_wavefront_offset 0
		.amdhsa_system_sgpr_workgroup_id_x 1
		.amdhsa_system_sgpr_workgroup_id_y 0
		.amdhsa_system_sgpr_workgroup_id_z 0
		.amdhsa_system_sgpr_workgroup_info 0
		.amdhsa_system_vgpr_workitem_id 0
		.amdhsa_next_free_vgpr 5
		.amdhsa_next_free_sgpr 16
		.amdhsa_reserve_vcc 1
		.amdhsa_reserve_flat_scratch 0
		.amdhsa_float_round_mode_32 0
		.amdhsa_float_round_mode_16_64 0
		.amdhsa_float_denorm_mode_32 3
		.amdhsa_float_denorm_mode_16_64 3
		.amdhsa_dx10_clamp 1
		.amdhsa_ieee_mode 1
		.amdhsa_fp16_overflow 0
		.amdhsa_workgroup_processor_mode 1
		.amdhsa_memory_ordered 1
		.amdhsa_forward_progress 1
		.amdhsa_shared_vgpr_count 0
		.amdhsa_exception_fp_ieee_invalid_op 0
		.amdhsa_exception_fp_denorm_src 0
		.amdhsa_exception_fp_ieee_div_zero 0
		.amdhsa_exception_fp_ieee_overflow 0
		.amdhsa_exception_fp_ieee_underflow 0
		.amdhsa_exception_fp_ieee_inexact 0
		.amdhsa_exception_int_div_zero 0
	.end_amdhsa_kernel
	.section	.text._ZN6thrust23THRUST_200600_302600_NS11hip_rocprim14__parallel_for6kernelILj256ENS1_20__uninitialized_fill7functorINS0_10device_ptrIdEEdEEmLj1EEEvT0_T1_SA_,"axG",@progbits,_ZN6thrust23THRUST_200600_302600_NS11hip_rocprim14__parallel_for6kernelILj256ENS1_20__uninitialized_fill7functorINS0_10device_ptrIdEEdEEmLj1EEEvT0_T1_SA_,comdat
.Lfunc_end0:
	.size	_ZN6thrust23THRUST_200600_302600_NS11hip_rocprim14__parallel_for6kernelILj256ENS1_20__uninitialized_fill7functorINS0_10device_ptrIdEEdEEmLj1EEEvT0_T1_SA_, .Lfunc_end0-_ZN6thrust23THRUST_200600_302600_NS11hip_rocprim14__parallel_for6kernelILj256ENS1_20__uninitialized_fill7functorINS0_10device_ptrIdEEdEEmLj1EEEvT0_T1_SA_
                                        ; -- End function
	.set _ZN6thrust23THRUST_200600_302600_NS11hip_rocprim14__parallel_for6kernelILj256ENS1_20__uninitialized_fill7functorINS0_10device_ptrIdEEdEEmLj1EEEvT0_T1_SA_.num_vgpr, 5
	.set _ZN6thrust23THRUST_200600_302600_NS11hip_rocprim14__parallel_for6kernelILj256ENS1_20__uninitialized_fill7functorINS0_10device_ptrIdEEdEEmLj1EEEvT0_T1_SA_.num_agpr, 0
	.set _ZN6thrust23THRUST_200600_302600_NS11hip_rocprim14__parallel_for6kernelILj256ENS1_20__uninitialized_fill7functorINS0_10device_ptrIdEEdEEmLj1EEEvT0_T1_SA_.numbered_sgpr, 16
	.set _ZN6thrust23THRUST_200600_302600_NS11hip_rocprim14__parallel_for6kernelILj256ENS1_20__uninitialized_fill7functorINS0_10device_ptrIdEEdEEmLj1EEEvT0_T1_SA_.num_named_barrier, 0
	.set _ZN6thrust23THRUST_200600_302600_NS11hip_rocprim14__parallel_for6kernelILj256ENS1_20__uninitialized_fill7functorINS0_10device_ptrIdEEdEEmLj1EEEvT0_T1_SA_.private_seg_size, 0
	.set _ZN6thrust23THRUST_200600_302600_NS11hip_rocprim14__parallel_for6kernelILj256ENS1_20__uninitialized_fill7functorINS0_10device_ptrIdEEdEEmLj1EEEvT0_T1_SA_.uses_vcc, 1
	.set _ZN6thrust23THRUST_200600_302600_NS11hip_rocprim14__parallel_for6kernelILj256ENS1_20__uninitialized_fill7functorINS0_10device_ptrIdEEdEEmLj1EEEvT0_T1_SA_.uses_flat_scratch, 0
	.set _ZN6thrust23THRUST_200600_302600_NS11hip_rocprim14__parallel_for6kernelILj256ENS1_20__uninitialized_fill7functorINS0_10device_ptrIdEEdEEmLj1EEEvT0_T1_SA_.has_dyn_sized_stack, 0
	.set _ZN6thrust23THRUST_200600_302600_NS11hip_rocprim14__parallel_for6kernelILj256ENS1_20__uninitialized_fill7functorINS0_10device_ptrIdEEdEEmLj1EEEvT0_T1_SA_.has_recursion, 0
	.set _ZN6thrust23THRUST_200600_302600_NS11hip_rocprim14__parallel_for6kernelILj256ENS1_20__uninitialized_fill7functorINS0_10device_ptrIdEEdEEmLj1EEEvT0_T1_SA_.has_indirect_call, 0
	.section	.AMDGPU.csdata,"",@progbits
; Kernel info:
; codeLenInByte = 188
; TotalNumSgprs: 18
; NumVgprs: 5
; ScratchSize: 0
; MemoryBound: 0
; FloatMode: 240
; IeeeMode: 1
; LDSByteSize: 0 bytes/workgroup (compile time only)
; SGPRBlocks: 0
; VGPRBlocks: 0
; NumSGPRsForWavesPerEU: 18
; NumVGPRsForWavesPerEU: 5
; Occupancy: 16
; WaveLimiterHint : 0
; COMPUTE_PGM_RSRC2:SCRATCH_EN: 0
; COMPUTE_PGM_RSRC2:USER_SGPR: 6
; COMPUTE_PGM_RSRC2:TRAP_HANDLER: 0
; COMPUTE_PGM_RSRC2:TGID_X_EN: 1
; COMPUTE_PGM_RSRC2:TGID_Y_EN: 0
; COMPUTE_PGM_RSRC2:TGID_Z_EN: 0
; COMPUTE_PGM_RSRC2:TIDIG_COMP_CNT: 0
	.section	.text._ZN7rocprim17ROCPRIM_400000_NS6detail17trampoline_kernelINS0_14default_configENS1_21merge_config_selectorINS0_5tupleIJddEEENS0_10empty_typeEEEZNS1_10merge_implIS3_NS0_12zip_iteratorINS5_IJN6thrust23THRUST_200600_302600_NS6detail15normal_iteratorINSC_10device_ptrIKdEEEESI_EEEEESK_NSA_INS5_IJNSE_INSF_IdEEEESM_EEEEEPS7_SP_SP_NSC_11hip_rocprim7__merge17predicate_wrapperIddNSC_4lessIdEEEEEE10hipError_tPvRmT0_T1_T2_T3_T4_T5_mmT6_P12ihipStream_tbEUlT_E_NS1_11comp_targetILNS1_3genE0ELNS1_11target_archE4294967295ELNS1_3gpuE0ELNS1_3repE0EEENS1_30default_config_static_selectorELNS0_4arch9wavefront6targetE0EEEvS10_,"axG",@progbits,_ZN7rocprim17ROCPRIM_400000_NS6detail17trampoline_kernelINS0_14default_configENS1_21merge_config_selectorINS0_5tupleIJddEEENS0_10empty_typeEEEZNS1_10merge_implIS3_NS0_12zip_iteratorINS5_IJN6thrust23THRUST_200600_302600_NS6detail15normal_iteratorINSC_10device_ptrIKdEEEESI_EEEEESK_NSA_INS5_IJNSE_INSF_IdEEEESM_EEEEEPS7_SP_SP_NSC_11hip_rocprim7__merge17predicate_wrapperIddNSC_4lessIdEEEEEE10hipError_tPvRmT0_T1_T2_T3_T4_T5_mmT6_P12ihipStream_tbEUlT_E_NS1_11comp_targetILNS1_3genE0ELNS1_11target_archE4294967295ELNS1_3gpuE0ELNS1_3repE0EEENS1_30default_config_static_selectorELNS0_4arch9wavefront6targetE0EEEvS10_,comdat
	.protected	_ZN7rocprim17ROCPRIM_400000_NS6detail17trampoline_kernelINS0_14default_configENS1_21merge_config_selectorINS0_5tupleIJddEEENS0_10empty_typeEEEZNS1_10merge_implIS3_NS0_12zip_iteratorINS5_IJN6thrust23THRUST_200600_302600_NS6detail15normal_iteratorINSC_10device_ptrIKdEEEESI_EEEEESK_NSA_INS5_IJNSE_INSF_IdEEEESM_EEEEEPS7_SP_SP_NSC_11hip_rocprim7__merge17predicate_wrapperIddNSC_4lessIdEEEEEE10hipError_tPvRmT0_T1_T2_T3_T4_T5_mmT6_P12ihipStream_tbEUlT_E_NS1_11comp_targetILNS1_3genE0ELNS1_11target_archE4294967295ELNS1_3gpuE0ELNS1_3repE0EEENS1_30default_config_static_selectorELNS0_4arch9wavefront6targetE0EEEvS10_ ; -- Begin function _ZN7rocprim17ROCPRIM_400000_NS6detail17trampoline_kernelINS0_14default_configENS1_21merge_config_selectorINS0_5tupleIJddEEENS0_10empty_typeEEEZNS1_10merge_implIS3_NS0_12zip_iteratorINS5_IJN6thrust23THRUST_200600_302600_NS6detail15normal_iteratorINSC_10device_ptrIKdEEEESI_EEEEESK_NSA_INS5_IJNSE_INSF_IdEEEESM_EEEEEPS7_SP_SP_NSC_11hip_rocprim7__merge17predicate_wrapperIddNSC_4lessIdEEEEEE10hipError_tPvRmT0_T1_T2_T3_T4_T5_mmT6_P12ihipStream_tbEUlT_E_NS1_11comp_targetILNS1_3genE0ELNS1_11target_archE4294967295ELNS1_3gpuE0ELNS1_3repE0EEENS1_30default_config_static_selectorELNS0_4arch9wavefront6targetE0EEEvS10_
	.globl	_ZN7rocprim17ROCPRIM_400000_NS6detail17trampoline_kernelINS0_14default_configENS1_21merge_config_selectorINS0_5tupleIJddEEENS0_10empty_typeEEEZNS1_10merge_implIS3_NS0_12zip_iteratorINS5_IJN6thrust23THRUST_200600_302600_NS6detail15normal_iteratorINSC_10device_ptrIKdEEEESI_EEEEESK_NSA_INS5_IJNSE_INSF_IdEEEESM_EEEEEPS7_SP_SP_NSC_11hip_rocprim7__merge17predicate_wrapperIddNSC_4lessIdEEEEEE10hipError_tPvRmT0_T1_T2_T3_T4_T5_mmT6_P12ihipStream_tbEUlT_E_NS1_11comp_targetILNS1_3genE0ELNS1_11target_archE4294967295ELNS1_3gpuE0ELNS1_3repE0EEENS1_30default_config_static_selectorELNS0_4arch9wavefront6targetE0EEEvS10_
	.p2align	8
	.type	_ZN7rocprim17ROCPRIM_400000_NS6detail17trampoline_kernelINS0_14default_configENS1_21merge_config_selectorINS0_5tupleIJddEEENS0_10empty_typeEEEZNS1_10merge_implIS3_NS0_12zip_iteratorINS5_IJN6thrust23THRUST_200600_302600_NS6detail15normal_iteratorINSC_10device_ptrIKdEEEESI_EEEEESK_NSA_INS5_IJNSE_INSF_IdEEEESM_EEEEEPS7_SP_SP_NSC_11hip_rocprim7__merge17predicate_wrapperIddNSC_4lessIdEEEEEE10hipError_tPvRmT0_T1_T2_T3_T4_T5_mmT6_P12ihipStream_tbEUlT_E_NS1_11comp_targetILNS1_3genE0ELNS1_11target_archE4294967295ELNS1_3gpuE0ELNS1_3repE0EEENS1_30default_config_static_selectorELNS0_4arch9wavefront6targetE0EEEvS10_,@function
_ZN7rocprim17ROCPRIM_400000_NS6detail17trampoline_kernelINS0_14default_configENS1_21merge_config_selectorINS0_5tupleIJddEEENS0_10empty_typeEEEZNS1_10merge_implIS3_NS0_12zip_iteratorINS5_IJN6thrust23THRUST_200600_302600_NS6detail15normal_iteratorINSC_10device_ptrIKdEEEESI_EEEEESK_NSA_INS5_IJNSE_INSF_IdEEEESM_EEEEEPS7_SP_SP_NSC_11hip_rocprim7__merge17predicate_wrapperIddNSC_4lessIdEEEEEE10hipError_tPvRmT0_T1_T2_T3_T4_T5_mmT6_P12ihipStream_tbEUlT_E_NS1_11comp_targetILNS1_3genE0ELNS1_11target_archE4294967295ELNS1_3gpuE0ELNS1_3repE0EEENS1_30default_config_static_selectorELNS0_4arch9wavefront6targetE0EEEvS10_: ; @_ZN7rocprim17ROCPRIM_400000_NS6detail17trampoline_kernelINS0_14default_configENS1_21merge_config_selectorINS0_5tupleIJddEEENS0_10empty_typeEEEZNS1_10merge_implIS3_NS0_12zip_iteratorINS5_IJN6thrust23THRUST_200600_302600_NS6detail15normal_iteratorINSC_10device_ptrIKdEEEESI_EEEEESK_NSA_INS5_IJNSE_INSF_IdEEEESM_EEEEEPS7_SP_SP_NSC_11hip_rocprim7__merge17predicate_wrapperIddNSC_4lessIdEEEEEE10hipError_tPvRmT0_T1_T2_T3_T4_T5_mmT6_P12ihipStream_tbEUlT_E_NS1_11comp_targetILNS1_3genE0ELNS1_11target_archE4294967295ELNS1_3gpuE0ELNS1_3repE0EEENS1_30default_config_static_selectorELNS0_4arch9wavefront6targetE0EEEvS10_
; %bb.0:
	.section	.rodata,"a",@progbits
	.p2align	6, 0x0
	.amdhsa_kernel _ZN7rocprim17ROCPRIM_400000_NS6detail17trampoline_kernelINS0_14default_configENS1_21merge_config_selectorINS0_5tupleIJddEEENS0_10empty_typeEEEZNS1_10merge_implIS3_NS0_12zip_iteratorINS5_IJN6thrust23THRUST_200600_302600_NS6detail15normal_iteratorINSC_10device_ptrIKdEEEESI_EEEEESK_NSA_INS5_IJNSE_INSF_IdEEEESM_EEEEEPS7_SP_SP_NSC_11hip_rocprim7__merge17predicate_wrapperIddNSC_4lessIdEEEEEE10hipError_tPvRmT0_T1_T2_T3_T4_T5_mmT6_P12ihipStream_tbEUlT_E_NS1_11comp_targetILNS1_3genE0ELNS1_11target_archE4294967295ELNS1_3gpuE0ELNS1_3repE0EEENS1_30default_config_static_selectorELNS0_4arch9wavefront6targetE0EEEvS10_
		.amdhsa_group_segment_fixed_size 0
		.amdhsa_private_segment_fixed_size 0
		.amdhsa_kernarg_size 64
		.amdhsa_user_sgpr_count 6
		.amdhsa_user_sgpr_private_segment_buffer 1
		.amdhsa_user_sgpr_dispatch_ptr 0
		.amdhsa_user_sgpr_queue_ptr 0
		.amdhsa_user_sgpr_kernarg_segment_ptr 1
		.amdhsa_user_sgpr_dispatch_id 0
		.amdhsa_user_sgpr_flat_scratch_init 0
		.amdhsa_user_sgpr_private_segment_size 0
		.amdhsa_wavefront_size32 1
		.amdhsa_uses_dynamic_stack 0
		.amdhsa_system_sgpr_private_segment_wavefront_offset 0
		.amdhsa_system_sgpr_workgroup_id_x 1
		.amdhsa_system_sgpr_workgroup_id_y 0
		.amdhsa_system_sgpr_workgroup_id_z 0
		.amdhsa_system_sgpr_workgroup_info 0
		.amdhsa_system_vgpr_workitem_id 0
		.amdhsa_next_free_vgpr 1
		.amdhsa_next_free_sgpr 1
		.amdhsa_reserve_vcc 0
		.amdhsa_reserve_flat_scratch 0
		.amdhsa_float_round_mode_32 0
		.amdhsa_float_round_mode_16_64 0
		.amdhsa_float_denorm_mode_32 3
		.amdhsa_float_denorm_mode_16_64 3
		.amdhsa_dx10_clamp 1
		.amdhsa_ieee_mode 1
		.amdhsa_fp16_overflow 0
		.amdhsa_workgroup_processor_mode 1
		.amdhsa_memory_ordered 1
		.amdhsa_forward_progress 1
		.amdhsa_shared_vgpr_count 0
		.amdhsa_exception_fp_ieee_invalid_op 0
		.amdhsa_exception_fp_denorm_src 0
		.amdhsa_exception_fp_ieee_div_zero 0
		.amdhsa_exception_fp_ieee_overflow 0
		.amdhsa_exception_fp_ieee_underflow 0
		.amdhsa_exception_fp_ieee_inexact 0
		.amdhsa_exception_int_div_zero 0
	.end_amdhsa_kernel
	.section	.text._ZN7rocprim17ROCPRIM_400000_NS6detail17trampoline_kernelINS0_14default_configENS1_21merge_config_selectorINS0_5tupleIJddEEENS0_10empty_typeEEEZNS1_10merge_implIS3_NS0_12zip_iteratorINS5_IJN6thrust23THRUST_200600_302600_NS6detail15normal_iteratorINSC_10device_ptrIKdEEEESI_EEEEESK_NSA_INS5_IJNSE_INSF_IdEEEESM_EEEEEPS7_SP_SP_NSC_11hip_rocprim7__merge17predicate_wrapperIddNSC_4lessIdEEEEEE10hipError_tPvRmT0_T1_T2_T3_T4_T5_mmT6_P12ihipStream_tbEUlT_E_NS1_11comp_targetILNS1_3genE0ELNS1_11target_archE4294967295ELNS1_3gpuE0ELNS1_3repE0EEENS1_30default_config_static_selectorELNS0_4arch9wavefront6targetE0EEEvS10_,"axG",@progbits,_ZN7rocprim17ROCPRIM_400000_NS6detail17trampoline_kernelINS0_14default_configENS1_21merge_config_selectorINS0_5tupleIJddEEENS0_10empty_typeEEEZNS1_10merge_implIS3_NS0_12zip_iteratorINS5_IJN6thrust23THRUST_200600_302600_NS6detail15normal_iteratorINSC_10device_ptrIKdEEEESI_EEEEESK_NSA_INS5_IJNSE_INSF_IdEEEESM_EEEEEPS7_SP_SP_NSC_11hip_rocprim7__merge17predicate_wrapperIddNSC_4lessIdEEEEEE10hipError_tPvRmT0_T1_T2_T3_T4_T5_mmT6_P12ihipStream_tbEUlT_E_NS1_11comp_targetILNS1_3genE0ELNS1_11target_archE4294967295ELNS1_3gpuE0ELNS1_3repE0EEENS1_30default_config_static_selectorELNS0_4arch9wavefront6targetE0EEEvS10_,comdat
.Lfunc_end1:
	.size	_ZN7rocprim17ROCPRIM_400000_NS6detail17trampoline_kernelINS0_14default_configENS1_21merge_config_selectorINS0_5tupleIJddEEENS0_10empty_typeEEEZNS1_10merge_implIS3_NS0_12zip_iteratorINS5_IJN6thrust23THRUST_200600_302600_NS6detail15normal_iteratorINSC_10device_ptrIKdEEEESI_EEEEESK_NSA_INS5_IJNSE_INSF_IdEEEESM_EEEEEPS7_SP_SP_NSC_11hip_rocprim7__merge17predicate_wrapperIddNSC_4lessIdEEEEEE10hipError_tPvRmT0_T1_T2_T3_T4_T5_mmT6_P12ihipStream_tbEUlT_E_NS1_11comp_targetILNS1_3genE0ELNS1_11target_archE4294967295ELNS1_3gpuE0ELNS1_3repE0EEENS1_30default_config_static_selectorELNS0_4arch9wavefront6targetE0EEEvS10_, .Lfunc_end1-_ZN7rocprim17ROCPRIM_400000_NS6detail17trampoline_kernelINS0_14default_configENS1_21merge_config_selectorINS0_5tupleIJddEEENS0_10empty_typeEEEZNS1_10merge_implIS3_NS0_12zip_iteratorINS5_IJN6thrust23THRUST_200600_302600_NS6detail15normal_iteratorINSC_10device_ptrIKdEEEESI_EEEEESK_NSA_INS5_IJNSE_INSF_IdEEEESM_EEEEEPS7_SP_SP_NSC_11hip_rocprim7__merge17predicate_wrapperIddNSC_4lessIdEEEEEE10hipError_tPvRmT0_T1_T2_T3_T4_T5_mmT6_P12ihipStream_tbEUlT_E_NS1_11comp_targetILNS1_3genE0ELNS1_11target_archE4294967295ELNS1_3gpuE0ELNS1_3repE0EEENS1_30default_config_static_selectorELNS0_4arch9wavefront6targetE0EEEvS10_
                                        ; -- End function
	.set _ZN7rocprim17ROCPRIM_400000_NS6detail17trampoline_kernelINS0_14default_configENS1_21merge_config_selectorINS0_5tupleIJddEEENS0_10empty_typeEEEZNS1_10merge_implIS3_NS0_12zip_iteratorINS5_IJN6thrust23THRUST_200600_302600_NS6detail15normal_iteratorINSC_10device_ptrIKdEEEESI_EEEEESK_NSA_INS5_IJNSE_INSF_IdEEEESM_EEEEEPS7_SP_SP_NSC_11hip_rocprim7__merge17predicate_wrapperIddNSC_4lessIdEEEEEE10hipError_tPvRmT0_T1_T2_T3_T4_T5_mmT6_P12ihipStream_tbEUlT_E_NS1_11comp_targetILNS1_3genE0ELNS1_11target_archE4294967295ELNS1_3gpuE0ELNS1_3repE0EEENS1_30default_config_static_selectorELNS0_4arch9wavefront6targetE0EEEvS10_.num_vgpr, 0
	.set _ZN7rocprim17ROCPRIM_400000_NS6detail17trampoline_kernelINS0_14default_configENS1_21merge_config_selectorINS0_5tupleIJddEEENS0_10empty_typeEEEZNS1_10merge_implIS3_NS0_12zip_iteratorINS5_IJN6thrust23THRUST_200600_302600_NS6detail15normal_iteratorINSC_10device_ptrIKdEEEESI_EEEEESK_NSA_INS5_IJNSE_INSF_IdEEEESM_EEEEEPS7_SP_SP_NSC_11hip_rocprim7__merge17predicate_wrapperIddNSC_4lessIdEEEEEE10hipError_tPvRmT0_T1_T2_T3_T4_T5_mmT6_P12ihipStream_tbEUlT_E_NS1_11comp_targetILNS1_3genE0ELNS1_11target_archE4294967295ELNS1_3gpuE0ELNS1_3repE0EEENS1_30default_config_static_selectorELNS0_4arch9wavefront6targetE0EEEvS10_.num_agpr, 0
	.set _ZN7rocprim17ROCPRIM_400000_NS6detail17trampoline_kernelINS0_14default_configENS1_21merge_config_selectorINS0_5tupleIJddEEENS0_10empty_typeEEEZNS1_10merge_implIS3_NS0_12zip_iteratorINS5_IJN6thrust23THRUST_200600_302600_NS6detail15normal_iteratorINSC_10device_ptrIKdEEEESI_EEEEESK_NSA_INS5_IJNSE_INSF_IdEEEESM_EEEEEPS7_SP_SP_NSC_11hip_rocprim7__merge17predicate_wrapperIddNSC_4lessIdEEEEEE10hipError_tPvRmT0_T1_T2_T3_T4_T5_mmT6_P12ihipStream_tbEUlT_E_NS1_11comp_targetILNS1_3genE0ELNS1_11target_archE4294967295ELNS1_3gpuE0ELNS1_3repE0EEENS1_30default_config_static_selectorELNS0_4arch9wavefront6targetE0EEEvS10_.numbered_sgpr, 0
	.set _ZN7rocprim17ROCPRIM_400000_NS6detail17trampoline_kernelINS0_14default_configENS1_21merge_config_selectorINS0_5tupleIJddEEENS0_10empty_typeEEEZNS1_10merge_implIS3_NS0_12zip_iteratorINS5_IJN6thrust23THRUST_200600_302600_NS6detail15normal_iteratorINSC_10device_ptrIKdEEEESI_EEEEESK_NSA_INS5_IJNSE_INSF_IdEEEESM_EEEEEPS7_SP_SP_NSC_11hip_rocprim7__merge17predicate_wrapperIddNSC_4lessIdEEEEEE10hipError_tPvRmT0_T1_T2_T3_T4_T5_mmT6_P12ihipStream_tbEUlT_E_NS1_11comp_targetILNS1_3genE0ELNS1_11target_archE4294967295ELNS1_3gpuE0ELNS1_3repE0EEENS1_30default_config_static_selectorELNS0_4arch9wavefront6targetE0EEEvS10_.num_named_barrier, 0
	.set _ZN7rocprim17ROCPRIM_400000_NS6detail17trampoline_kernelINS0_14default_configENS1_21merge_config_selectorINS0_5tupleIJddEEENS0_10empty_typeEEEZNS1_10merge_implIS3_NS0_12zip_iteratorINS5_IJN6thrust23THRUST_200600_302600_NS6detail15normal_iteratorINSC_10device_ptrIKdEEEESI_EEEEESK_NSA_INS5_IJNSE_INSF_IdEEEESM_EEEEEPS7_SP_SP_NSC_11hip_rocprim7__merge17predicate_wrapperIddNSC_4lessIdEEEEEE10hipError_tPvRmT0_T1_T2_T3_T4_T5_mmT6_P12ihipStream_tbEUlT_E_NS1_11comp_targetILNS1_3genE0ELNS1_11target_archE4294967295ELNS1_3gpuE0ELNS1_3repE0EEENS1_30default_config_static_selectorELNS0_4arch9wavefront6targetE0EEEvS10_.private_seg_size, 0
	.set _ZN7rocprim17ROCPRIM_400000_NS6detail17trampoline_kernelINS0_14default_configENS1_21merge_config_selectorINS0_5tupleIJddEEENS0_10empty_typeEEEZNS1_10merge_implIS3_NS0_12zip_iteratorINS5_IJN6thrust23THRUST_200600_302600_NS6detail15normal_iteratorINSC_10device_ptrIKdEEEESI_EEEEESK_NSA_INS5_IJNSE_INSF_IdEEEESM_EEEEEPS7_SP_SP_NSC_11hip_rocprim7__merge17predicate_wrapperIddNSC_4lessIdEEEEEE10hipError_tPvRmT0_T1_T2_T3_T4_T5_mmT6_P12ihipStream_tbEUlT_E_NS1_11comp_targetILNS1_3genE0ELNS1_11target_archE4294967295ELNS1_3gpuE0ELNS1_3repE0EEENS1_30default_config_static_selectorELNS0_4arch9wavefront6targetE0EEEvS10_.uses_vcc, 0
	.set _ZN7rocprim17ROCPRIM_400000_NS6detail17trampoline_kernelINS0_14default_configENS1_21merge_config_selectorINS0_5tupleIJddEEENS0_10empty_typeEEEZNS1_10merge_implIS3_NS0_12zip_iteratorINS5_IJN6thrust23THRUST_200600_302600_NS6detail15normal_iteratorINSC_10device_ptrIKdEEEESI_EEEEESK_NSA_INS5_IJNSE_INSF_IdEEEESM_EEEEEPS7_SP_SP_NSC_11hip_rocprim7__merge17predicate_wrapperIddNSC_4lessIdEEEEEE10hipError_tPvRmT0_T1_T2_T3_T4_T5_mmT6_P12ihipStream_tbEUlT_E_NS1_11comp_targetILNS1_3genE0ELNS1_11target_archE4294967295ELNS1_3gpuE0ELNS1_3repE0EEENS1_30default_config_static_selectorELNS0_4arch9wavefront6targetE0EEEvS10_.uses_flat_scratch, 0
	.set _ZN7rocprim17ROCPRIM_400000_NS6detail17trampoline_kernelINS0_14default_configENS1_21merge_config_selectorINS0_5tupleIJddEEENS0_10empty_typeEEEZNS1_10merge_implIS3_NS0_12zip_iteratorINS5_IJN6thrust23THRUST_200600_302600_NS6detail15normal_iteratorINSC_10device_ptrIKdEEEESI_EEEEESK_NSA_INS5_IJNSE_INSF_IdEEEESM_EEEEEPS7_SP_SP_NSC_11hip_rocprim7__merge17predicate_wrapperIddNSC_4lessIdEEEEEE10hipError_tPvRmT0_T1_T2_T3_T4_T5_mmT6_P12ihipStream_tbEUlT_E_NS1_11comp_targetILNS1_3genE0ELNS1_11target_archE4294967295ELNS1_3gpuE0ELNS1_3repE0EEENS1_30default_config_static_selectorELNS0_4arch9wavefront6targetE0EEEvS10_.has_dyn_sized_stack, 0
	.set _ZN7rocprim17ROCPRIM_400000_NS6detail17trampoline_kernelINS0_14default_configENS1_21merge_config_selectorINS0_5tupleIJddEEENS0_10empty_typeEEEZNS1_10merge_implIS3_NS0_12zip_iteratorINS5_IJN6thrust23THRUST_200600_302600_NS6detail15normal_iteratorINSC_10device_ptrIKdEEEESI_EEEEESK_NSA_INS5_IJNSE_INSF_IdEEEESM_EEEEEPS7_SP_SP_NSC_11hip_rocprim7__merge17predicate_wrapperIddNSC_4lessIdEEEEEE10hipError_tPvRmT0_T1_T2_T3_T4_T5_mmT6_P12ihipStream_tbEUlT_E_NS1_11comp_targetILNS1_3genE0ELNS1_11target_archE4294967295ELNS1_3gpuE0ELNS1_3repE0EEENS1_30default_config_static_selectorELNS0_4arch9wavefront6targetE0EEEvS10_.has_recursion, 0
	.set _ZN7rocprim17ROCPRIM_400000_NS6detail17trampoline_kernelINS0_14default_configENS1_21merge_config_selectorINS0_5tupleIJddEEENS0_10empty_typeEEEZNS1_10merge_implIS3_NS0_12zip_iteratorINS5_IJN6thrust23THRUST_200600_302600_NS6detail15normal_iteratorINSC_10device_ptrIKdEEEESI_EEEEESK_NSA_INS5_IJNSE_INSF_IdEEEESM_EEEEEPS7_SP_SP_NSC_11hip_rocprim7__merge17predicate_wrapperIddNSC_4lessIdEEEEEE10hipError_tPvRmT0_T1_T2_T3_T4_T5_mmT6_P12ihipStream_tbEUlT_E_NS1_11comp_targetILNS1_3genE0ELNS1_11target_archE4294967295ELNS1_3gpuE0ELNS1_3repE0EEENS1_30default_config_static_selectorELNS0_4arch9wavefront6targetE0EEEvS10_.has_indirect_call, 0
	.section	.AMDGPU.csdata,"",@progbits
; Kernel info:
; codeLenInByte = 0
; TotalNumSgprs: 0
; NumVgprs: 0
; ScratchSize: 0
; MemoryBound: 0
; FloatMode: 240
; IeeeMode: 1
; LDSByteSize: 0 bytes/workgroup (compile time only)
; SGPRBlocks: 0
; VGPRBlocks: 0
; NumSGPRsForWavesPerEU: 1
; NumVGPRsForWavesPerEU: 1
; Occupancy: 16
; WaveLimiterHint : 0
; COMPUTE_PGM_RSRC2:SCRATCH_EN: 0
; COMPUTE_PGM_RSRC2:USER_SGPR: 6
; COMPUTE_PGM_RSRC2:TRAP_HANDLER: 0
; COMPUTE_PGM_RSRC2:TGID_X_EN: 1
; COMPUTE_PGM_RSRC2:TGID_Y_EN: 0
; COMPUTE_PGM_RSRC2:TGID_Z_EN: 0
; COMPUTE_PGM_RSRC2:TIDIG_COMP_CNT: 0
	.section	.text._ZN7rocprim17ROCPRIM_400000_NS6detail17trampoline_kernelINS0_14default_configENS1_21merge_config_selectorINS0_5tupleIJddEEENS0_10empty_typeEEEZNS1_10merge_implIS3_NS0_12zip_iteratorINS5_IJN6thrust23THRUST_200600_302600_NS6detail15normal_iteratorINSC_10device_ptrIKdEEEESI_EEEEESK_NSA_INS5_IJNSE_INSF_IdEEEESM_EEEEEPS7_SP_SP_NSC_11hip_rocprim7__merge17predicate_wrapperIddNSC_4lessIdEEEEEE10hipError_tPvRmT0_T1_T2_T3_T4_T5_mmT6_P12ihipStream_tbEUlT_E_NS1_11comp_targetILNS1_3genE5ELNS1_11target_archE942ELNS1_3gpuE9ELNS1_3repE0EEENS1_30default_config_static_selectorELNS0_4arch9wavefront6targetE0EEEvS10_,"axG",@progbits,_ZN7rocprim17ROCPRIM_400000_NS6detail17trampoline_kernelINS0_14default_configENS1_21merge_config_selectorINS0_5tupleIJddEEENS0_10empty_typeEEEZNS1_10merge_implIS3_NS0_12zip_iteratorINS5_IJN6thrust23THRUST_200600_302600_NS6detail15normal_iteratorINSC_10device_ptrIKdEEEESI_EEEEESK_NSA_INS5_IJNSE_INSF_IdEEEESM_EEEEEPS7_SP_SP_NSC_11hip_rocprim7__merge17predicate_wrapperIddNSC_4lessIdEEEEEE10hipError_tPvRmT0_T1_T2_T3_T4_T5_mmT6_P12ihipStream_tbEUlT_E_NS1_11comp_targetILNS1_3genE5ELNS1_11target_archE942ELNS1_3gpuE9ELNS1_3repE0EEENS1_30default_config_static_selectorELNS0_4arch9wavefront6targetE0EEEvS10_,comdat
	.protected	_ZN7rocprim17ROCPRIM_400000_NS6detail17trampoline_kernelINS0_14default_configENS1_21merge_config_selectorINS0_5tupleIJddEEENS0_10empty_typeEEEZNS1_10merge_implIS3_NS0_12zip_iteratorINS5_IJN6thrust23THRUST_200600_302600_NS6detail15normal_iteratorINSC_10device_ptrIKdEEEESI_EEEEESK_NSA_INS5_IJNSE_INSF_IdEEEESM_EEEEEPS7_SP_SP_NSC_11hip_rocprim7__merge17predicate_wrapperIddNSC_4lessIdEEEEEE10hipError_tPvRmT0_T1_T2_T3_T4_T5_mmT6_P12ihipStream_tbEUlT_E_NS1_11comp_targetILNS1_3genE5ELNS1_11target_archE942ELNS1_3gpuE9ELNS1_3repE0EEENS1_30default_config_static_selectorELNS0_4arch9wavefront6targetE0EEEvS10_ ; -- Begin function _ZN7rocprim17ROCPRIM_400000_NS6detail17trampoline_kernelINS0_14default_configENS1_21merge_config_selectorINS0_5tupleIJddEEENS0_10empty_typeEEEZNS1_10merge_implIS3_NS0_12zip_iteratorINS5_IJN6thrust23THRUST_200600_302600_NS6detail15normal_iteratorINSC_10device_ptrIKdEEEESI_EEEEESK_NSA_INS5_IJNSE_INSF_IdEEEESM_EEEEEPS7_SP_SP_NSC_11hip_rocprim7__merge17predicate_wrapperIddNSC_4lessIdEEEEEE10hipError_tPvRmT0_T1_T2_T3_T4_T5_mmT6_P12ihipStream_tbEUlT_E_NS1_11comp_targetILNS1_3genE5ELNS1_11target_archE942ELNS1_3gpuE9ELNS1_3repE0EEENS1_30default_config_static_selectorELNS0_4arch9wavefront6targetE0EEEvS10_
	.globl	_ZN7rocprim17ROCPRIM_400000_NS6detail17trampoline_kernelINS0_14default_configENS1_21merge_config_selectorINS0_5tupleIJddEEENS0_10empty_typeEEEZNS1_10merge_implIS3_NS0_12zip_iteratorINS5_IJN6thrust23THRUST_200600_302600_NS6detail15normal_iteratorINSC_10device_ptrIKdEEEESI_EEEEESK_NSA_INS5_IJNSE_INSF_IdEEEESM_EEEEEPS7_SP_SP_NSC_11hip_rocprim7__merge17predicate_wrapperIddNSC_4lessIdEEEEEE10hipError_tPvRmT0_T1_T2_T3_T4_T5_mmT6_P12ihipStream_tbEUlT_E_NS1_11comp_targetILNS1_3genE5ELNS1_11target_archE942ELNS1_3gpuE9ELNS1_3repE0EEENS1_30default_config_static_selectorELNS0_4arch9wavefront6targetE0EEEvS10_
	.p2align	8
	.type	_ZN7rocprim17ROCPRIM_400000_NS6detail17trampoline_kernelINS0_14default_configENS1_21merge_config_selectorINS0_5tupleIJddEEENS0_10empty_typeEEEZNS1_10merge_implIS3_NS0_12zip_iteratorINS5_IJN6thrust23THRUST_200600_302600_NS6detail15normal_iteratorINSC_10device_ptrIKdEEEESI_EEEEESK_NSA_INS5_IJNSE_INSF_IdEEEESM_EEEEEPS7_SP_SP_NSC_11hip_rocprim7__merge17predicate_wrapperIddNSC_4lessIdEEEEEE10hipError_tPvRmT0_T1_T2_T3_T4_T5_mmT6_P12ihipStream_tbEUlT_E_NS1_11comp_targetILNS1_3genE5ELNS1_11target_archE942ELNS1_3gpuE9ELNS1_3repE0EEENS1_30default_config_static_selectorELNS0_4arch9wavefront6targetE0EEEvS10_,@function
_ZN7rocprim17ROCPRIM_400000_NS6detail17trampoline_kernelINS0_14default_configENS1_21merge_config_selectorINS0_5tupleIJddEEENS0_10empty_typeEEEZNS1_10merge_implIS3_NS0_12zip_iteratorINS5_IJN6thrust23THRUST_200600_302600_NS6detail15normal_iteratorINSC_10device_ptrIKdEEEESI_EEEEESK_NSA_INS5_IJNSE_INSF_IdEEEESM_EEEEEPS7_SP_SP_NSC_11hip_rocprim7__merge17predicate_wrapperIddNSC_4lessIdEEEEEE10hipError_tPvRmT0_T1_T2_T3_T4_T5_mmT6_P12ihipStream_tbEUlT_E_NS1_11comp_targetILNS1_3genE5ELNS1_11target_archE942ELNS1_3gpuE9ELNS1_3repE0EEENS1_30default_config_static_selectorELNS0_4arch9wavefront6targetE0EEEvS10_: ; @_ZN7rocprim17ROCPRIM_400000_NS6detail17trampoline_kernelINS0_14default_configENS1_21merge_config_selectorINS0_5tupleIJddEEENS0_10empty_typeEEEZNS1_10merge_implIS3_NS0_12zip_iteratorINS5_IJN6thrust23THRUST_200600_302600_NS6detail15normal_iteratorINSC_10device_ptrIKdEEEESI_EEEEESK_NSA_INS5_IJNSE_INSF_IdEEEESM_EEEEEPS7_SP_SP_NSC_11hip_rocprim7__merge17predicate_wrapperIddNSC_4lessIdEEEEEE10hipError_tPvRmT0_T1_T2_T3_T4_T5_mmT6_P12ihipStream_tbEUlT_E_NS1_11comp_targetILNS1_3genE5ELNS1_11target_archE942ELNS1_3gpuE9ELNS1_3repE0EEENS1_30default_config_static_selectorELNS0_4arch9wavefront6targetE0EEEvS10_
; %bb.0:
	.section	.rodata,"a",@progbits
	.p2align	6, 0x0
	.amdhsa_kernel _ZN7rocprim17ROCPRIM_400000_NS6detail17trampoline_kernelINS0_14default_configENS1_21merge_config_selectorINS0_5tupleIJddEEENS0_10empty_typeEEEZNS1_10merge_implIS3_NS0_12zip_iteratorINS5_IJN6thrust23THRUST_200600_302600_NS6detail15normal_iteratorINSC_10device_ptrIKdEEEESI_EEEEESK_NSA_INS5_IJNSE_INSF_IdEEEESM_EEEEEPS7_SP_SP_NSC_11hip_rocprim7__merge17predicate_wrapperIddNSC_4lessIdEEEEEE10hipError_tPvRmT0_T1_T2_T3_T4_T5_mmT6_P12ihipStream_tbEUlT_E_NS1_11comp_targetILNS1_3genE5ELNS1_11target_archE942ELNS1_3gpuE9ELNS1_3repE0EEENS1_30default_config_static_selectorELNS0_4arch9wavefront6targetE0EEEvS10_
		.amdhsa_group_segment_fixed_size 0
		.amdhsa_private_segment_fixed_size 0
		.amdhsa_kernarg_size 64
		.amdhsa_user_sgpr_count 6
		.amdhsa_user_sgpr_private_segment_buffer 1
		.amdhsa_user_sgpr_dispatch_ptr 0
		.amdhsa_user_sgpr_queue_ptr 0
		.amdhsa_user_sgpr_kernarg_segment_ptr 1
		.amdhsa_user_sgpr_dispatch_id 0
		.amdhsa_user_sgpr_flat_scratch_init 0
		.amdhsa_user_sgpr_private_segment_size 0
		.amdhsa_wavefront_size32 1
		.amdhsa_uses_dynamic_stack 0
		.amdhsa_system_sgpr_private_segment_wavefront_offset 0
		.amdhsa_system_sgpr_workgroup_id_x 1
		.amdhsa_system_sgpr_workgroup_id_y 0
		.amdhsa_system_sgpr_workgroup_id_z 0
		.amdhsa_system_sgpr_workgroup_info 0
		.amdhsa_system_vgpr_workitem_id 0
		.amdhsa_next_free_vgpr 1
		.amdhsa_next_free_sgpr 1
		.amdhsa_reserve_vcc 0
		.amdhsa_reserve_flat_scratch 0
		.amdhsa_float_round_mode_32 0
		.amdhsa_float_round_mode_16_64 0
		.amdhsa_float_denorm_mode_32 3
		.amdhsa_float_denorm_mode_16_64 3
		.amdhsa_dx10_clamp 1
		.amdhsa_ieee_mode 1
		.amdhsa_fp16_overflow 0
		.amdhsa_workgroup_processor_mode 1
		.amdhsa_memory_ordered 1
		.amdhsa_forward_progress 1
		.amdhsa_shared_vgpr_count 0
		.amdhsa_exception_fp_ieee_invalid_op 0
		.amdhsa_exception_fp_denorm_src 0
		.amdhsa_exception_fp_ieee_div_zero 0
		.amdhsa_exception_fp_ieee_overflow 0
		.amdhsa_exception_fp_ieee_underflow 0
		.amdhsa_exception_fp_ieee_inexact 0
		.amdhsa_exception_int_div_zero 0
	.end_amdhsa_kernel
	.section	.text._ZN7rocprim17ROCPRIM_400000_NS6detail17trampoline_kernelINS0_14default_configENS1_21merge_config_selectorINS0_5tupleIJddEEENS0_10empty_typeEEEZNS1_10merge_implIS3_NS0_12zip_iteratorINS5_IJN6thrust23THRUST_200600_302600_NS6detail15normal_iteratorINSC_10device_ptrIKdEEEESI_EEEEESK_NSA_INS5_IJNSE_INSF_IdEEEESM_EEEEEPS7_SP_SP_NSC_11hip_rocprim7__merge17predicate_wrapperIddNSC_4lessIdEEEEEE10hipError_tPvRmT0_T1_T2_T3_T4_T5_mmT6_P12ihipStream_tbEUlT_E_NS1_11comp_targetILNS1_3genE5ELNS1_11target_archE942ELNS1_3gpuE9ELNS1_3repE0EEENS1_30default_config_static_selectorELNS0_4arch9wavefront6targetE0EEEvS10_,"axG",@progbits,_ZN7rocprim17ROCPRIM_400000_NS6detail17trampoline_kernelINS0_14default_configENS1_21merge_config_selectorINS0_5tupleIJddEEENS0_10empty_typeEEEZNS1_10merge_implIS3_NS0_12zip_iteratorINS5_IJN6thrust23THRUST_200600_302600_NS6detail15normal_iteratorINSC_10device_ptrIKdEEEESI_EEEEESK_NSA_INS5_IJNSE_INSF_IdEEEESM_EEEEEPS7_SP_SP_NSC_11hip_rocprim7__merge17predicate_wrapperIddNSC_4lessIdEEEEEE10hipError_tPvRmT0_T1_T2_T3_T4_T5_mmT6_P12ihipStream_tbEUlT_E_NS1_11comp_targetILNS1_3genE5ELNS1_11target_archE942ELNS1_3gpuE9ELNS1_3repE0EEENS1_30default_config_static_selectorELNS0_4arch9wavefront6targetE0EEEvS10_,comdat
.Lfunc_end2:
	.size	_ZN7rocprim17ROCPRIM_400000_NS6detail17trampoline_kernelINS0_14default_configENS1_21merge_config_selectorINS0_5tupleIJddEEENS0_10empty_typeEEEZNS1_10merge_implIS3_NS0_12zip_iteratorINS5_IJN6thrust23THRUST_200600_302600_NS6detail15normal_iteratorINSC_10device_ptrIKdEEEESI_EEEEESK_NSA_INS5_IJNSE_INSF_IdEEEESM_EEEEEPS7_SP_SP_NSC_11hip_rocprim7__merge17predicate_wrapperIddNSC_4lessIdEEEEEE10hipError_tPvRmT0_T1_T2_T3_T4_T5_mmT6_P12ihipStream_tbEUlT_E_NS1_11comp_targetILNS1_3genE5ELNS1_11target_archE942ELNS1_3gpuE9ELNS1_3repE0EEENS1_30default_config_static_selectorELNS0_4arch9wavefront6targetE0EEEvS10_, .Lfunc_end2-_ZN7rocprim17ROCPRIM_400000_NS6detail17trampoline_kernelINS0_14default_configENS1_21merge_config_selectorINS0_5tupleIJddEEENS0_10empty_typeEEEZNS1_10merge_implIS3_NS0_12zip_iteratorINS5_IJN6thrust23THRUST_200600_302600_NS6detail15normal_iteratorINSC_10device_ptrIKdEEEESI_EEEEESK_NSA_INS5_IJNSE_INSF_IdEEEESM_EEEEEPS7_SP_SP_NSC_11hip_rocprim7__merge17predicate_wrapperIddNSC_4lessIdEEEEEE10hipError_tPvRmT0_T1_T2_T3_T4_T5_mmT6_P12ihipStream_tbEUlT_E_NS1_11comp_targetILNS1_3genE5ELNS1_11target_archE942ELNS1_3gpuE9ELNS1_3repE0EEENS1_30default_config_static_selectorELNS0_4arch9wavefront6targetE0EEEvS10_
                                        ; -- End function
	.set _ZN7rocprim17ROCPRIM_400000_NS6detail17trampoline_kernelINS0_14default_configENS1_21merge_config_selectorINS0_5tupleIJddEEENS0_10empty_typeEEEZNS1_10merge_implIS3_NS0_12zip_iteratorINS5_IJN6thrust23THRUST_200600_302600_NS6detail15normal_iteratorINSC_10device_ptrIKdEEEESI_EEEEESK_NSA_INS5_IJNSE_INSF_IdEEEESM_EEEEEPS7_SP_SP_NSC_11hip_rocprim7__merge17predicate_wrapperIddNSC_4lessIdEEEEEE10hipError_tPvRmT0_T1_T2_T3_T4_T5_mmT6_P12ihipStream_tbEUlT_E_NS1_11comp_targetILNS1_3genE5ELNS1_11target_archE942ELNS1_3gpuE9ELNS1_3repE0EEENS1_30default_config_static_selectorELNS0_4arch9wavefront6targetE0EEEvS10_.num_vgpr, 0
	.set _ZN7rocprim17ROCPRIM_400000_NS6detail17trampoline_kernelINS0_14default_configENS1_21merge_config_selectorINS0_5tupleIJddEEENS0_10empty_typeEEEZNS1_10merge_implIS3_NS0_12zip_iteratorINS5_IJN6thrust23THRUST_200600_302600_NS6detail15normal_iteratorINSC_10device_ptrIKdEEEESI_EEEEESK_NSA_INS5_IJNSE_INSF_IdEEEESM_EEEEEPS7_SP_SP_NSC_11hip_rocprim7__merge17predicate_wrapperIddNSC_4lessIdEEEEEE10hipError_tPvRmT0_T1_T2_T3_T4_T5_mmT6_P12ihipStream_tbEUlT_E_NS1_11comp_targetILNS1_3genE5ELNS1_11target_archE942ELNS1_3gpuE9ELNS1_3repE0EEENS1_30default_config_static_selectorELNS0_4arch9wavefront6targetE0EEEvS10_.num_agpr, 0
	.set _ZN7rocprim17ROCPRIM_400000_NS6detail17trampoline_kernelINS0_14default_configENS1_21merge_config_selectorINS0_5tupleIJddEEENS0_10empty_typeEEEZNS1_10merge_implIS3_NS0_12zip_iteratorINS5_IJN6thrust23THRUST_200600_302600_NS6detail15normal_iteratorINSC_10device_ptrIKdEEEESI_EEEEESK_NSA_INS5_IJNSE_INSF_IdEEEESM_EEEEEPS7_SP_SP_NSC_11hip_rocprim7__merge17predicate_wrapperIddNSC_4lessIdEEEEEE10hipError_tPvRmT0_T1_T2_T3_T4_T5_mmT6_P12ihipStream_tbEUlT_E_NS1_11comp_targetILNS1_3genE5ELNS1_11target_archE942ELNS1_3gpuE9ELNS1_3repE0EEENS1_30default_config_static_selectorELNS0_4arch9wavefront6targetE0EEEvS10_.numbered_sgpr, 0
	.set _ZN7rocprim17ROCPRIM_400000_NS6detail17trampoline_kernelINS0_14default_configENS1_21merge_config_selectorINS0_5tupleIJddEEENS0_10empty_typeEEEZNS1_10merge_implIS3_NS0_12zip_iteratorINS5_IJN6thrust23THRUST_200600_302600_NS6detail15normal_iteratorINSC_10device_ptrIKdEEEESI_EEEEESK_NSA_INS5_IJNSE_INSF_IdEEEESM_EEEEEPS7_SP_SP_NSC_11hip_rocprim7__merge17predicate_wrapperIddNSC_4lessIdEEEEEE10hipError_tPvRmT0_T1_T2_T3_T4_T5_mmT6_P12ihipStream_tbEUlT_E_NS1_11comp_targetILNS1_3genE5ELNS1_11target_archE942ELNS1_3gpuE9ELNS1_3repE0EEENS1_30default_config_static_selectorELNS0_4arch9wavefront6targetE0EEEvS10_.num_named_barrier, 0
	.set _ZN7rocprim17ROCPRIM_400000_NS6detail17trampoline_kernelINS0_14default_configENS1_21merge_config_selectorINS0_5tupleIJddEEENS0_10empty_typeEEEZNS1_10merge_implIS3_NS0_12zip_iteratorINS5_IJN6thrust23THRUST_200600_302600_NS6detail15normal_iteratorINSC_10device_ptrIKdEEEESI_EEEEESK_NSA_INS5_IJNSE_INSF_IdEEEESM_EEEEEPS7_SP_SP_NSC_11hip_rocprim7__merge17predicate_wrapperIddNSC_4lessIdEEEEEE10hipError_tPvRmT0_T1_T2_T3_T4_T5_mmT6_P12ihipStream_tbEUlT_E_NS1_11comp_targetILNS1_3genE5ELNS1_11target_archE942ELNS1_3gpuE9ELNS1_3repE0EEENS1_30default_config_static_selectorELNS0_4arch9wavefront6targetE0EEEvS10_.private_seg_size, 0
	.set _ZN7rocprim17ROCPRIM_400000_NS6detail17trampoline_kernelINS0_14default_configENS1_21merge_config_selectorINS0_5tupleIJddEEENS0_10empty_typeEEEZNS1_10merge_implIS3_NS0_12zip_iteratorINS5_IJN6thrust23THRUST_200600_302600_NS6detail15normal_iteratorINSC_10device_ptrIKdEEEESI_EEEEESK_NSA_INS5_IJNSE_INSF_IdEEEESM_EEEEEPS7_SP_SP_NSC_11hip_rocprim7__merge17predicate_wrapperIddNSC_4lessIdEEEEEE10hipError_tPvRmT0_T1_T2_T3_T4_T5_mmT6_P12ihipStream_tbEUlT_E_NS1_11comp_targetILNS1_3genE5ELNS1_11target_archE942ELNS1_3gpuE9ELNS1_3repE0EEENS1_30default_config_static_selectorELNS0_4arch9wavefront6targetE0EEEvS10_.uses_vcc, 0
	.set _ZN7rocprim17ROCPRIM_400000_NS6detail17trampoline_kernelINS0_14default_configENS1_21merge_config_selectorINS0_5tupleIJddEEENS0_10empty_typeEEEZNS1_10merge_implIS3_NS0_12zip_iteratorINS5_IJN6thrust23THRUST_200600_302600_NS6detail15normal_iteratorINSC_10device_ptrIKdEEEESI_EEEEESK_NSA_INS5_IJNSE_INSF_IdEEEESM_EEEEEPS7_SP_SP_NSC_11hip_rocprim7__merge17predicate_wrapperIddNSC_4lessIdEEEEEE10hipError_tPvRmT0_T1_T2_T3_T4_T5_mmT6_P12ihipStream_tbEUlT_E_NS1_11comp_targetILNS1_3genE5ELNS1_11target_archE942ELNS1_3gpuE9ELNS1_3repE0EEENS1_30default_config_static_selectorELNS0_4arch9wavefront6targetE0EEEvS10_.uses_flat_scratch, 0
	.set _ZN7rocprim17ROCPRIM_400000_NS6detail17trampoline_kernelINS0_14default_configENS1_21merge_config_selectorINS0_5tupleIJddEEENS0_10empty_typeEEEZNS1_10merge_implIS3_NS0_12zip_iteratorINS5_IJN6thrust23THRUST_200600_302600_NS6detail15normal_iteratorINSC_10device_ptrIKdEEEESI_EEEEESK_NSA_INS5_IJNSE_INSF_IdEEEESM_EEEEEPS7_SP_SP_NSC_11hip_rocprim7__merge17predicate_wrapperIddNSC_4lessIdEEEEEE10hipError_tPvRmT0_T1_T2_T3_T4_T5_mmT6_P12ihipStream_tbEUlT_E_NS1_11comp_targetILNS1_3genE5ELNS1_11target_archE942ELNS1_3gpuE9ELNS1_3repE0EEENS1_30default_config_static_selectorELNS0_4arch9wavefront6targetE0EEEvS10_.has_dyn_sized_stack, 0
	.set _ZN7rocprim17ROCPRIM_400000_NS6detail17trampoline_kernelINS0_14default_configENS1_21merge_config_selectorINS0_5tupleIJddEEENS0_10empty_typeEEEZNS1_10merge_implIS3_NS0_12zip_iteratorINS5_IJN6thrust23THRUST_200600_302600_NS6detail15normal_iteratorINSC_10device_ptrIKdEEEESI_EEEEESK_NSA_INS5_IJNSE_INSF_IdEEEESM_EEEEEPS7_SP_SP_NSC_11hip_rocprim7__merge17predicate_wrapperIddNSC_4lessIdEEEEEE10hipError_tPvRmT0_T1_T2_T3_T4_T5_mmT6_P12ihipStream_tbEUlT_E_NS1_11comp_targetILNS1_3genE5ELNS1_11target_archE942ELNS1_3gpuE9ELNS1_3repE0EEENS1_30default_config_static_selectorELNS0_4arch9wavefront6targetE0EEEvS10_.has_recursion, 0
	.set _ZN7rocprim17ROCPRIM_400000_NS6detail17trampoline_kernelINS0_14default_configENS1_21merge_config_selectorINS0_5tupleIJddEEENS0_10empty_typeEEEZNS1_10merge_implIS3_NS0_12zip_iteratorINS5_IJN6thrust23THRUST_200600_302600_NS6detail15normal_iteratorINSC_10device_ptrIKdEEEESI_EEEEESK_NSA_INS5_IJNSE_INSF_IdEEEESM_EEEEEPS7_SP_SP_NSC_11hip_rocprim7__merge17predicate_wrapperIddNSC_4lessIdEEEEEE10hipError_tPvRmT0_T1_T2_T3_T4_T5_mmT6_P12ihipStream_tbEUlT_E_NS1_11comp_targetILNS1_3genE5ELNS1_11target_archE942ELNS1_3gpuE9ELNS1_3repE0EEENS1_30default_config_static_selectorELNS0_4arch9wavefront6targetE0EEEvS10_.has_indirect_call, 0
	.section	.AMDGPU.csdata,"",@progbits
; Kernel info:
; codeLenInByte = 0
; TotalNumSgprs: 0
; NumVgprs: 0
; ScratchSize: 0
; MemoryBound: 0
; FloatMode: 240
; IeeeMode: 1
; LDSByteSize: 0 bytes/workgroup (compile time only)
; SGPRBlocks: 0
; VGPRBlocks: 0
; NumSGPRsForWavesPerEU: 1
; NumVGPRsForWavesPerEU: 1
; Occupancy: 16
; WaveLimiterHint : 0
; COMPUTE_PGM_RSRC2:SCRATCH_EN: 0
; COMPUTE_PGM_RSRC2:USER_SGPR: 6
; COMPUTE_PGM_RSRC2:TRAP_HANDLER: 0
; COMPUTE_PGM_RSRC2:TGID_X_EN: 1
; COMPUTE_PGM_RSRC2:TGID_Y_EN: 0
; COMPUTE_PGM_RSRC2:TGID_Z_EN: 0
; COMPUTE_PGM_RSRC2:TIDIG_COMP_CNT: 0
	.section	.text._ZN7rocprim17ROCPRIM_400000_NS6detail17trampoline_kernelINS0_14default_configENS1_21merge_config_selectorINS0_5tupleIJddEEENS0_10empty_typeEEEZNS1_10merge_implIS3_NS0_12zip_iteratorINS5_IJN6thrust23THRUST_200600_302600_NS6detail15normal_iteratorINSC_10device_ptrIKdEEEESI_EEEEESK_NSA_INS5_IJNSE_INSF_IdEEEESM_EEEEEPS7_SP_SP_NSC_11hip_rocprim7__merge17predicate_wrapperIddNSC_4lessIdEEEEEE10hipError_tPvRmT0_T1_T2_T3_T4_T5_mmT6_P12ihipStream_tbEUlT_E_NS1_11comp_targetILNS1_3genE4ELNS1_11target_archE910ELNS1_3gpuE8ELNS1_3repE0EEENS1_30default_config_static_selectorELNS0_4arch9wavefront6targetE0EEEvS10_,"axG",@progbits,_ZN7rocprim17ROCPRIM_400000_NS6detail17trampoline_kernelINS0_14default_configENS1_21merge_config_selectorINS0_5tupleIJddEEENS0_10empty_typeEEEZNS1_10merge_implIS3_NS0_12zip_iteratorINS5_IJN6thrust23THRUST_200600_302600_NS6detail15normal_iteratorINSC_10device_ptrIKdEEEESI_EEEEESK_NSA_INS5_IJNSE_INSF_IdEEEESM_EEEEEPS7_SP_SP_NSC_11hip_rocprim7__merge17predicate_wrapperIddNSC_4lessIdEEEEEE10hipError_tPvRmT0_T1_T2_T3_T4_T5_mmT6_P12ihipStream_tbEUlT_E_NS1_11comp_targetILNS1_3genE4ELNS1_11target_archE910ELNS1_3gpuE8ELNS1_3repE0EEENS1_30default_config_static_selectorELNS0_4arch9wavefront6targetE0EEEvS10_,comdat
	.protected	_ZN7rocprim17ROCPRIM_400000_NS6detail17trampoline_kernelINS0_14default_configENS1_21merge_config_selectorINS0_5tupleIJddEEENS0_10empty_typeEEEZNS1_10merge_implIS3_NS0_12zip_iteratorINS5_IJN6thrust23THRUST_200600_302600_NS6detail15normal_iteratorINSC_10device_ptrIKdEEEESI_EEEEESK_NSA_INS5_IJNSE_INSF_IdEEEESM_EEEEEPS7_SP_SP_NSC_11hip_rocprim7__merge17predicate_wrapperIddNSC_4lessIdEEEEEE10hipError_tPvRmT0_T1_T2_T3_T4_T5_mmT6_P12ihipStream_tbEUlT_E_NS1_11comp_targetILNS1_3genE4ELNS1_11target_archE910ELNS1_3gpuE8ELNS1_3repE0EEENS1_30default_config_static_selectorELNS0_4arch9wavefront6targetE0EEEvS10_ ; -- Begin function _ZN7rocprim17ROCPRIM_400000_NS6detail17trampoline_kernelINS0_14default_configENS1_21merge_config_selectorINS0_5tupleIJddEEENS0_10empty_typeEEEZNS1_10merge_implIS3_NS0_12zip_iteratorINS5_IJN6thrust23THRUST_200600_302600_NS6detail15normal_iteratorINSC_10device_ptrIKdEEEESI_EEEEESK_NSA_INS5_IJNSE_INSF_IdEEEESM_EEEEEPS7_SP_SP_NSC_11hip_rocprim7__merge17predicate_wrapperIddNSC_4lessIdEEEEEE10hipError_tPvRmT0_T1_T2_T3_T4_T5_mmT6_P12ihipStream_tbEUlT_E_NS1_11comp_targetILNS1_3genE4ELNS1_11target_archE910ELNS1_3gpuE8ELNS1_3repE0EEENS1_30default_config_static_selectorELNS0_4arch9wavefront6targetE0EEEvS10_
	.globl	_ZN7rocprim17ROCPRIM_400000_NS6detail17trampoline_kernelINS0_14default_configENS1_21merge_config_selectorINS0_5tupleIJddEEENS0_10empty_typeEEEZNS1_10merge_implIS3_NS0_12zip_iteratorINS5_IJN6thrust23THRUST_200600_302600_NS6detail15normal_iteratorINSC_10device_ptrIKdEEEESI_EEEEESK_NSA_INS5_IJNSE_INSF_IdEEEESM_EEEEEPS7_SP_SP_NSC_11hip_rocprim7__merge17predicate_wrapperIddNSC_4lessIdEEEEEE10hipError_tPvRmT0_T1_T2_T3_T4_T5_mmT6_P12ihipStream_tbEUlT_E_NS1_11comp_targetILNS1_3genE4ELNS1_11target_archE910ELNS1_3gpuE8ELNS1_3repE0EEENS1_30default_config_static_selectorELNS0_4arch9wavefront6targetE0EEEvS10_
	.p2align	8
	.type	_ZN7rocprim17ROCPRIM_400000_NS6detail17trampoline_kernelINS0_14default_configENS1_21merge_config_selectorINS0_5tupleIJddEEENS0_10empty_typeEEEZNS1_10merge_implIS3_NS0_12zip_iteratorINS5_IJN6thrust23THRUST_200600_302600_NS6detail15normal_iteratorINSC_10device_ptrIKdEEEESI_EEEEESK_NSA_INS5_IJNSE_INSF_IdEEEESM_EEEEEPS7_SP_SP_NSC_11hip_rocprim7__merge17predicate_wrapperIddNSC_4lessIdEEEEEE10hipError_tPvRmT0_T1_T2_T3_T4_T5_mmT6_P12ihipStream_tbEUlT_E_NS1_11comp_targetILNS1_3genE4ELNS1_11target_archE910ELNS1_3gpuE8ELNS1_3repE0EEENS1_30default_config_static_selectorELNS0_4arch9wavefront6targetE0EEEvS10_,@function
_ZN7rocprim17ROCPRIM_400000_NS6detail17trampoline_kernelINS0_14default_configENS1_21merge_config_selectorINS0_5tupleIJddEEENS0_10empty_typeEEEZNS1_10merge_implIS3_NS0_12zip_iteratorINS5_IJN6thrust23THRUST_200600_302600_NS6detail15normal_iteratorINSC_10device_ptrIKdEEEESI_EEEEESK_NSA_INS5_IJNSE_INSF_IdEEEESM_EEEEEPS7_SP_SP_NSC_11hip_rocprim7__merge17predicate_wrapperIddNSC_4lessIdEEEEEE10hipError_tPvRmT0_T1_T2_T3_T4_T5_mmT6_P12ihipStream_tbEUlT_E_NS1_11comp_targetILNS1_3genE4ELNS1_11target_archE910ELNS1_3gpuE8ELNS1_3repE0EEENS1_30default_config_static_selectorELNS0_4arch9wavefront6targetE0EEEvS10_: ; @_ZN7rocprim17ROCPRIM_400000_NS6detail17trampoline_kernelINS0_14default_configENS1_21merge_config_selectorINS0_5tupleIJddEEENS0_10empty_typeEEEZNS1_10merge_implIS3_NS0_12zip_iteratorINS5_IJN6thrust23THRUST_200600_302600_NS6detail15normal_iteratorINSC_10device_ptrIKdEEEESI_EEEEESK_NSA_INS5_IJNSE_INSF_IdEEEESM_EEEEEPS7_SP_SP_NSC_11hip_rocprim7__merge17predicate_wrapperIddNSC_4lessIdEEEEEE10hipError_tPvRmT0_T1_T2_T3_T4_T5_mmT6_P12ihipStream_tbEUlT_E_NS1_11comp_targetILNS1_3genE4ELNS1_11target_archE910ELNS1_3gpuE8ELNS1_3repE0EEENS1_30default_config_static_selectorELNS0_4arch9wavefront6targetE0EEEvS10_
; %bb.0:
	.section	.rodata,"a",@progbits
	.p2align	6, 0x0
	.amdhsa_kernel _ZN7rocprim17ROCPRIM_400000_NS6detail17trampoline_kernelINS0_14default_configENS1_21merge_config_selectorINS0_5tupleIJddEEENS0_10empty_typeEEEZNS1_10merge_implIS3_NS0_12zip_iteratorINS5_IJN6thrust23THRUST_200600_302600_NS6detail15normal_iteratorINSC_10device_ptrIKdEEEESI_EEEEESK_NSA_INS5_IJNSE_INSF_IdEEEESM_EEEEEPS7_SP_SP_NSC_11hip_rocprim7__merge17predicate_wrapperIddNSC_4lessIdEEEEEE10hipError_tPvRmT0_T1_T2_T3_T4_T5_mmT6_P12ihipStream_tbEUlT_E_NS1_11comp_targetILNS1_3genE4ELNS1_11target_archE910ELNS1_3gpuE8ELNS1_3repE0EEENS1_30default_config_static_selectorELNS0_4arch9wavefront6targetE0EEEvS10_
		.amdhsa_group_segment_fixed_size 0
		.amdhsa_private_segment_fixed_size 0
		.amdhsa_kernarg_size 64
		.amdhsa_user_sgpr_count 6
		.amdhsa_user_sgpr_private_segment_buffer 1
		.amdhsa_user_sgpr_dispatch_ptr 0
		.amdhsa_user_sgpr_queue_ptr 0
		.amdhsa_user_sgpr_kernarg_segment_ptr 1
		.amdhsa_user_sgpr_dispatch_id 0
		.amdhsa_user_sgpr_flat_scratch_init 0
		.amdhsa_user_sgpr_private_segment_size 0
		.amdhsa_wavefront_size32 1
		.amdhsa_uses_dynamic_stack 0
		.amdhsa_system_sgpr_private_segment_wavefront_offset 0
		.amdhsa_system_sgpr_workgroup_id_x 1
		.amdhsa_system_sgpr_workgroup_id_y 0
		.amdhsa_system_sgpr_workgroup_id_z 0
		.amdhsa_system_sgpr_workgroup_info 0
		.amdhsa_system_vgpr_workitem_id 0
		.amdhsa_next_free_vgpr 1
		.amdhsa_next_free_sgpr 1
		.amdhsa_reserve_vcc 0
		.amdhsa_reserve_flat_scratch 0
		.amdhsa_float_round_mode_32 0
		.amdhsa_float_round_mode_16_64 0
		.amdhsa_float_denorm_mode_32 3
		.amdhsa_float_denorm_mode_16_64 3
		.amdhsa_dx10_clamp 1
		.amdhsa_ieee_mode 1
		.amdhsa_fp16_overflow 0
		.amdhsa_workgroup_processor_mode 1
		.amdhsa_memory_ordered 1
		.amdhsa_forward_progress 1
		.amdhsa_shared_vgpr_count 0
		.amdhsa_exception_fp_ieee_invalid_op 0
		.amdhsa_exception_fp_denorm_src 0
		.amdhsa_exception_fp_ieee_div_zero 0
		.amdhsa_exception_fp_ieee_overflow 0
		.amdhsa_exception_fp_ieee_underflow 0
		.amdhsa_exception_fp_ieee_inexact 0
		.amdhsa_exception_int_div_zero 0
	.end_amdhsa_kernel
	.section	.text._ZN7rocprim17ROCPRIM_400000_NS6detail17trampoline_kernelINS0_14default_configENS1_21merge_config_selectorINS0_5tupleIJddEEENS0_10empty_typeEEEZNS1_10merge_implIS3_NS0_12zip_iteratorINS5_IJN6thrust23THRUST_200600_302600_NS6detail15normal_iteratorINSC_10device_ptrIKdEEEESI_EEEEESK_NSA_INS5_IJNSE_INSF_IdEEEESM_EEEEEPS7_SP_SP_NSC_11hip_rocprim7__merge17predicate_wrapperIddNSC_4lessIdEEEEEE10hipError_tPvRmT0_T1_T2_T3_T4_T5_mmT6_P12ihipStream_tbEUlT_E_NS1_11comp_targetILNS1_3genE4ELNS1_11target_archE910ELNS1_3gpuE8ELNS1_3repE0EEENS1_30default_config_static_selectorELNS0_4arch9wavefront6targetE0EEEvS10_,"axG",@progbits,_ZN7rocprim17ROCPRIM_400000_NS6detail17trampoline_kernelINS0_14default_configENS1_21merge_config_selectorINS0_5tupleIJddEEENS0_10empty_typeEEEZNS1_10merge_implIS3_NS0_12zip_iteratorINS5_IJN6thrust23THRUST_200600_302600_NS6detail15normal_iteratorINSC_10device_ptrIKdEEEESI_EEEEESK_NSA_INS5_IJNSE_INSF_IdEEEESM_EEEEEPS7_SP_SP_NSC_11hip_rocprim7__merge17predicate_wrapperIddNSC_4lessIdEEEEEE10hipError_tPvRmT0_T1_T2_T3_T4_T5_mmT6_P12ihipStream_tbEUlT_E_NS1_11comp_targetILNS1_3genE4ELNS1_11target_archE910ELNS1_3gpuE8ELNS1_3repE0EEENS1_30default_config_static_selectorELNS0_4arch9wavefront6targetE0EEEvS10_,comdat
.Lfunc_end3:
	.size	_ZN7rocprim17ROCPRIM_400000_NS6detail17trampoline_kernelINS0_14default_configENS1_21merge_config_selectorINS0_5tupleIJddEEENS0_10empty_typeEEEZNS1_10merge_implIS3_NS0_12zip_iteratorINS5_IJN6thrust23THRUST_200600_302600_NS6detail15normal_iteratorINSC_10device_ptrIKdEEEESI_EEEEESK_NSA_INS5_IJNSE_INSF_IdEEEESM_EEEEEPS7_SP_SP_NSC_11hip_rocprim7__merge17predicate_wrapperIddNSC_4lessIdEEEEEE10hipError_tPvRmT0_T1_T2_T3_T4_T5_mmT6_P12ihipStream_tbEUlT_E_NS1_11comp_targetILNS1_3genE4ELNS1_11target_archE910ELNS1_3gpuE8ELNS1_3repE0EEENS1_30default_config_static_selectorELNS0_4arch9wavefront6targetE0EEEvS10_, .Lfunc_end3-_ZN7rocprim17ROCPRIM_400000_NS6detail17trampoline_kernelINS0_14default_configENS1_21merge_config_selectorINS0_5tupleIJddEEENS0_10empty_typeEEEZNS1_10merge_implIS3_NS0_12zip_iteratorINS5_IJN6thrust23THRUST_200600_302600_NS6detail15normal_iteratorINSC_10device_ptrIKdEEEESI_EEEEESK_NSA_INS5_IJNSE_INSF_IdEEEESM_EEEEEPS7_SP_SP_NSC_11hip_rocprim7__merge17predicate_wrapperIddNSC_4lessIdEEEEEE10hipError_tPvRmT0_T1_T2_T3_T4_T5_mmT6_P12ihipStream_tbEUlT_E_NS1_11comp_targetILNS1_3genE4ELNS1_11target_archE910ELNS1_3gpuE8ELNS1_3repE0EEENS1_30default_config_static_selectorELNS0_4arch9wavefront6targetE0EEEvS10_
                                        ; -- End function
	.set _ZN7rocprim17ROCPRIM_400000_NS6detail17trampoline_kernelINS0_14default_configENS1_21merge_config_selectorINS0_5tupleIJddEEENS0_10empty_typeEEEZNS1_10merge_implIS3_NS0_12zip_iteratorINS5_IJN6thrust23THRUST_200600_302600_NS6detail15normal_iteratorINSC_10device_ptrIKdEEEESI_EEEEESK_NSA_INS5_IJNSE_INSF_IdEEEESM_EEEEEPS7_SP_SP_NSC_11hip_rocprim7__merge17predicate_wrapperIddNSC_4lessIdEEEEEE10hipError_tPvRmT0_T1_T2_T3_T4_T5_mmT6_P12ihipStream_tbEUlT_E_NS1_11comp_targetILNS1_3genE4ELNS1_11target_archE910ELNS1_3gpuE8ELNS1_3repE0EEENS1_30default_config_static_selectorELNS0_4arch9wavefront6targetE0EEEvS10_.num_vgpr, 0
	.set _ZN7rocprim17ROCPRIM_400000_NS6detail17trampoline_kernelINS0_14default_configENS1_21merge_config_selectorINS0_5tupleIJddEEENS0_10empty_typeEEEZNS1_10merge_implIS3_NS0_12zip_iteratorINS5_IJN6thrust23THRUST_200600_302600_NS6detail15normal_iteratorINSC_10device_ptrIKdEEEESI_EEEEESK_NSA_INS5_IJNSE_INSF_IdEEEESM_EEEEEPS7_SP_SP_NSC_11hip_rocprim7__merge17predicate_wrapperIddNSC_4lessIdEEEEEE10hipError_tPvRmT0_T1_T2_T3_T4_T5_mmT6_P12ihipStream_tbEUlT_E_NS1_11comp_targetILNS1_3genE4ELNS1_11target_archE910ELNS1_3gpuE8ELNS1_3repE0EEENS1_30default_config_static_selectorELNS0_4arch9wavefront6targetE0EEEvS10_.num_agpr, 0
	.set _ZN7rocprim17ROCPRIM_400000_NS6detail17trampoline_kernelINS0_14default_configENS1_21merge_config_selectorINS0_5tupleIJddEEENS0_10empty_typeEEEZNS1_10merge_implIS3_NS0_12zip_iteratorINS5_IJN6thrust23THRUST_200600_302600_NS6detail15normal_iteratorINSC_10device_ptrIKdEEEESI_EEEEESK_NSA_INS5_IJNSE_INSF_IdEEEESM_EEEEEPS7_SP_SP_NSC_11hip_rocprim7__merge17predicate_wrapperIddNSC_4lessIdEEEEEE10hipError_tPvRmT0_T1_T2_T3_T4_T5_mmT6_P12ihipStream_tbEUlT_E_NS1_11comp_targetILNS1_3genE4ELNS1_11target_archE910ELNS1_3gpuE8ELNS1_3repE0EEENS1_30default_config_static_selectorELNS0_4arch9wavefront6targetE0EEEvS10_.numbered_sgpr, 0
	.set _ZN7rocprim17ROCPRIM_400000_NS6detail17trampoline_kernelINS0_14default_configENS1_21merge_config_selectorINS0_5tupleIJddEEENS0_10empty_typeEEEZNS1_10merge_implIS3_NS0_12zip_iteratorINS5_IJN6thrust23THRUST_200600_302600_NS6detail15normal_iteratorINSC_10device_ptrIKdEEEESI_EEEEESK_NSA_INS5_IJNSE_INSF_IdEEEESM_EEEEEPS7_SP_SP_NSC_11hip_rocprim7__merge17predicate_wrapperIddNSC_4lessIdEEEEEE10hipError_tPvRmT0_T1_T2_T3_T4_T5_mmT6_P12ihipStream_tbEUlT_E_NS1_11comp_targetILNS1_3genE4ELNS1_11target_archE910ELNS1_3gpuE8ELNS1_3repE0EEENS1_30default_config_static_selectorELNS0_4arch9wavefront6targetE0EEEvS10_.num_named_barrier, 0
	.set _ZN7rocprim17ROCPRIM_400000_NS6detail17trampoline_kernelINS0_14default_configENS1_21merge_config_selectorINS0_5tupleIJddEEENS0_10empty_typeEEEZNS1_10merge_implIS3_NS0_12zip_iteratorINS5_IJN6thrust23THRUST_200600_302600_NS6detail15normal_iteratorINSC_10device_ptrIKdEEEESI_EEEEESK_NSA_INS5_IJNSE_INSF_IdEEEESM_EEEEEPS7_SP_SP_NSC_11hip_rocprim7__merge17predicate_wrapperIddNSC_4lessIdEEEEEE10hipError_tPvRmT0_T1_T2_T3_T4_T5_mmT6_P12ihipStream_tbEUlT_E_NS1_11comp_targetILNS1_3genE4ELNS1_11target_archE910ELNS1_3gpuE8ELNS1_3repE0EEENS1_30default_config_static_selectorELNS0_4arch9wavefront6targetE0EEEvS10_.private_seg_size, 0
	.set _ZN7rocprim17ROCPRIM_400000_NS6detail17trampoline_kernelINS0_14default_configENS1_21merge_config_selectorINS0_5tupleIJddEEENS0_10empty_typeEEEZNS1_10merge_implIS3_NS0_12zip_iteratorINS5_IJN6thrust23THRUST_200600_302600_NS6detail15normal_iteratorINSC_10device_ptrIKdEEEESI_EEEEESK_NSA_INS5_IJNSE_INSF_IdEEEESM_EEEEEPS7_SP_SP_NSC_11hip_rocprim7__merge17predicate_wrapperIddNSC_4lessIdEEEEEE10hipError_tPvRmT0_T1_T2_T3_T4_T5_mmT6_P12ihipStream_tbEUlT_E_NS1_11comp_targetILNS1_3genE4ELNS1_11target_archE910ELNS1_3gpuE8ELNS1_3repE0EEENS1_30default_config_static_selectorELNS0_4arch9wavefront6targetE0EEEvS10_.uses_vcc, 0
	.set _ZN7rocprim17ROCPRIM_400000_NS6detail17trampoline_kernelINS0_14default_configENS1_21merge_config_selectorINS0_5tupleIJddEEENS0_10empty_typeEEEZNS1_10merge_implIS3_NS0_12zip_iteratorINS5_IJN6thrust23THRUST_200600_302600_NS6detail15normal_iteratorINSC_10device_ptrIKdEEEESI_EEEEESK_NSA_INS5_IJNSE_INSF_IdEEEESM_EEEEEPS7_SP_SP_NSC_11hip_rocprim7__merge17predicate_wrapperIddNSC_4lessIdEEEEEE10hipError_tPvRmT0_T1_T2_T3_T4_T5_mmT6_P12ihipStream_tbEUlT_E_NS1_11comp_targetILNS1_3genE4ELNS1_11target_archE910ELNS1_3gpuE8ELNS1_3repE0EEENS1_30default_config_static_selectorELNS0_4arch9wavefront6targetE0EEEvS10_.uses_flat_scratch, 0
	.set _ZN7rocprim17ROCPRIM_400000_NS6detail17trampoline_kernelINS0_14default_configENS1_21merge_config_selectorINS0_5tupleIJddEEENS0_10empty_typeEEEZNS1_10merge_implIS3_NS0_12zip_iteratorINS5_IJN6thrust23THRUST_200600_302600_NS6detail15normal_iteratorINSC_10device_ptrIKdEEEESI_EEEEESK_NSA_INS5_IJNSE_INSF_IdEEEESM_EEEEEPS7_SP_SP_NSC_11hip_rocprim7__merge17predicate_wrapperIddNSC_4lessIdEEEEEE10hipError_tPvRmT0_T1_T2_T3_T4_T5_mmT6_P12ihipStream_tbEUlT_E_NS1_11comp_targetILNS1_3genE4ELNS1_11target_archE910ELNS1_3gpuE8ELNS1_3repE0EEENS1_30default_config_static_selectorELNS0_4arch9wavefront6targetE0EEEvS10_.has_dyn_sized_stack, 0
	.set _ZN7rocprim17ROCPRIM_400000_NS6detail17trampoline_kernelINS0_14default_configENS1_21merge_config_selectorINS0_5tupleIJddEEENS0_10empty_typeEEEZNS1_10merge_implIS3_NS0_12zip_iteratorINS5_IJN6thrust23THRUST_200600_302600_NS6detail15normal_iteratorINSC_10device_ptrIKdEEEESI_EEEEESK_NSA_INS5_IJNSE_INSF_IdEEEESM_EEEEEPS7_SP_SP_NSC_11hip_rocprim7__merge17predicate_wrapperIddNSC_4lessIdEEEEEE10hipError_tPvRmT0_T1_T2_T3_T4_T5_mmT6_P12ihipStream_tbEUlT_E_NS1_11comp_targetILNS1_3genE4ELNS1_11target_archE910ELNS1_3gpuE8ELNS1_3repE0EEENS1_30default_config_static_selectorELNS0_4arch9wavefront6targetE0EEEvS10_.has_recursion, 0
	.set _ZN7rocprim17ROCPRIM_400000_NS6detail17trampoline_kernelINS0_14default_configENS1_21merge_config_selectorINS0_5tupleIJddEEENS0_10empty_typeEEEZNS1_10merge_implIS3_NS0_12zip_iteratorINS5_IJN6thrust23THRUST_200600_302600_NS6detail15normal_iteratorINSC_10device_ptrIKdEEEESI_EEEEESK_NSA_INS5_IJNSE_INSF_IdEEEESM_EEEEEPS7_SP_SP_NSC_11hip_rocprim7__merge17predicate_wrapperIddNSC_4lessIdEEEEEE10hipError_tPvRmT0_T1_T2_T3_T4_T5_mmT6_P12ihipStream_tbEUlT_E_NS1_11comp_targetILNS1_3genE4ELNS1_11target_archE910ELNS1_3gpuE8ELNS1_3repE0EEENS1_30default_config_static_selectorELNS0_4arch9wavefront6targetE0EEEvS10_.has_indirect_call, 0
	.section	.AMDGPU.csdata,"",@progbits
; Kernel info:
; codeLenInByte = 0
; TotalNumSgprs: 0
; NumVgprs: 0
; ScratchSize: 0
; MemoryBound: 0
; FloatMode: 240
; IeeeMode: 1
; LDSByteSize: 0 bytes/workgroup (compile time only)
; SGPRBlocks: 0
; VGPRBlocks: 0
; NumSGPRsForWavesPerEU: 1
; NumVGPRsForWavesPerEU: 1
; Occupancy: 16
; WaveLimiterHint : 0
; COMPUTE_PGM_RSRC2:SCRATCH_EN: 0
; COMPUTE_PGM_RSRC2:USER_SGPR: 6
; COMPUTE_PGM_RSRC2:TRAP_HANDLER: 0
; COMPUTE_PGM_RSRC2:TGID_X_EN: 1
; COMPUTE_PGM_RSRC2:TGID_Y_EN: 0
; COMPUTE_PGM_RSRC2:TGID_Z_EN: 0
; COMPUTE_PGM_RSRC2:TIDIG_COMP_CNT: 0
	.section	.text._ZN7rocprim17ROCPRIM_400000_NS6detail17trampoline_kernelINS0_14default_configENS1_21merge_config_selectorINS0_5tupleIJddEEENS0_10empty_typeEEEZNS1_10merge_implIS3_NS0_12zip_iteratorINS5_IJN6thrust23THRUST_200600_302600_NS6detail15normal_iteratorINSC_10device_ptrIKdEEEESI_EEEEESK_NSA_INS5_IJNSE_INSF_IdEEEESM_EEEEEPS7_SP_SP_NSC_11hip_rocprim7__merge17predicate_wrapperIddNSC_4lessIdEEEEEE10hipError_tPvRmT0_T1_T2_T3_T4_T5_mmT6_P12ihipStream_tbEUlT_E_NS1_11comp_targetILNS1_3genE3ELNS1_11target_archE908ELNS1_3gpuE7ELNS1_3repE0EEENS1_30default_config_static_selectorELNS0_4arch9wavefront6targetE0EEEvS10_,"axG",@progbits,_ZN7rocprim17ROCPRIM_400000_NS6detail17trampoline_kernelINS0_14default_configENS1_21merge_config_selectorINS0_5tupleIJddEEENS0_10empty_typeEEEZNS1_10merge_implIS3_NS0_12zip_iteratorINS5_IJN6thrust23THRUST_200600_302600_NS6detail15normal_iteratorINSC_10device_ptrIKdEEEESI_EEEEESK_NSA_INS5_IJNSE_INSF_IdEEEESM_EEEEEPS7_SP_SP_NSC_11hip_rocprim7__merge17predicate_wrapperIddNSC_4lessIdEEEEEE10hipError_tPvRmT0_T1_T2_T3_T4_T5_mmT6_P12ihipStream_tbEUlT_E_NS1_11comp_targetILNS1_3genE3ELNS1_11target_archE908ELNS1_3gpuE7ELNS1_3repE0EEENS1_30default_config_static_selectorELNS0_4arch9wavefront6targetE0EEEvS10_,comdat
	.protected	_ZN7rocprim17ROCPRIM_400000_NS6detail17trampoline_kernelINS0_14default_configENS1_21merge_config_selectorINS0_5tupleIJddEEENS0_10empty_typeEEEZNS1_10merge_implIS3_NS0_12zip_iteratorINS5_IJN6thrust23THRUST_200600_302600_NS6detail15normal_iteratorINSC_10device_ptrIKdEEEESI_EEEEESK_NSA_INS5_IJNSE_INSF_IdEEEESM_EEEEEPS7_SP_SP_NSC_11hip_rocprim7__merge17predicate_wrapperIddNSC_4lessIdEEEEEE10hipError_tPvRmT0_T1_T2_T3_T4_T5_mmT6_P12ihipStream_tbEUlT_E_NS1_11comp_targetILNS1_3genE3ELNS1_11target_archE908ELNS1_3gpuE7ELNS1_3repE0EEENS1_30default_config_static_selectorELNS0_4arch9wavefront6targetE0EEEvS10_ ; -- Begin function _ZN7rocprim17ROCPRIM_400000_NS6detail17trampoline_kernelINS0_14default_configENS1_21merge_config_selectorINS0_5tupleIJddEEENS0_10empty_typeEEEZNS1_10merge_implIS3_NS0_12zip_iteratorINS5_IJN6thrust23THRUST_200600_302600_NS6detail15normal_iteratorINSC_10device_ptrIKdEEEESI_EEEEESK_NSA_INS5_IJNSE_INSF_IdEEEESM_EEEEEPS7_SP_SP_NSC_11hip_rocprim7__merge17predicate_wrapperIddNSC_4lessIdEEEEEE10hipError_tPvRmT0_T1_T2_T3_T4_T5_mmT6_P12ihipStream_tbEUlT_E_NS1_11comp_targetILNS1_3genE3ELNS1_11target_archE908ELNS1_3gpuE7ELNS1_3repE0EEENS1_30default_config_static_selectorELNS0_4arch9wavefront6targetE0EEEvS10_
	.globl	_ZN7rocprim17ROCPRIM_400000_NS6detail17trampoline_kernelINS0_14default_configENS1_21merge_config_selectorINS0_5tupleIJddEEENS0_10empty_typeEEEZNS1_10merge_implIS3_NS0_12zip_iteratorINS5_IJN6thrust23THRUST_200600_302600_NS6detail15normal_iteratorINSC_10device_ptrIKdEEEESI_EEEEESK_NSA_INS5_IJNSE_INSF_IdEEEESM_EEEEEPS7_SP_SP_NSC_11hip_rocprim7__merge17predicate_wrapperIddNSC_4lessIdEEEEEE10hipError_tPvRmT0_T1_T2_T3_T4_T5_mmT6_P12ihipStream_tbEUlT_E_NS1_11comp_targetILNS1_3genE3ELNS1_11target_archE908ELNS1_3gpuE7ELNS1_3repE0EEENS1_30default_config_static_selectorELNS0_4arch9wavefront6targetE0EEEvS10_
	.p2align	8
	.type	_ZN7rocprim17ROCPRIM_400000_NS6detail17trampoline_kernelINS0_14default_configENS1_21merge_config_selectorINS0_5tupleIJddEEENS0_10empty_typeEEEZNS1_10merge_implIS3_NS0_12zip_iteratorINS5_IJN6thrust23THRUST_200600_302600_NS6detail15normal_iteratorINSC_10device_ptrIKdEEEESI_EEEEESK_NSA_INS5_IJNSE_INSF_IdEEEESM_EEEEEPS7_SP_SP_NSC_11hip_rocprim7__merge17predicate_wrapperIddNSC_4lessIdEEEEEE10hipError_tPvRmT0_T1_T2_T3_T4_T5_mmT6_P12ihipStream_tbEUlT_E_NS1_11comp_targetILNS1_3genE3ELNS1_11target_archE908ELNS1_3gpuE7ELNS1_3repE0EEENS1_30default_config_static_selectorELNS0_4arch9wavefront6targetE0EEEvS10_,@function
_ZN7rocprim17ROCPRIM_400000_NS6detail17trampoline_kernelINS0_14default_configENS1_21merge_config_selectorINS0_5tupleIJddEEENS0_10empty_typeEEEZNS1_10merge_implIS3_NS0_12zip_iteratorINS5_IJN6thrust23THRUST_200600_302600_NS6detail15normal_iteratorINSC_10device_ptrIKdEEEESI_EEEEESK_NSA_INS5_IJNSE_INSF_IdEEEESM_EEEEEPS7_SP_SP_NSC_11hip_rocprim7__merge17predicate_wrapperIddNSC_4lessIdEEEEEE10hipError_tPvRmT0_T1_T2_T3_T4_T5_mmT6_P12ihipStream_tbEUlT_E_NS1_11comp_targetILNS1_3genE3ELNS1_11target_archE908ELNS1_3gpuE7ELNS1_3repE0EEENS1_30default_config_static_selectorELNS0_4arch9wavefront6targetE0EEEvS10_: ; @_ZN7rocprim17ROCPRIM_400000_NS6detail17trampoline_kernelINS0_14default_configENS1_21merge_config_selectorINS0_5tupleIJddEEENS0_10empty_typeEEEZNS1_10merge_implIS3_NS0_12zip_iteratorINS5_IJN6thrust23THRUST_200600_302600_NS6detail15normal_iteratorINSC_10device_ptrIKdEEEESI_EEEEESK_NSA_INS5_IJNSE_INSF_IdEEEESM_EEEEEPS7_SP_SP_NSC_11hip_rocprim7__merge17predicate_wrapperIddNSC_4lessIdEEEEEE10hipError_tPvRmT0_T1_T2_T3_T4_T5_mmT6_P12ihipStream_tbEUlT_E_NS1_11comp_targetILNS1_3genE3ELNS1_11target_archE908ELNS1_3gpuE7ELNS1_3repE0EEENS1_30default_config_static_selectorELNS0_4arch9wavefront6targetE0EEEvS10_
; %bb.0:
	.section	.rodata,"a",@progbits
	.p2align	6, 0x0
	.amdhsa_kernel _ZN7rocprim17ROCPRIM_400000_NS6detail17trampoline_kernelINS0_14default_configENS1_21merge_config_selectorINS0_5tupleIJddEEENS0_10empty_typeEEEZNS1_10merge_implIS3_NS0_12zip_iteratorINS5_IJN6thrust23THRUST_200600_302600_NS6detail15normal_iteratorINSC_10device_ptrIKdEEEESI_EEEEESK_NSA_INS5_IJNSE_INSF_IdEEEESM_EEEEEPS7_SP_SP_NSC_11hip_rocprim7__merge17predicate_wrapperIddNSC_4lessIdEEEEEE10hipError_tPvRmT0_T1_T2_T3_T4_T5_mmT6_P12ihipStream_tbEUlT_E_NS1_11comp_targetILNS1_3genE3ELNS1_11target_archE908ELNS1_3gpuE7ELNS1_3repE0EEENS1_30default_config_static_selectorELNS0_4arch9wavefront6targetE0EEEvS10_
		.amdhsa_group_segment_fixed_size 0
		.amdhsa_private_segment_fixed_size 0
		.amdhsa_kernarg_size 64
		.amdhsa_user_sgpr_count 6
		.amdhsa_user_sgpr_private_segment_buffer 1
		.amdhsa_user_sgpr_dispatch_ptr 0
		.amdhsa_user_sgpr_queue_ptr 0
		.amdhsa_user_sgpr_kernarg_segment_ptr 1
		.amdhsa_user_sgpr_dispatch_id 0
		.amdhsa_user_sgpr_flat_scratch_init 0
		.amdhsa_user_sgpr_private_segment_size 0
		.amdhsa_wavefront_size32 1
		.amdhsa_uses_dynamic_stack 0
		.amdhsa_system_sgpr_private_segment_wavefront_offset 0
		.amdhsa_system_sgpr_workgroup_id_x 1
		.amdhsa_system_sgpr_workgroup_id_y 0
		.amdhsa_system_sgpr_workgroup_id_z 0
		.amdhsa_system_sgpr_workgroup_info 0
		.amdhsa_system_vgpr_workitem_id 0
		.amdhsa_next_free_vgpr 1
		.amdhsa_next_free_sgpr 1
		.amdhsa_reserve_vcc 0
		.amdhsa_reserve_flat_scratch 0
		.amdhsa_float_round_mode_32 0
		.amdhsa_float_round_mode_16_64 0
		.amdhsa_float_denorm_mode_32 3
		.amdhsa_float_denorm_mode_16_64 3
		.amdhsa_dx10_clamp 1
		.amdhsa_ieee_mode 1
		.amdhsa_fp16_overflow 0
		.amdhsa_workgroup_processor_mode 1
		.amdhsa_memory_ordered 1
		.amdhsa_forward_progress 1
		.amdhsa_shared_vgpr_count 0
		.amdhsa_exception_fp_ieee_invalid_op 0
		.amdhsa_exception_fp_denorm_src 0
		.amdhsa_exception_fp_ieee_div_zero 0
		.amdhsa_exception_fp_ieee_overflow 0
		.amdhsa_exception_fp_ieee_underflow 0
		.amdhsa_exception_fp_ieee_inexact 0
		.amdhsa_exception_int_div_zero 0
	.end_amdhsa_kernel
	.section	.text._ZN7rocprim17ROCPRIM_400000_NS6detail17trampoline_kernelINS0_14default_configENS1_21merge_config_selectorINS0_5tupleIJddEEENS0_10empty_typeEEEZNS1_10merge_implIS3_NS0_12zip_iteratorINS5_IJN6thrust23THRUST_200600_302600_NS6detail15normal_iteratorINSC_10device_ptrIKdEEEESI_EEEEESK_NSA_INS5_IJNSE_INSF_IdEEEESM_EEEEEPS7_SP_SP_NSC_11hip_rocprim7__merge17predicate_wrapperIddNSC_4lessIdEEEEEE10hipError_tPvRmT0_T1_T2_T3_T4_T5_mmT6_P12ihipStream_tbEUlT_E_NS1_11comp_targetILNS1_3genE3ELNS1_11target_archE908ELNS1_3gpuE7ELNS1_3repE0EEENS1_30default_config_static_selectorELNS0_4arch9wavefront6targetE0EEEvS10_,"axG",@progbits,_ZN7rocprim17ROCPRIM_400000_NS6detail17trampoline_kernelINS0_14default_configENS1_21merge_config_selectorINS0_5tupleIJddEEENS0_10empty_typeEEEZNS1_10merge_implIS3_NS0_12zip_iteratorINS5_IJN6thrust23THRUST_200600_302600_NS6detail15normal_iteratorINSC_10device_ptrIKdEEEESI_EEEEESK_NSA_INS5_IJNSE_INSF_IdEEEESM_EEEEEPS7_SP_SP_NSC_11hip_rocprim7__merge17predicate_wrapperIddNSC_4lessIdEEEEEE10hipError_tPvRmT0_T1_T2_T3_T4_T5_mmT6_P12ihipStream_tbEUlT_E_NS1_11comp_targetILNS1_3genE3ELNS1_11target_archE908ELNS1_3gpuE7ELNS1_3repE0EEENS1_30default_config_static_selectorELNS0_4arch9wavefront6targetE0EEEvS10_,comdat
.Lfunc_end4:
	.size	_ZN7rocprim17ROCPRIM_400000_NS6detail17trampoline_kernelINS0_14default_configENS1_21merge_config_selectorINS0_5tupleIJddEEENS0_10empty_typeEEEZNS1_10merge_implIS3_NS0_12zip_iteratorINS5_IJN6thrust23THRUST_200600_302600_NS6detail15normal_iteratorINSC_10device_ptrIKdEEEESI_EEEEESK_NSA_INS5_IJNSE_INSF_IdEEEESM_EEEEEPS7_SP_SP_NSC_11hip_rocprim7__merge17predicate_wrapperIddNSC_4lessIdEEEEEE10hipError_tPvRmT0_T1_T2_T3_T4_T5_mmT6_P12ihipStream_tbEUlT_E_NS1_11comp_targetILNS1_3genE3ELNS1_11target_archE908ELNS1_3gpuE7ELNS1_3repE0EEENS1_30default_config_static_selectorELNS0_4arch9wavefront6targetE0EEEvS10_, .Lfunc_end4-_ZN7rocprim17ROCPRIM_400000_NS6detail17trampoline_kernelINS0_14default_configENS1_21merge_config_selectorINS0_5tupleIJddEEENS0_10empty_typeEEEZNS1_10merge_implIS3_NS0_12zip_iteratorINS5_IJN6thrust23THRUST_200600_302600_NS6detail15normal_iteratorINSC_10device_ptrIKdEEEESI_EEEEESK_NSA_INS5_IJNSE_INSF_IdEEEESM_EEEEEPS7_SP_SP_NSC_11hip_rocprim7__merge17predicate_wrapperIddNSC_4lessIdEEEEEE10hipError_tPvRmT0_T1_T2_T3_T4_T5_mmT6_P12ihipStream_tbEUlT_E_NS1_11comp_targetILNS1_3genE3ELNS1_11target_archE908ELNS1_3gpuE7ELNS1_3repE0EEENS1_30default_config_static_selectorELNS0_4arch9wavefront6targetE0EEEvS10_
                                        ; -- End function
	.set _ZN7rocprim17ROCPRIM_400000_NS6detail17trampoline_kernelINS0_14default_configENS1_21merge_config_selectorINS0_5tupleIJddEEENS0_10empty_typeEEEZNS1_10merge_implIS3_NS0_12zip_iteratorINS5_IJN6thrust23THRUST_200600_302600_NS6detail15normal_iteratorINSC_10device_ptrIKdEEEESI_EEEEESK_NSA_INS5_IJNSE_INSF_IdEEEESM_EEEEEPS7_SP_SP_NSC_11hip_rocprim7__merge17predicate_wrapperIddNSC_4lessIdEEEEEE10hipError_tPvRmT0_T1_T2_T3_T4_T5_mmT6_P12ihipStream_tbEUlT_E_NS1_11comp_targetILNS1_3genE3ELNS1_11target_archE908ELNS1_3gpuE7ELNS1_3repE0EEENS1_30default_config_static_selectorELNS0_4arch9wavefront6targetE0EEEvS10_.num_vgpr, 0
	.set _ZN7rocprim17ROCPRIM_400000_NS6detail17trampoline_kernelINS0_14default_configENS1_21merge_config_selectorINS0_5tupleIJddEEENS0_10empty_typeEEEZNS1_10merge_implIS3_NS0_12zip_iteratorINS5_IJN6thrust23THRUST_200600_302600_NS6detail15normal_iteratorINSC_10device_ptrIKdEEEESI_EEEEESK_NSA_INS5_IJNSE_INSF_IdEEEESM_EEEEEPS7_SP_SP_NSC_11hip_rocprim7__merge17predicate_wrapperIddNSC_4lessIdEEEEEE10hipError_tPvRmT0_T1_T2_T3_T4_T5_mmT6_P12ihipStream_tbEUlT_E_NS1_11comp_targetILNS1_3genE3ELNS1_11target_archE908ELNS1_3gpuE7ELNS1_3repE0EEENS1_30default_config_static_selectorELNS0_4arch9wavefront6targetE0EEEvS10_.num_agpr, 0
	.set _ZN7rocprim17ROCPRIM_400000_NS6detail17trampoline_kernelINS0_14default_configENS1_21merge_config_selectorINS0_5tupleIJddEEENS0_10empty_typeEEEZNS1_10merge_implIS3_NS0_12zip_iteratorINS5_IJN6thrust23THRUST_200600_302600_NS6detail15normal_iteratorINSC_10device_ptrIKdEEEESI_EEEEESK_NSA_INS5_IJNSE_INSF_IdEEEESM_EEEEEPS7_SP_SP_NSC_11hip_rocprim7__merge17predicate_wrapperIddNSC_4lessIdEEEEEE10hipError_tPvRmT0_T1_T2_T3_T4_T5_mmT6_P12ihipStream_tbEUlT_E_NS1_11comp_targetILNS1_3genE3ELNS1_11target_archE908ELNS1_3gpuE7ELNS1_3repE0EEENS1_30default_config_static_selectorELNS0_4arch9wavefront6targetE0EEEvS10_.numbered_sgpr, 0
	.set _ZN7rocprim17ROCPRIM_400000_NS6detail17trampoline_kernelINS0_14default_configENS1_21merge_config_selectorINS0_5tupleIJddEEENS0_10empty_typeEEEZNS1_10merge_implIS3_NS0_12zip_iteratorINS5_IJN6thrust23THRUST_200600_302600_NS6detail15normal_iteratorINSC_10device_ptrIKdEEEESI_EEEEESK_NSA_INS5_IJNSE_INSF_IdEEEESM_EEEEEPS7_SP_SP_NSC_11hip_rocprim7__merge17predicate_wrapperIddNSC_4lessIdEEEEEE10hipError_tPvRmT0_T1_T2_T3_T4_T5_mmT6_P12ihipStream_tbEUlT_E_NS1_11comp_targetILNS1_3genE3ELNS1_11target_archE908ELNS1_3gpuE7ELNS1_3repE0EEENS1_30default_config_static_selectorELNS0_4arch9wavefront6targetE0EEEvS10_.num_named_barrier, 0
	.set _ZN7rocprim17ROCPRIM_400000_NS6detail17trampoline_kernelINS0_14default_configENS1_21merge_config_selectorINS0_5tupleIJddEEENS0_10empty_typeEEEZNS1_10merge_implIS3_NS0_12zip_iteratorINS5_IJN6thrust23THRUST_200600_302600_NS6detail15normal_iteratorINSC_10device_ptrIKdEEEESI_EEEEESK_NSA_INS5_IJNSE_INSF_IdEEEESM_EEEEEPS7_SP_SP_NSC_11hip_rocprim7__merge17predicate_wrapperIddNSC_4lessIdEEEEEE10hipError_tPvRmT0_T1_T2_T3_T4_T5_mmT6_P12ihipStream_tbEUlT_E_NS1_11comp_targetILNS1_3genE3ELNS1_11target_archE908ELNS1_3gpuE7ELNS1_3repE0EEENS1_30default_config_static_selectorELNS0_4arch9wavefront6targetE0EEEvS10_.private_seg_size, 0
	.set _ZN7rocprim17ROCPRIM_400000_NS6detail17trampoline_kernelINS0_14default_configENS1_21merge_config_selectorINS0_5tupleIJddEEENS0_10empty_typeEEEZNS1_10merge_implIS3_NS0_12zip_iteratorINS5_IJN6thrust23THRUST_200600_302600_NS6detail15normal_iteratorINSC_10device_ptrIKdEEEESI_EEEEESK_NSA_INS5_IJNSE_INSF_IdEEEESM_EEEEEPS7_SP_SP_NSC_11hip_rocprim7__merge17predicate_wrapperIddNSC_4lessIdEEEEEE10hipError_tPvRmT0_T1_T2_T3_T4_T5_mmT6_P12ihipStream_tbEUlT_E_NS1_11comp_targetILNS1_3genE3ELNS1_11target_archE908ELNS1_3gpuE7ELNS1_3repE0EEENS1_30default_config_static_selectorELNS0_4arch9wavefront6targetE0EEEvS10_.uses_vcc, 0
	.set _ZN7rocprim17ROCPRIM_400000_NS6detail17trampoline_kernelINS0_14default_configENS1_21merge_config_selectorINS0_5tupleIJddEEENS0_10empty_typeEEEZNS1_10merge_implIS3_NS0_12zip_iteratorINS5_IJN6thrust23THRUST_200600_302600_NS6detail15normal_iteratorINSC_10device_ptrIKdEEEESI_EEEEESK_NSA_INS5_IJNSE_INSF_IdEEEESM_EEEEEPS7_SP_SP_NSC_11hip_rocprim7__merge17predicate_wrapperIddNSC_4lessIdEEEEEE10hipError_tPvRmT0_T1_T2_T3_T4_T5_mmT6_P12ihipStream_tbEUlT_E_NS1_11comp_targetILNS1_3genE3ELNS1_11target_archE908ELNS1_3gpuE7ELNS1_3repE0EEENS1_30default_config_static_selectorELNS0_4arch9wavefront6targetE0EEEvS10_.uses_flat_scratch, 0
	.set _ZN7rocprim17ROCPRIM_400000_NS6detail17trampoline_kernelINS0_14default_configENS1_21merge_config_selectorINS0_5tupleIJddEEENS0_10empty_typeEEEZNS1_10merge_implIS3_NS0_12zip_iteratorINS5_IJN6thrust23THRUST_200600_302600_NS6detail15normal_iteratorINSC_10device_ptrIKdEEEESI_EEEEESK_NSA_INS5_IJNSE_INSF_IdEEEESM_EEEEEPS7_SP_SP_NSC_11hip_rocprim7__merge17predicate_wrapperIddNSC_4lessIdEEEEEE10hipError_tPvRmT0_T1_T2_T3_T4_T5_mmT6_P12ihipStream_tbEUlT_E_NS1_11comp_targetILNS1_3genE3ELNS1_11target_archE908ELNS1_3gpuE7ELNS1_3repE0EEENS1_30default_config_static_selectorELNS0_4arch9wavefront6targetE0EEEvS10_.has_dyn_sized_stack, 0
	.set _ZN7rocprim17ROCPRIM_400000_NS6detail17trampoline_kernelINS0_14default_configENS1_21merge_config_selectorINS0_5tupleIJddEEENS0_10empty_typeEEEZNS1_10merge_implIS3_NS0_12zip_iteratorINS5_IJN6thrust23THRUST_200600_302600_NS6detail15normal_iteratorINSC_10device_ptrIKdEEEESI_EEEEESK_NSA_INS5_IJNSE_INSF_IdEEEESM_EEEEEPS7_SP_SP_NSC_11hip_rocprim7__merge17predicate_wrapperIddNSC_4lessIdEEEEEE10hipError_tPvRmT0_T1_T2_T3_T4_T5_mmT6_P12ihipStream_tbEUlT_E_NS1_11comp_targetILNS1_3genE3ELNS1_11target_archE908ELNS1_3gpuE7ELNS1_3repE0EEENS1_30default_config_static_selectorELNS0_4arch9wavefront6targetE0EEEvS10_.has_recursion, 0
	.set _ZN7rocprim17ROCPRIM_400000_NS6detail17trampoline_kernelINS0_14default_configENS1_21merge_config_selectorINS0_5tupleIJddEEENS0_10empty_typeEEEZNS1_10merge_implIS3_NS0_12zip_iteratorINS5_IJN6thrust23THRUST_200600_302600_NS6detail15normal_iteratorINSC_10device_ptrIKdEEEESI_EEEEESK_NSA_INS5_IJNSE_INSF_IdEEEESM_EEEEEPS7_SP_SP_NSC_11hip_rocprim7__merge17predicate_wrapperIddNSC_4lessIdEEEEEE10hipError_tPvRmT0_T1_T2_T3_T4_T5_mmT6_P12ihipStream_tbEUlT_E_NS1_11comp_targetILNS1_3genE3ELNS1_11target_archE908ELNS1_3gpuE7ELNS1_3repE0EEENS1_30default_config_static_selectorELNS0_4arch9wavefront6targetE0EEEvS10_.has_indirect_call, 0
	.section	.AMDGPU.csdata,"",@progbits
; Kernel info:
; codeLenInByte = 0
; TotalNumSgprs: 0
; NumVgprs: 0
; ScratchSize: 0
; MemoryBound: 0
; FloatMode: 240
; IeeeMode: 1
; LDSByteSize: 0 bytes/workgroup (compile time only)
; SGPRBlocks: 0
; VGPRBlocks: 0
; NumSGPRsForWavesPerEU: 1
; NumVGPRsForWavesPerEU: 1
; Occupancy: 16
; WaveLimiterHint : 0
; COMPUTE_PGM_RSRC2:SCRATCH_EN: 0
; COMPUTE_PGM_RSRC2:USER_SGPR: 6
; COMPUTE_PGM_RSRC2:TRAP_HANDLER: 0
; COMPUTE_PGM_RSRC2:TGID_X_EN: 1
; COMPUTE_PGM_RSRC2:TGID_Y_EN: 0
; COMPUTE_PGM_RSRC2:TGID_Z_EN: 0
; COMPUTE_PGM_RSRC2:TIDIG_COMP_CNT: 0
	.section	.text._ZN7rocprim17ROCPRIM_400000_NS6detail17trampoline_kernelINS0_14default_configENS1_21merge_config_selectorINS0_5tupleIJddEEENS0_10empty_typeEEEZNS1_10merge_implIS3_NS0_12zip_iteratorINS5_IJN6thrust23THRUST_200600_302600_NS6detail15normal_iteratorINSC_10device_ptrIKdEEEESI_EEEEESK_NSA_INS5_IJNSE_INSF_IdEEEESM_EEEEEPS7_SP_SP_NSC_11hip_rocprim7__merge17predicate_wrapperIddNSC_4lessIdEEEEEE10hipError_tPvRmT0_T1_T2_T3_T4_T5_mmT6_P12ihipStream_tbEUlT_E_NS1_11comp_targetILNS1_3genE2ELNS1_11target_archE906ELNS1_3gpuE6ELNS1_3repE0EEENS1_30default_config_static_selectorELNS0_4arch9wavefront6targetE0EEEvS10_,"axG",@progbits,_ZN7rocprim17ROCPRIM_400000_NS6detail17trampoline_kernelINS0_14default_configENS1_21merge_config_selectorINS0_5tupleIJddEEENS0_10empty_typeEEEZNS1_10merge_implIS3_NS0_12zip_iteratorINS5_IJN6thrust23THRUST_200600_302600_NS6detail15normal_iteratorINSC_10device_ptrIKdEEEESI_EEEEESK_NSA_INS5_IJNSE_INSF_IdEEEESM_EEEEEPS7_SP_SP_NSC_11hip_rocprim7__merge17predicate_wrapperIddNSC_4lessIdEEEEEE10hipError_tPvRmT0_T1_T2_T3_T4_T5_mmT6_P12ihipStream_tbEUlT_E_NS1_11comp_targetILNS1_3genE2ELNS1_11target_archE906ELNS1_3gpuE6ELNS1_3repE0EEENS1_30default_config_static_selectorELNS0_4arch9wavefront6targetE0EEEvS10_,comdat
	.protected	_ZN7rocprim17ROCPRIM_400000_NS6detail17trampoline_kernelINS0_14default_configENS1_21merge_config_selectorINS0_5tupleIJddEEENS0_10empty_typeEEEZNS1_10merge_implIS3_NS0_12zip_iteratorINS5_IJN6thrust23THRUST_200600_302600_NS6detail15normal_iteratorINSC_10device_ptrIKdEEEESI_EEEEESK_NSA_INS5_IJNSE_INSF_IdEEEESM_EEEEEPS7_SP_SP_NSC_11hip_rocprim7__merge17predicate_wrapperIddNSC_4lessIdEEEEEE10hipError_tPvRmT0_T1_T2_T3_T4_T5_mmT6_P12ihipStream_tbEUlT_E_NS1_11comp_targetILNS1_3genE2ELNS1_11target_archE906ELNS1_3gpuE6ELNS1_3repE0EEENS1_30default_config_static_selectorELNS0_4arch9wavefront6targetE0EEEvS10_ ; -- Begin function _ZN7rocprim17ROCPRIM_400000_NS6detail17trampoline_kernelINS0_14default_configENS1_21merge_config_selectorINS0_5tupleIJddEEENS0_10empty_typeEEEZNS1_10merge_implIS3_NS0_12zip_iteratorINS5_IJN6thrust23THRUST_200600_302600_NS6detail15normal_iteratorINSC_10device_ptrIKdEEEESI_EEEEESK_NSA_INS5_IJNSE_INSF_IdEEEESM_EEEEEPS7_SP_SP_NSC_11hip_rocprim7__merge17predicate_wrapperIddNSC_4lessIdEEEEEE10hipError_tPvRmT0_T1_T2_T3_T4_T5_mmT6_P12ihipStream_tbEUlT_E_NS1_11comp_targetILNS1_3genE2ELNS1_11target_archE906ELNS1_3gpuE6ELNS1_3repE0EEENS1_30default_config_static_selectorELNS0_4arch9wavefront6targetE0EEEvS10_
	.globl	_ZN7rocprim17ROCPRIM_400000_NS6detail17trampoline_kernelINS0_14default_configENS1_21merge_config_selectorINS0_5tupleIJddEEENS0_10empty_typeEEEZNS1_10merge_implIS3_NS0_12zip_iteratorINS5_IJN6thrust23THRUST_200600_302600_NS6detail15normal_iteratorINSC_10device_ptrIKdEEEESI_EEEEESK_NSA_INS5_IJNSE_INSF_IdEEEESM_EEEEEPS7_SP_SP_NSC_11hip_rocprim7__merge17predicate_wrapperIddNSC_4lessIdEEEEEE10hipError_tPvRmT0_T1_T2_T3_T4_T5_mmT6_P12ihipStream_tbEUlT_E_NS1_11comp_targetILNS1_3genE2ELNS1_11target_archE906ELNS1_3gpuE6ELNS1_3repE0EEENS1_30default_config_static_selectorELNS0_4arch9wavefront6targetE0EEEvS10_
	.p2align	8
	.type	_ZN7rocprim17ROCPRIM_400000_NS6detail17trampoline_kernelINS0_14default_configENS1_21merge_config_selectorINS0_5tupleIJddEEENS0_10empty_typeEEEZNS1_10merge_implIS3_NS0_12zip_iteratorINS5_IJN6thrust23THRUST_200600_302600_NS6detail15normal_iteratorINSC_10device_ptrIKdEEEESI_EEEEESK_NSA_INS5_IJNSE_INSF_IdEEEESM_EEEEEPS7_SP_SP_NSC_11hip_rocprim7__merge17predicate_wrapperIddNSC_4lessIdEEEEEE10hipError_tPvRmT0_T1_T2_T3_T4_T5_mmT6_P12ihipStream_tbEUlT_E_NS1_11comp_targetILNS1_3genE2ELNS1_11target_archE906ELNS1_3gpuE6ELNS1_3repE0EEENS1_30default_config_static_selectorELNS0_4arch9wavefront6targetE0EEEvS10_,@function
_ZN7rocprim17ROCPRIM_400000_NS6detail17trampoline_kernelINS0_14default_configENS1_21merge_config_selectorINS0_5tupleIJddEEENS0_10empty_typeEEEZNS1_10merge_implIS3_NS0_12zip_iteratorINS5_IJN6thrust23THRUST_200600_302600_NS6detail15normal_iteratorINSC_10device_ptrIKdEEEESI_EEEEESK_NSA_INS5_IJNSE_INSF_IdEEEESM_EEEEEPS7_SP_SP_NSC_11hip_rocprim7__merge17predicate_wrapperIddNSC_4lessIdEEEEEE10hipError_tPvRmT0_T1_T2_T3_T4_T5_mmT6_P12ihipStream_tbEUlT_E_NS1_11comp_targetILNS1_3genE2ELNS1_11target_archE906ELNS1_3gpuE6ELNS1_3repE0EEENS1_30default_config_static_selectorELNS0_4arch9wavefront6targetE0EEEvS10_: ; @_ZN7rocprim17ROCPRIM_400000_NS6detail17trampoline_kernelINS0_14default_configENS1_21merge_config_selectorINS0_5tupleIJddEEENS0_10empty_typeEEEZNS1_10merge_implIS3_NS0_12zip_iteratorINS5_IJN6thrust23THRUST_200600_302600_NS6detail15normal_iteratorINSC_10device_ptrIKdEEEESI_EEEEESK_NSA_INS5_IJNSE_INSF_IdEEEESM_EEEEEPS7_SP_SP_NSC_11hip_rocprim7__merge17predicate_wrapperIddNSC_4lessIdEEEEEE10hipError_tPvRmT0_T1_T2_T3_T4_T5_mmT6_P12ihipStream_tbEUlT_E_NS1_11comp_targetILNS1_3genE2ELNS1_11target_archE906ELNS1_3gpuE6ELNS1_3repE0EEENS1_30default_config_static_selectorELNS0_4arch9wavefront6targetE0EEEvS10_
; %bb.0:
	.section	.rodata,"a",@progbits
	.p2align	6, 0x0
	.amdhsa_kernel _ZN7rocprim17ROCPRIM_400000_NS6detail17trampoline_kernelINS0_14default_configENS1_21merge_config_selectorINS0_5tupleIJddEEENS0_10empty_typeEEEZNS1_10merge_implIS3_NS0_12zip_iteratorINS5_IJN6thrust23THRUST_200600_302600_NS6detail15normal_iteratorINSC_10device_ptrIKdEEEESI_EEEEESK_NSA_INS5_IJNSE_INSF_IdEEEESM_EEEEEPS7_SP_SP_NSC_11hip_rocprim7__merge17predicate_wrapperIddNSC_4lessIdEEEEEE10hipError_tPvRmT0_T1_T2_T3_T4_T5_mmT6_P12ihipStream_tbEUlT_E_NS1_11comp_targetILNS1_3genE2ELNS1_11target_archE906ELNS1_3gpuE6ELNS1_3repE0EEENS1_30default_config_static_selectorELNS0_4arch9wavefront6targetE0EEEvS10_
		.amdhsa_group_segment_fixed_size 0
		.amdhsa_private_segment_fixed_size 0
		.amdhsa_kernarg_size 64
		.amdhsa_user_sgpr_count 6
		.amdhsa_user_sgpr_private_segment_buffer 1
		.amdhsa_user_sgpr_dispatch_ptr 0
		.amdhsa_user_sgpr_queue_ptr 0
		.amdhsa_user_sgpr_kernarg_segment_ptr 1
		.amdhsa_user_sgpr_dispatch_id 0
		.amdhsa_user_sgpr_flat_scratch_init 0
		.amdhsa_user_sgpr_private_segment_size 0
		.amdhsa_wavefront_size32 1
		.amdhsa_uses_dynamic_stack 0
		.amdhsa_system_sgpr_private_segment_wavefront_offset 0
		.amdhsa_system_sgpr_workgroup_id_x 1
		.amdhsa_system_sgpr_workgroup_id_y 0
		.amdhsa_system_sgpr_workgroup_id_z 0
		.amdhsa_system_sgpr_workgroup_info 0
		.amdhsa_system_vgpr_workitem_id 0
		.amdhsa_next_free_vgpr 1
		.amdhsa_next_free_sgpr 1
		.amdhsa_reserve_vcc 0
		.amdhsa_reserve_flat_scratch 0
		.amdhsa_float_round_mode_32 0
		.amdhsa_float_round_mode_16_64 0
		.amdhsa_float_denorm_mode_32 3
		.amdhsa_float_denorm_mode_16_64 3
		.amdhsa_dx10_clamp 1
		.amdhsa_ieee_mode 1
		.amdhsa_fp16_overflow 0
		.amdhsa_workgroup_processor_mode 1
		.amdhsa_memory_ordered 1
		.amdhsa_forward_progress 1
		.amdhsa_shared_vgpr_count 0
		.amdhsa_exception_fp_ieee_invalid_op 0
		.amdhsa_exception_fp_denorm_src 0
		.amdhsa_exception_fp_ieee_div_zero 0
		.amdhsa_exception_fp_ieee_overflow 0
		.amdhsa_exception_fp_ieee_underflow 0
		.amdhsa_exception_fp_ieee_inexact 0
		.amdhsa_exception_int_div_zero 0
	.end_amdhsa_kernel
	.section	.text._ZN7rocprim17ROCPRIM_400000_NS6detail17trampoline_kernelINS0_14default_configENS1_21merge_config_selectorINS0_5tupleIJddEEENS0_10empty_typeEEEZNS1_10merge_implIS3_NS0_12zip_iteratorINS5_IJN6thrust23THRUST_200600_302600_NS6detail15normal_iteratorINSC_10device_ptrIKdEEEESI_EEEEESK_NSA_INS5_IJNSE_INSF_IdEEEESM_EEEEEPS7_SP_SP_NSC_11hip_rocprim7__merge17predicate_wrapperIddNSC_4lessIdEEEEEE10hipError_tPvRmT0_T1_T2_T3_T4_T5_mmT6_P12ihipStream_tbEUlT_E_NS1_11comp_targetILNS1_3genE2ELNS1_11target_archE906ELNS1_3gpuE6ELNS1_3repE0EEENS1_30default_config_static_selectorELNS0_4arch9wavefront6targetE0EEEvS10_,"axG",@progbits,_ZN7rocprim17ROCPRIM_400000_NS6detail17trampoline_kernelINS0_14default_configENS1_21merge_config_selectorINS0_5tupleIJddEEENS0_10empty_typeEEEZNS1_10merge_implIS3_NS0_12zip_iteratorINS5_IJN6thrust23THRUST_200600_302600_NS6detail15normal_iteratorINSC_10device_ptrIKdEEEESI_EEEEESK_NSA_INS5_IJNSE_INSF_IdEEEESM_EEEEEPS7_SP_SP_NSC_11hip_rocprim7__merge17predicate_wrapperIddNSC_4lessIdEEEEEE10hipError_tPvRmT0_T1_T2_T3_T4_T5_mmT6_P12ihipStream_tbEUlT_E_NS1_11comp_targetILNS1_3genE2ELNS1_11target_archE906ELNS1_3gpuE6ELNS1_3repE0EEENS1_30default_config_static_selectorELNS0_4arch9wavefront6targetE0EEEvS10_,comdat
.Lfunc_end5:
	.size	_ZN7rocprim17ROCPRIM_400000_NS6detail17trampoline_kernelINS0_14default_configENS1_21merge_config_selectorINS0_5tupleIJddEEENS0_10empty_typeEEEZNS1_10merge_implIS3_NS0_12zip_iteratorINS5_IJN6thrust23THRUST_200600_302600_NS6detail15normal_iteratorINSC_10device_ptrIKdEEEESI_EEEEESK_NSA_INS5_IJNSE_INSF_IdEEEESM_EEEEEPS7_SP_SP_NSC_11hip_rocprim7__merge17predicate_wrapperIddNSC_4lessIdEEEEEE10hipError_tPvRmT0_T1_T2_T3_T4_T5_mmT6_P12ihipStream_tbEUlT_E_NS1_11comp_targetILNS1_3genE2ELNS1_11target_archE906ELNS1_3gpuE6ELNS1_3repE0EEENS1_30default_config_static_selectorELNS0_4arch9wavefront6targetE0EEEvS10_, .Lfunc_end5-_ZN7rocprim17ROCPRIM_400000_NS6detail17trampoline_kernelINS0_14default_configENS1_21merge_config_selectorINS0_5tupleIJddEEENS0_10empty_typeEEEZNS1_10merge_implIS3_NS0_12zip_iteratorINS5_IJN6thrust23THRUST_200600_302600_NS6detail15normal_iteratorINSC_10device_ptrIKdEEEESI_EEEEESK_NSA_INS5_IJNSE_INSF_IdEEEESM_EEEEEPS7_SP_SP_NSC_11hip_rocprim7__merge17predicate_wrapperIddNSC_4lessIdEEEEEE10hipError_tPvRmT0_T1_T2_T3_T4_T5_mmT6_P12ihipStream_tbEUlT_E_NS1_11comp_targetILNS1_3genE2ELNS1_11target_archE906ELNS1_3gpuE6ELNS1_3repE0EEENS1_30default_config_static_selectorELNS0_4arch9wavefront6targetE0EEEvS10_
                                        ; -- End function
	.set _ZN7rocprim17ROCPRIM_400000_NS6detail17trampoline_kernelINS0_14default_configENS1_21merge_config_selectorINS0_5tupleIJddEEENS0_10empty_typeEEEZNS1_10merge_implIS3_NS0_12zip_iteratorINS5_IJN6thrust23THRUST_200600_302600_NS6detail15normal_iteratorINSC_10device_ptrIKdEEEESI_EEEEESK_NSA_INS5_IJNSE_INSF_IdEEEESM_EEEEEPS7_SP_SP_NSC_11hip_rocprim7__merge17predicate_wrapperIddNSC_4lessIdEEEEEE10hipError_tPvRmT0_T1_T2_T3_T4_T5_mmT6_P12ihipStream_tbEUlT_E_NS1_11comp_targetILNS1_3genE2ELNS1_11target_archE906ELNS1_3gpuE6ELNS1_3repE0EEENS1_30default_config_static_selectorELNS0_4arch9wavefront6targetE0EEEvS10_.num_vgpr, 0
	.set _ZN7rocprim17ROCPRIM_400000_NS6detail17trampoline_kernelINS0_14default_configENS1_21merge_config_selectorINS0_5tupleIJddEEENS0_10empty_typeEEEZNS1_10merge_implIS3_NS0_12zip_iteratorINS5_IJN6thrust23THRUST_200600_302600_NS6detail15normal_iteratorINSC_10device_ptrIKdEEEESI_EEEEESK_NSA_INS5_IJNSE_INSF_IdEEEESM_EEEEEPS7_SP_SP_NSC_11hip_rocprim7__merge17predicate_wrapperIddNSC_4lessIdEEEEEE10hipError_tPvRmT0_T1_T2_T3_T4_T5_mmT6_P12ihipStream_tbEUlT_E_NS1_11comp_targetILNS1_3genE2ELNS1_11target_archE906ELNS1_3gpuE6ELNS1_3repE0EEENS1_30default_config_static_selectorELNS0_4arch9wavefront6targetE0EEEvS10_.num_agpr, 0
	.set _ZN7rocprim17ROCPRIM_400000_NS6detail17trampoline_kernelINS0_14default_configENS1_21merge_config_selectorINS0_5tupleIJddEEENS0_10empty_typeEEEZNS1_10merge_implIS3_NS0_12zip_iteratorINS5_IJN6thrust23THRUST_200600_302600_NS6detail15normal_iteratorINSC_10device_ptrIKdEEEESI_EEEEESK_NSA_INS5_IJNSE_INSF_IdEEEESM_EEEEEPS7_SP_SP_NSC_11hip_rocprim7__merge17predicate_wrapperIddNSC_4lessIdEEEEEE10hipError_tPvRmT0_T1_T2_T3_T4_T5_mmT6_P12ihipStream_tbEUlT_E_NS1_11comp_targetILNS1_3genE2ELNS1_11target_archE906ELNS1_3gpuE6ELNS1_3repE0EEENS1_30default_config_static_selectorELNS0_4arch9wavefront6targetE0EEEvS10_.numbered_sgpr, 0
	.set _ZN7rocprim17ROCPRIM_400000_NS6detail17trampoline_kernelINS0_14default_configENS1_21merge_config_selectorINS0_5tupleIJddEEENS0_10empty_typeEEEZNS1_10merge_implIS3_NS0_12zip_iteratorINS5_IJN6thrust23THRUST_200600_302600_NS6detail15normal_iteratorINSC_10device_ptrIKdEEEESI_EEEEESK_NSA_INS5_IJNSE_INSF_IdEEEESM_EEEEEPS7_SP_SP_NSC_11hip_rocprim7__merge17predicate_wrapperIddNSC_4lessIdEEEEEE10hipError_tPvRmT0_T1_T2_T3_T4_T5_mmT6_P12ihipStream_tbEUlT_E_NS1_11comp_targetILNS1_3genE2ELNS1_11target_archE906ELNS1_3gpuE6ELNS1_3repE0EEENS1_30default_config_static_selectorELNS0_4arch9wavefront6targetE0EEEvS10_.num_named_barrier, 0
	.set _ZN7rocprim17ROCPRIM_400000_NS6detail17trampoline_kernelINS0_14default_configENS1_21merge_config_selectorINS0_5tupleIJddEEENS0_10empty_typeEEEZNS1_10merge_implIS3_NS0_12zip_iteratorINS5_IJN6thrust23THRUST_200600_302600_NS6detail15normal_iteratorINSC_10device_ptrIKdEEEESI_EEEEESK_NSA_INS5_IJNSE_INSF_IdEEEESM_EEEEEPS7_SP_SP_NSC_11hip_rocprim7__merge17predicate_wrapperIddNSC_4lessIdEEEEEE10hipError_tPvRmT0_T1_T2_T3_T4_T5_mmT6_P12ihipStream_tbEUlT_E_NS1_11comp_targetILNS1_3genE2ELNS1_11target_archE906ELNS1_3gpuE6ELNS1_3repE0EEENS1_30default_config_static_selectorELNS0_4arch9wavefront6targetE0EEEvS10_.private_seg_size, 0
	.set _ZN7rocprim17ROCPRIM_400000_NS6detail17trampoline_kernelINS0_14default_configENS1_21merge_config_selectorINS0_5tupleIJddEEENS0_10empty_typeEEEZNS1_10merge_implIS3_NS0_12zip_iteratorINS5_IJN6thrust23THRUST_200600_302600_NS6detail15normal_iteratorINSC_10device_ptrIKdEEEESI_EEEEESK_NSA_INS5_IJNSE_INSF_IdEEEESM_EEEEEPS7_SP_SP_NSC_11hip_rocprim7__merge17predicate_wrapperIddNSC_4lessIdEEEEEE10hipError_tPvRmT0_T1_T2_T3_T4_T5_mmT6_P12ihipStream_tbEUlT_E_NS1_11comp_targetILNS1_3genE2ELNS1_11target_archE906ELNS1_3gpuE6ELNS1_3repE0EEENS1_30default_config_static_selectorELNS0_4arch9wavefront6targetE0EEEvS10_.uses_vcc, 0
	.set _ZN7rocprim17ROCPRIM_400000_NS6detail17trampoline_kernelINS0_14default_configENS1_21merge_config_selectorINS0_5tupleIJddEEENS0_10empty_typeEEEZNS1_10merge_implIS3_NS0_12zip_iteratorINS5_IJN6thrust23THRUST_200600_302600_NS6detail15normal_iteratorINSC_10device_ptrIKdEEEESI_EEEEESK_NSA_INS5_IJNSE_INSF_IdEEEESM_EEEEEPS7_SP_SP_NSC_11hip_rocprim7__merge17predicate_wrapperIddNSC_4lessIdEEEEEE10hipError_tPvRmT0_T1_T2_T3_T4_T5_mmT6_P12ihipStream_tbEUlT_E_NS1_11comp_targetILNS1_3genE2ELNS1_11target_archE906ELNS1_3gpuE6ELNS1_3repE0EEENS1_30default_config_static_selectorELNS0_4arch9wavefront6targetE0EEEvS10_.uses_flat_scratch, 0
	.set _ZN7rocprim17ROCPRIM_400000_NS6detail17trampoline_kernelINS0_14default_configENS1_21merge_config_selectorINS0_5tupleIJddEEENS0_10empty_typeEEEZNS1_10merge_implIS3_NS0_12zip_iteratorINS5_IJN6thrust23THRUST_200600_302600_NS6detail15normal_iteratorINSC_10device_ptrIKdEEEESI_EEEEESK_NSA_INS5_IJNSE_INSF_IdEEEESM_EEEEEPS7_SP_SP_NSC_11hip_rocprim7__merge17predicate_wrapperIddNSC_4lessIdEEEEEE10hipError_tPvRmT0_T1_T2_T3_T4_T5_mmT6_P12ihipStream_tbEUlT_E_NS1_11comp_targetILNS1_3genE2ELNS1_11target_archE906ELNS1_3gpuE6ELNS1_3repE0EEENS1_30default_config_static_selectorELNS0_4arch9wavefront6targetE0EEEvS10_.has_dyn_sized_stack, 0
	.set _ZN7rocprim17ROCPRIM_400000_NS6detail17trampoline_kernelINS0_14default_configENS1_21merge_config_selectorINS0_5tupleIJddEEENS0_10empty_typeEEEZNS1_10merge_implIS3_NS0_12zip_iteratorINS5_IJN6thrust23THRUST_200600_302600_NS6detail15normal_iteratorINSC_10device_ptrIKdEEEESI_EEEEESK_NSA_INS5_IJNSE_INSF_IdEEEESM_EEEEEPS7_SP_SP_NSC_11hip_rocprim7__merge17predicate_wrapperIddNSC_4lessIdEEEEEE10hipError_tPvRmT0_T1_T2_T3_T4_T5_mmT6_P12ihipStream_tbEUlT_E_NS1_11comp_targetILNS1_3genE2ELNS1_11target_archE906ELNS1_3gpuE6ELNS1_3repE0EEENS1_30default_config_static_selectorELNS0_4arch9wavefront6targetE0EEEvS10_.has_recursion, 0
	.set _ZN7rocprim17ROCPRIM_400000_NS6detail17trampoline_kernelINS0_14default_configENS1_21merge_config_selectorINS0_5tupleIJddEEENS0_10empty_typeEEEZNS1_10merge_implIS3_NS0_12zip_iteratorINS5_IJN6thrust23THRUST_200600_302600_NS6detail15normal_iteratorINSC_10device_ptrIKdEEEESI_EEEEESK_NSA_INS5_IJNSE_INSF_IdEEEESM_EEEEEPS7_SP_SP_NSC_11hip_rocprim7__merge17predicate_wrapperIddNSC_4lessIdEEEEEE10hipError_tPvRmT0_T1_T2_T3_T4_T5_mmT6_P12ihipStream_tbEUlT_E_NS1_11comp_targetILNS1_3genE2ELNS1_11target_archE906ELNS1_3gpuE6ELNS1_3repE0EEENS1_30default_config_static_selectorELNS0_4arch9wavefront6targetE0EEEvS10_.has_indirect_call, 0
	.section	.AMDGPU.csdata,"",@progbits
; Kernel info:
; codeLenInByte = 0
; TotalNumSgprs: 0
; NumVgprs: 0
; ScratchSize: 0
; MemoryBound: 0
; FloatMode: 240
; IeeeMode: 1
; LDSByteSize: 0 bytes/workgroup (compile time only)
; SGPRBlocks: 0
; VGPRBlocks: 0
; NumSGPRsForWavesPerEU: 1
; NumVGPRsForWavesPerEU: 1
; Occupancy: 16
; WaveLimiterHint : 0
; COMPUTE_PGM_RSRC2:SCRATCH_EN: 0
; COMPUTE_PGM_RSRC2:USER_SGPR: 6
; COMPUTE_PGM_RSRC2:TRAP_HANDLER: 0
; COMPUTE_PGM_RSRC2:TGID_X_EN: 1
; COMPUTE_PGM_RSRC2:TGID_Y_EN: 0
; COMPUTE_PGM_RSRC2:TGID_Z_EN: 0
; COMPUTE_PGM_RSRC2:TIDIG_COMP_CNT: 0
	.section	.text._ZN7rocprim17ROCPRIM_400000_NS6detail17trampoline_kernelINS0_14default_configENS1_21merge_config_selectorINS0_5tupleIJddEEENS0_10empty_typeEEEZNS1_10merge_implIS3_NS0_12zip_iteratorINS5_IJN6thrust23THRUST_200600_302600_NS6detail15normal_iteratorINSC_10device_ptrIKdEEEESI_EEEEESK_NSA_INS5_IJNSE_INSF_IdEEEESM_EEEEEPS7_SP_SP_NSC_11hip_rocprim7__merge17predicate_wrapperIddNSC_4lessIdEEEEEE10hipError_tPvRmT0_T1_T2_T3_T4_T5_mmT6_P12ihipStream_tbEUlT_E_NS1_11comp_targetILNS1_3genE10ELNS1_11target_archE1201ELNS1_3gpuE5ELNS1_3repE0EEENS1_30default_config_static_selectorELNS0_4arch9wavefront6targetE0EEEvS10_,"axG",@progbits,_ZN7rocprim17ROCPRIM_400000_NS6detail17trampoline_kernelINS0_14default_configENS1_21merge_config_selectorINS0_5tupleIJddEEENS0_10empty_typeEEEZNS1_10merge_implIS3_NS0_12zip_iteratorINS5_IJN6thrust23THRUST_200600_302600_NS6detail15normal_iteratorINSC_10device_ptrIKdEEEESI_EEEEESK_NSA_INS5_IJNSE_INSF_IdEEEESM_EEEEEPS7_SP_SP_NSC_11hip_rocprim7__merge17predicate_wrapperIddNSC_4lessIdEEEEEE10hipError_tPvRmT0_T1_T2_T3_T4_T5_mmT6_P12ihipStream_tbEUlT_E_NS1_11comp_targetILNS1_3genE10ELNS1_11target_archE1201ELNS1_3gpuE5ELNS1_3repE0EEENS1_30default_config_static_selectorELNS0_4arch9wavefront6targetE0EEEvS10_,comdat
	.protected	_ZN7rocprim17ROCPRIM_400000_NS6detail17trampoline_kernelINS0_14default_configENS1_21merge_config_selectorINS0_5tupleIJddEEENS0_10empty_typeEEEZNS1_10merge_implIS3_NS0_12zip_iteratorINS5_IJN6thrust23THRUST_200600_302600_NS6detail15normal_iteratorINSC_10device_ptrIKdEEEESI_EEEEESK_NSA_INS5_IJNSE_INSF_IdEEEESM_EEEEEPS7_SP_SP_NSC_11hip_rocprim7__merge17predicate_wrapperIddNSC_4lessIdEEEEEE10hipError_tPvRmT0_T1_T2_T3_T4_T5_mmT6_P12ihipStream_tbEUlT_E_NS1_11comp_targetILNS1_3genE10ELNS1_11target_archE1201ELNS1_3gpuE5ELNS1_3repE0EEENS1_30default_config_static_selectorELNS0_4arch9wavefront6targetE0EEEvS10_ ; -- Begin function _ZN7rocprim17ROCPRIM_400000_NS6detail17trampoline_kernelINS0_14default_configENS1_21merge_config_selectorINS0_5tupleIJddEEENS0_10empty_typeEEEZNS1_10merge_implIS3_NS0_12zip_iteratorINS5_IJN6thrust23THRUST_200600_302600_NS6detail15normal_iteratorINSC_10device_ptrIKdEEEESI_EEEEESK_NSA_INS5_IJNSE_INSF_IdEEEESM_EEEEEPS7_SP_SP_NSC_11hip_rocprim7__merge17predicate_wrapperIddNSC_4lessIdEEEEEE10hipError_tPvRmT0_T1_T2_T3_T4_T5_mmT6_P12ihipStream_tbEUlT_E_NS1_11comp_targetILNS1_3genE10ELNS1_11target_archE1201ELNS1_3gpuE5ELNS1_3repE0EEENS1_30default_config_static_selectorELNS0_4arch9wavefront6targetE0EEEvS10_
	.globl	_ZN7rocprim17ROCPRIM_400000_NS6detail17trampoline_kernelINS0_14default_configENS1_21merge_config_selectorINS0_5tupleIJddEEENS0_10empty_typeEEEZNS1_10merge_implIS3_NS0_12zip_iteratorINS5_IJN6thrust23THRUST_200600_302600_NS6detail15normal_iteratorINSC_10device_ptrIKdEEEESI_EEEEESK_NSA_INS5_IJNSE_INSF_IdEEEESM_EEEEEPS7_SP_SP_NSC_11hip_rocprim7__merge17predicate_wrapperIddNSC_4lessIdEEEEEE10hipError_tPvRmT0_T1_T2_T3_T4_T5_mmT6_P12ihipStream_tbEUlT_E_NS1_11comp_targetILNS1_3genE10ELNS1_11target_archE1201ELNS1_3gpuE5ELNS1_3repE0EEENS1_30default_config_static_selectorELNS0_4arch9wavefront6targetE0EEEvS10_
	.p2align	8
	.type	_ZN7rocprim17ROCPRIM_400000_NS6detail17trampoline_kernelINS0_14default_configENS1_21merge_config_selectorINS0_5tupleIJddEEENS0_10empty_typeEEEZNS1_10merge_implIS3_NS0_12zip_iteratorINS5_IJN6thrust23THRUST_200600_302600_NS6detail15normal_iteratorINSC_10device_ptrIKdEEEESI_EEEEESK_NSA_INS5_IJNSE_INSF_IdEEEESM_EEEEEPS7_SP_SP_NSC_11hip_rocprim7__merge17predicate_wrapperIddNSC_4lessIdEEEEEE10hipError_tPvRmT0_T1_T2_T3_T4_T5_mmT6_P12ihipStream_tbEUlT_E_NS1_11comp_targetILNS1_3genE10ELNS1_11target_archE1201ELNS1_3gpuE5ELNS1_3repE0EEENS1_30default_config_static_selectorELNS0_4arch9wavefront6targetE0EEEvS10_,@function
_ZN7rocprim17ROCPRIM_400000_NS6detail17trampoline_kernelINS0_14default_configENS1_21merge_config_selectorINS0_5tupleIJddEEENS0_10empty_typeEEEZNS1_10merge_implIS3_NS0_12zip_iteratorINS5_IJN6thrust23THRUST_200600_302600_NS6detail15normal_iteratorINSC_10device_ptrIKdEEEESI_EEEEESK_NSA_INS5_IJNSE_INSF_IdEEEESM_EEEEEPS7_SP_SP_NSC_11hip_rocprim7__merge17predicate_wrapperIddNSC_4lessIdEEEEEE10hipError_tPvRmT0_T1_T2_T3_T4_T5_mmT6_P12ihipStream_tbEUlT_E_NS1_11comp_targetILNS1_3genE10ELNS1_11target_archE1201ELNS1_3gpuE5ELNS1_3repE0EEENS1_30default_config_static_selectorELNS0_4arch9wavefront6targetE0EEEvS10_: ; @_ZN7rocprim17ROCPRIM_400000_NS6detail17trampoline_kernelINS0_14default_configENS1_21merge_config_selectorINS0_5tupleIJddEEENS0_10empty_typeEEEZNS1_10merge_implIS3_NS0_12zip_iteratorINS5_IJN6thrust23THRUST_200600_302600_NS6detail15normal_iteratorINSC_10device_ptrIKdEEEESI_EEEEESK_NSA_INS5_IJNSE_INSF_IdEEEESM_EEEEEPS7_SP_SP_NSC_11hip_rocprim7__merge17predicate_wrapperIddNSC_4lessIdEEEEEE10hipError_tPvRmT0_T1_T2_T3_T4_T5_mmT6_P12ihipStream_tbEUlT_E_NS1_11comp_targetILNS1_3genE10ELNS1_11target_archE1201ELNS1_3gpuE5ELNS1_3repE0EEENS1_30default_config_static_selectorELNS0_4arch9wavefront6targetE0EEEvS10_
; %bb.0:
	.section	.rodata,"a",@progbits
	.p2align	6, 0x0
	.amdhsa_kernel _ZN7rocprim17ROCPRIM_400000_NS6detail17trampoline_kernelINS0_14default_configENS1_21merge_config_selectorINS0_5tupleIJddEEENS0_10empty_typeEEEZNS1_10merge_implIS3_NS0_12zip_iteratorINS5_IJN6thrust23THRUST_200600_302600_NS6detail15normal_iteratorINSC_10device_ptrIKdEEEESI_EEEEESK_NSA_INS5_IJNSE_INSF_IdEEEESM_EEEEEPS7_SP_SP_NSC_11hip_rocprim7__merge17predicate_wrapperIddNSC_4lessIdEEEEEE10hipError_tPvRmT0_T1_T2_T3_T4_T5_mmT6_P12ihipStream_tbEUlT_E_NS1_11comp_targetILNS1_3genE10ELNS1_11target_archE1201ELNS1_3gpuE5ELNS1_3repE0EEENS1_30default_config_static_selectorELNS0_4arch9wavefront6targetE0EEEvS10_
		.amdhsa_group_segment_fixed_size 0
		.amdhsa_private_segment_fixed_size 0
		.amdhsa_kernarg_size 64
		.amdhsa_user_sgpr_count 6
		.amdhsa_user_sgpr_private_segment_buffer 1
		.amdhsa_user_sgpr_dispatch_ptr 0
		.amdhsa_user_sgpr_queue_ptr 0
		.amdhsa_user_sgpr_kernarg_segment_ptr 1
		.amdhsa_user_sgpr_dispatch_id 0
		.amdhsa_user_sgpr_flat_scratch_init 0
		.amdhsa_user_sgpr_private_segment_size 0
		.amdhsa_wavefront_size32 1
		.amdhsa_uses_dynamic_stack 0
		.amdhsa_system_sgpr_private_segment_wavefront_offset 0
		.amdhsa_system_sgpr_workgroup_id_x 1
		.amdhsa_system_sgpr_workgroup_id_y 0
		.amdhsa_system_sgpr_workgroup_id_z 0
		.amdhsa_system_sgpr_workgroup_info 0
		.amdhsa_system_vgpr_workitem_id 0
		.amdhsa_next_free_vgpr 1
		.amdhsa_next_free_sgpr 1
		.amdhsa_reserve_vcc 0
		.amdhsa_reserve_flat_scratch 0
		.amdhsa_float_round_mode_32 0
		.amdhsa_float_round_mode_16_64 0
		.amdhsa_float_denorm_mode_32 3
		.amdhsa_float_denorm_mode_16_64 3
		.amdhsa_dx10_clamp 1
		.amdhsa_ieee_mode 1
		.amdhsa_fp16_overflow 0
		.amdhsa_workgroup_processor_mode 1
		.amdhsa_memory_ordered 1
		.amdhsa_forward_progress 1
		.amdhsa_shared_vgpr_count 0
		.amdhsa_exception_fp_ieee_invalid_op 0
		.amdhsa_exception_fp_denorm_src 0
		.amdhsa_exception_fp_ieee_div_zero 0
		.amdhsa_exception_fp_ieee_overflow 0
		.amdhsa_exception_fp_ieee_underflow 0
		.amdhsa_exception_fp_ieee_inexact 0
		.amdhsa_exception_int_div_zero 0
	.end_amdhsa_kernel
	.section	.text._ZN7rocprim17ROCPRIM_400000_NS6detail17trampoline_kernelINS0_14default_configENS1_21merge_config_selectorINS0_5tupleIJddEEENS0_10empty_typeEEEZNS1_10merge_implIS3_NS0_12zip_iteratorINS5_IJN6thrust23THRUST_200600_302600_NS6detail15normal_iteratorINSC_10device_ptrIKdEEEESI_EEEEESK_NSA_INS5_IJNSE_INSF_IdEEEESM_EEEEEPS7_SP_SP_NSC_11hip_rocprim7__merge17predicate_wrapperIddNSC_4lessIdEEEEEE10hipError_tPvRmT0_T1_T2_T3_T4_T5_mmT6_P12ihipStream_tbEUlT_E_NS1_11comp_targetILNS1_3genE10ELNS1_11target_archE1201ELNS1_3gpuE5ELNS1_3repE0EEENS1_30default_config_static_selectorELNS0_4arch9wavefront6targetE0EEEvS10_,"axG",@progbits,_ZN7rocprim17ROCPRIM_400000_NS6detail17trampoline_kernelINS0_14default_configENS1_21merge_config_selectorINS0_5tupleIJddEEENS0_10empty_typeEEEZNS1_10merge_implIS3_NS0_12zip_iteratorINS5_IJN6thrust23THRUST_200600_302600_NS6detail15normal_iteratorINSC_10device_ptrIKdEEEESI_EEEEESK_NSA_INS5_IJNSE_INSF_IdEEEESM_EEEEEPS7_SP_SP_NSC_11hip_rocprim7__merge17predicate_wrapperIddNSC_4lessIdEEEEEE10hipError_tPvRmT0_T1_T2_T3_T4_T5_mmT6_P12ihipStream_tbEUlT_E_NS1_11comp_targetILNS1_3genE10ELNS1_11target_archE1201ELNS1_3gpuE5ELNS1_3repE0EEENS1_30default_config_static_selectorELNS0_4arch9wavefront6targetE0EEEvS10_,comdat
.Lfunc_end6:
	.size	_ZN7rocprim17ROCPRIM_400000_NS6detail17trampoline_kernelINS0_14default_configENS1_21merge_config_selectorINS0_5tupleIJddEEENS0_10empty_typeEEEZNS1_10merge_implIS3_NS0_12zip_iteratorINS5_IJN6thrust23THRUST_200600_302600_NS6detail15normal_iteratorINSC_10device_ptrIKdEEEESI_EEEEESK_NSA_INS5_IJNSE_INSF_IdEEEESM_EEEEEPS7_SP_SP_NSC_11hip_rocprim7__merge17predicate_wrapperIddNSC_4lessIdEEEEEE10hipError_tPvRmT0_T1_T2_T3_T4_T5_mmT6_P12ihipStream_tbEUlT_E_NS1_11comp_targetILNS1_3genE10ELNS1_11target_archE1201ELNS1_3gpuE5ELNS1_3repE0EEENS1_30default_config_static_selectorELNS0_4arch9wavefront6targetE0EEEvS10_, .Lfunc_end6-_ZN7rocprim17ROCPRIM_400000_NS6detail17trampoline_kernelINS0_14default_configENS1_21merge_config_selectorINS0_5tupleIJddEEENS0_10empty_typeEEEZNS1_10merge_implIS3_NS0_12zip_iteratorINS5_IJN6thrust23THRUST_200600_302600_NS6detail15normal_iteratorINSC_10device_ptrIKdEEEESI_EEEEESK_NSA_INS5_IJNSE_INSF_IdEEEESM_EEEEEPS7_SP_SP_NSC_11hip_rocprim7__merge17predicate_wrapperIddNSC_4lessIdEEEEEE10hipError_tPvRmT0_T1_T2_T3_T4_T5_mmT6_P12ihipStream_tbEUlT_E_NS1_11comp_targetILNS1_3genE10ELNS1_11target_archE1201ELNS1_3gpuE5ELNS1_3repE0EEENS1_30default_config_static_selectorELNS0_4arch9wavefront6targetE0EEEvS10_
                                        ; -- End function
	.set _ZN7rocprim17ROCPRIM_400000_NS6detail17trampoline_kernelINS0_14default_configENS1_21merge_config_selectorINS0_5tupleIJddEEENS0_10empty_typeEEEZNS1_10merge_implIS3_NS0_12zip_iteratorINS5_IJN6thrust23THRUST_200600_302600_NS6detail15normal_iteratorINSC_10device_ptrIKdEEEESI_EEEEESK_NSA_INS5_IJNSE_INSF_IdEEEESM_EEEEEPS7_SP_SP_NSC_11hip_rocprim7__merge17predicate_wrapperIddNSC_4lessIdEEEEEE10hipError_tPvRmT0_T1_T2_T3_T4_T5_mmT6_P12ihipStream_tbEUlT_E_NS1_11comp_targetILNS1_3genE10ELNS1_11target_archE1201ELNS1_3gpuE5ELNS1_3repE0EEENS1_30default_config_static_selectorELNS0_4arch9wavefront6targetE0EEEvS10_.num_vgpr, 0
	.set _ZN7rocprim17ROCPRIM_400000_NS6detail17trampoline_kernelINS0_14default_configENS1_21merge_config_selectorINS0_5tupleIJddEEENS0_10empty_typeEEEZNS1_10merge_implIS3_NS0_12zip_iteratorINS5_IJN6thrust23THRUST_200600_302600_NS6detail15normal_iteratorINSC_10device_ptrIKdEEEESI_EEEEESK_NSA_INS5_IJNSE_INSF_IdEEEESM_EEEEEPS7_SP_SP_NSC_11hip_rocprim7__merge17predicate_wrapperIddNSC_4lessIdEEEEEE10hipError_tPvRmT0_T1_T2_T3_T4_T5_mmT6_P12ihipStream_tbEUlT_E_NS1_11comp_targetILNS1_3genE10ELNS1_11target_archE1201ELNS1_3gpuE5ELNS1_3repE0EEENS1_30default_config_static_selectorELNS0_4arch9wavefront6targetE0EEEvS10_.num_agpr, 0
	.set _ZN7rocprim17ROCPRIM_400000_NS6detail17trampoline_kernelINS0_14default_configENS1_21merge_config_selectorINS0_5tupleIJddEEENS0_10empty_typeEEEZNS1_10merge_implIS3_NS0_12zip_iteratorINS5_IJN6thrust23THRUST_200600_302600_NS6detail15normal_iteratorINSC_10device_ptrIKdEEEESI_EEEEESK_NSA_INS5_IJNSE_INSF_IdEEEESM_EEEEEPS7_SP_SP_NSC_11hip_rocprim7__merge17predicate_wrapperIddNSC_4lessIdEEEEEE10hipError_tPvRmT0_T1_T2_T3_T4_T5_mmT6_P12ihipStream_tbEUlT_E_NS1_11comp_targetILNS1_3genE10ELNS1_11target_archE1201ELNS1_3gpuE5ELNS1_3repE0EEENS1_30default_config_static_selectorELNS0_4arch9wavefront6targetE0EEEvS10_.numbered_sgpr, 0
	.set _ZN7rocprim17ROCPRIM_400000_NS6detail17trampoline_kernelINS0_14default_configENS1_21merge_config_selectorINS0_5tupleIJddEEENS0_10empty_typeEEEZNS1_10merge_implIS3_NS0_12zip_iteratorINS5_IJN6thrust23THRUST_200600_302600_NS6detail15normal_iteratorINSC_10device_ptrIKdEEEESI_EEEEESK_NSA_INS5_IJNSE_INSF_IdEEEESM_EEEEEPS7_SP_SP_NSC_11hip_rocprim7__merge17predicate_wrapperIddNSC_4lessIdEEEEEE10hipError_tPvRmT0_T1_T2_T3_T4_T5_mmT6_P12ihipStream_tbEUlT_E_NS1_11comp_targetILNS1_3genE10ELNS1_11target_archE1201ELNS1_3gpuE5ELNS1_3repE0EEENS1_30default_config_static_selectorELNS0_4arch9wavefront6targetE0EEEvS10_.num_named_barrier, 0
	.set _ZN7rocprim17ROCPRIM_400000_NS6detail17trampoline_kernelINS0_14default_configENS1_21merge_config_selectorINS0_5tupleIJddEEENS0_10empty_typeEEEZNS1_10merge_implIS3_NS0_12zip_iteratorINS5_IJN6thrust23THRUST_200600_302600_NS6detail15normal_iteratorINSC_10device_ptrIKdEEEESI_EEEEESK_NSA_INS5_IJNSE_INSF_IdEEEESM_EEEEEPS7_SP_SP_NSC_11hip_rocprim7__merge17predicate_wrapperIddNSC_4lessIdEEEEEE10hipError_tPvRmT0_T1_T2_T3_T4_T5_mmT6_P12ihipStream_tbEUlT_E_NS1_11comp_targetILNS1_3genE10ELNS1_11target_archE1201ELNS1_3gpuE5ELNS1_3repE0EEENS1_30default_config_static_selectorELNS0_4arch9wavefront6targetE0EEEvS10_.private_seg_size, 0
	.set _ZN7rocprim17ROCPRIM_400000_NS6detail17trampoline_kernelINS0_14default_configENS1_21merge_config_selectorINS0_5tupleIJddEEENS0_10empty_typeEEEZNS1_10merge_implIS3_NS0_12zip_iteratorINS5_IJN6thrust23THRUST_200600_302600_NS6detail15normal_iteratorINSC_10device_ptrIKdEEEESI_EEEEESK_NSA_INS5_IJNSE_INSF_IdEEEESM_EEEEEPS7_SP_SP_NSC_11hip_rocprim7__merge17predicate_wrapperIddNSC_4lessIdEEEEEE10hipError_tPvRmT0_T1_T2_T3_T4_T5_mmT6_P12ihipStream_tbEUlT_E_NS1_11comp_targetILNS1_3genE10ELNS1_11target_archE1201ELNS1_3gpuE5ELNS1_3repE0EEENS1_30default_config_static_selectorELNS0_4arch9wavefront6targetE0EEEvS10_.uses_vcc, 0
	.set _ZN7rocprim17ROCPRIM_400000_NS6detail17trampoline_kernelINS0_14default_configENS1_21merge_config_selectorINS0_5tupleIJddEEENS0_10empty_typeEEEZNS1_10merge_implIS3_NS0_12zip_iteratorINS5_IJN6thrust23THRUST_200600_302600_NS6detail15normal_iteratorINSC_10device_ptrIKdEEEESI_EEEEESK_NSA_INS5_IJNSE_INSF_IdEEEESM_EEEEEPS7_SP_SP_NSC_11hip_rocprim7__merge17predicate_wrapperIddNSC_4lessIdEEEEEE10hipError_tPvRmT0_T1_T2_T3_T4_T5_mmT6_P12ihipStream_tbEUlT_E_NS1_11comp_targetILNS1_3genE10ELNS1_11target_archE1201ELNS1_3gpuE5ELNS1_3repE0EEENS1_30default_config_static_selectorELNS0_4arch9wavefront6targetE0EEEvS10_.uses_flat_scratch, 0
	.set _ZN7rocprim17ROCPRIM_400000_NS6detail17trampoline_kernelINS0_14default_configENS1_21merge_config_selectorINS0_5tupleIJddEEENS0_10empty_typeEEEZNS1_10merge_implIS3_NS0_12zip_iteratorINS5_IJN6thrust23THRUST_200600_302600_NS6detail15normal_iteratorINSC_10device_ptrIKdEEEESI_EEEEESK_NSA_INS5_IJNSE_INSF_IdEEEESM_EEEEEPS7_SP_SP_NSC_11hip_rocprim7__merge17predicate_wrapperIddNSC_4lessIdEEEEEE10hipError_tPvRmT0_T1_T2_T3_T4_T5_mmT6_P12ihipStream_tbEUlT_E_NS1_11comp_targetILNS1_3genE10ELNS1_11target_archE1201ELNS1_3gpuE5ELNS1_3repE0EEENS1_30default_config_static_selectorELNS0_4arch9wavefront6targetE0EEEvS10_.has_dyn_sized_stack, 0
	.set _ZN7rocprim17ROCPRIM_400000_NS6detail17trampoline_kernelINS0_14default_configENS1_21merge_config_selectorINS0_5tupleIJddEEENS0_10empty_typeEEEZNS1_10merge_implIS3_NS0_12zip_iteratorINS5_IJN6thrust23THRUST_200600_302600_NS6detail15normal_iteratorINSC_10device_ptrIKdEEEESI_EEEEESK_NSA_INS5_IJNSE_INSF_IdEEEESM_EEEEEPS7_SP_SP_NSC_11hip_rocprim7__merge17predicate_wrapperIddNSC_4lessIdEEEEEE10hipError_tPvRmT0_T1_T2_T3_T4_T5_mmT6_P12ihipStream_tbEUlT_E_NS1_11comp_targetILNS1_3genE10ELNS1_11target_archE1201ELNS1_3gpuE5ELNS1_3repE0EEENS1_30default_config_static_selectorELNS0_4arch9wavefront6targetE0EEEvS10_.has_recursion, 0
	.set _ZN7rocprim17ROCPRIM_400000_NS6detail17trampoline_kernelINS0_14default_configENS1_21merge_config_selectorINS0_5tupleIJddEEENS0_10empty_typeEEEZNS1_10merge_implIS3_NS0_12zip_iteratorINS5_IJN6thrust23THRUST_200600_302600_NS6detail15normal_iteratorINSC_10device_ptrIKdEEEESI_EEEEESK_NSA_INS5_IJNSE_INSF_IdEEEESM_EEEEEPS7_SP_SP_NSC_11hip_rocprim7__merge17predicate_wrapperIddNSC_4lessIdEEEEEE10hipError_tPvRmT0_T1_T2_T3_T4_T5_mmT6_P12ihipStream_tbEUlT_E_NS1_11comp_targetILNS1_3genE10ELNS1_11target_archE1201ELNS1_3gpuE5ELNS1_3repE0EEENS1_30default_config_static_selectorELNS0_4arch9wavefront6targetE0EEEvS10_.has_indirect_call, 0
	.section	.AMDGPU.csdata,"",@progbits
; Kernel info:
; codeLenInByte = 0
; TotalNumSgprs: 0
; NumVgprs: 0
; ScratchSize: 0
; MemoryBound: 0
; FloatMode: 240
; IeeeMode: 1
; LDSByteSize: 0 bytes/workgroup (compile time only)
; SGPRBlocks: 0
; VGPRBlocks: 0
; NumSGPRsForWavesPerEU: 1
; NumVGPRsForWavesPerEU: 1
; Occupancy: 16
; WaveLimiterHint : 0
; COMPUTE_PGM_RSRC2:SCRATCH_EN: 0
; COMPUTE_PGM_RSRC2:USER_SGPR: 6
; COMPUTE_PGM_RSRC2:TRAP_HANDLER: 0
; COMPUTE_PGM_RSRC2:TGID_X_EN: 1
; COMPUTE_PGM_RSRC2:TGID_Y_EN: 0
; COMPUTE_PGM_RSRC2:TGID_Z_EN: 0
; COMPUTE_PGM_RSRC2:TIDIG_COMP_CNT: 0
	.section	.text._ZN7rocprim17ROCPRIM_400000_NS6detail17trampoline_kernelINS0_14default_configENS1_21merge_config_selectorINS0_5tupleIJddEEENS0_10empty_typeEEEZNS1_10merge_implIS3_NS0_12zip_iteratorINS5_IJN6thrust23THRUST_200600_302600_NS6detail15normal_iteratorINSC_10device_ptrIKdEEEESI_EEEEESK_NSA_INS5_IJNSE_INSF_IdEEEESM_EEEEEPS7_SP_SP_NSC_11hip_rocprim7__merge17predicate_wrapperIddNSC_4lessIdEEEEEE10hipError_tPvRmT0_T1_T2_T3_T4_T5_mmT6_P12ihipStream_tbEUlT_E_NS1_11comp_targetILNS1_3genE10ELNS1_11target_archE1200ELNS1_3gpuE4ELNS1_3repE0EEENS1_30default_config_static_selectorELNS0_4arch9wavefront6targetE0EEEvS10_,"axG",@progbits,_ZN7rocprim17ROCPRIM_400000_NS6detail17trampoline_kernelINS0_14default_configENS1_21merge_config_selectorINS0_5tupleIJddEEENS0_10empty_typeEEEZNS1_10merge_implIS3_NS0_12zip_iteratorINS5_IJN6thrust23THRUST_200600_302600_NS6detail15normal_iteratorINSC_10device_ptrIKdEEEESI_EEEEESK_NSA_INS5_IJNSE_INSF_IdEEEESM_EEEEEPS7_SP_SP_NSC_11hip_rocprim7__merge17predicate_wrapperIddNSC_4lessIdEEEEEE10hipError_tPvRmT0_T1_T2_T3_T4_T5_mmT6_P12ihipStream_tbEUlT_E_NS1_11comp_targetILNS1_3genE10ELNS1_11target_archE1200ELNS1_3gpuE4ELNS1_3repE0EEENS1_30default_config_static_selectorELNS0_4arch9wavefront6targetE0EEEvS10_,comdat
	.protected	_ZN7rocprim17ROCPRIM_400000_NS6detail17trampoline_kernelINS0_14default_configENS1_21merge_config_selectorINS0_5tupleIJddEEENS0_10empty_typeEEEZNS1_10merge_implIS3_NS0_12zip_iteratorINS5_IJN6thrust23THRUST_200600_302600_NS6detail15normal_iteratorINSC_10device_ptrIKdEEEESI_EEEEESK_NSA_INS5_IJNSE_INSF_IdEEEESM_EEEEEPS7_SP_SP_NSC_11hip_rocprim7__merge17predicate_wrapperIddNSC_4lessIdEEEEEE10hipError_tPvRmT0_T1_T2_T3_T4_T5_mmT6_P12ihipStream_tbEUlT_E_NS1_11comp_targetILNS1_3genE10ELNS1_11target_archE1200ELNS1_3gpuE4ELNS1_3repE0EEENS1_30default_config_static_selectorELNS0_4arch9wavefront6targetE0EEEvS10_ ; -- Begin function _ZN7rocprim17ROCPRIM_400000_NS6detail17trampoline_kernelINS0_14default_configENS1_21merge_config_selectorINS0_5tupleIJddEEENS0_10empty_typeEEEZNS1_10merge_implIS3_NS0_12zip_iteratorINS5_IJN6thrust23THRUST_200600_302600_NS6detail15normal_iteratorINSC_10device_ptrIKdEEEESI_EEEEESK_NSA_INS5_IJNSE_INSF_IdEEEESM_EEEEEPS7_SP_SP_NSC_11hip_rocprim7__merge17predicate_wrapperIddNSC_4lessIdEEEEEE10hipError_tPvRmT0_T1_T2_T3_T4_T5_mmT6_P12ihipStream_tbEUlT_E_NS1_11comp_targetILNS1_3genE10ELNS1_11target_archE1200ELNS1_3gpuE4ELNS1_3repE0EEENS1_30default_config_static_selectorELNS0_4arch9wavefront6targetE0EEEvS10_
	.globl	_ZN7rocprim17ROCPRIM_400000_NS6detail17trampoline_kernelINS0_14default_configENS1_21merge_config_selectorINS0_5tupleIJddEEENS0_10empty_typeEEEZNS1_10merge_implIS3_NS0_12zip_iteratorINS5_IJN6thrust23THRUST_200600_302600_NS6detail15normal_iteratorINSC_10device_ptrIKdEEEESI_EEEEESK_NSA_INS5_IJNSE_INSF_IdEEEESM_EEEEEPS7_SP_SP_NSC_11hip_rocprim7__merge17predicate_wrapperIddNSC_4lessIdEEEEEE10hipError_tPvRmT0_T1_T2_T3_T4_T5_mmT6_P12ihipStream_tbEUlT_E_NS1_11comp_targetILNS1_3genE10ELNS1_11target_archE1200ELNS1_3gpuE4ELNS1_3repE0EEENS1_30default_config_static_selectorELNS0_4arch9wavefront6targetE0EEEvS10_
	.p2align	8
	.type	_ZN7rocprim17ROCPRIM_400000_NS6detail17trampoline_kernelINS0_14default_configENS1_21merge_config_selectorINS0_5tupleIJddEEENS0_10empty_typeEEEZNS1_10merge_implIS3_NS0_12zip_iteratorINS5_IJN6thrust23THRUST_200600_302600_NS6detail15normal_iteratorINSC_10device_ptrIKdEEEESI_EEEEESK_NSA_INS5_IJNSE_INSF_IdEEEESM_EEEEEPS7_SP_SP_NSC_11hip_rocprim7__merge17predicate_wrapperIddNSC_4lessIdEEEEEE10hipError_tPvRmT0_T1_T2_T3_T4_T5_mmT6_P12ihipStream_tbEUlT_E_NS1_11comp_targetILNS1_3genE10ELNS1_11target_archE1200ELNS1_3gpuE4ELNS1_3repE0EEENS1_30default_config_static_selectorELNS0_4arch9wavefront6targetE0EEEvS10_,@function
_ZN7rocprim17ROCPRIM_400000_NS6detail17trampoline_kernelINS0_14default_configENS1_21merge_config_selectorINS0_5tupleIJddEEENS0_10empty_typeEEEZNS1_10merge_implIS3_NS0_12zip_iteratorINS5_IJN6thrust23THRUST_200600_302600_NS6detail15normal_iteratorINSC_10device_ptrIKdEEEESI_EEEEESK_NSA_INS5_IJNSE_INSF_IdEEEESM_EEEEEPS7_SP_SP_NSC_11hip_rocprim7__merge17predicate_wrapperIddNSC_4lessIdEEEEEE10hipError_tPvRmT0_T1_T2_T3_T4_T5_mmT6_P12ihipStream_tbEUlT_E_NS1_11comp_targetILNS1_3genE10ELNS1_11target_archE1200ELNS1_3gpuE4ELNS1_3repE0EEENS1_30default_config_static_selectorELNS0_4arch9wavefront6targetE0EEEvS10_: ; @_ZN7rocprim17ROCPRIM_400000_NS6detail17trampoline_kernelINS0_14default_configENS1_21merge_config_selectorINS0_5tupleIJddEEENS0_10empty_typeEEEZNS1_10merge_implIS3_NS0_12zip_iteratorINS5_IJN6thrust23THRUST_200600_302600_NS6detail15normal_iteratorINSC_10device_ptrIKdEEEESI_EEEEESK_NSA_INS5_IJNSE_INSF_IdEEEESM_EEEEEPS7_SP_SP_NSC_11hip_rocprim7__merge17predicate_wrapperIddNSC_4lessIdEEEEEE10hipError_tPvRmT0_T1_T2_T3_T4_T5_mmT6_P12ihipStream_tbEUlT_E_NS1_11comp_targetILNS1_3genE10ELNS1_11target_archE1200ELNS1_3gpuE4ELNS1_3repE0EEENS1_30default_config_static_selectorELNS0_4arch9wavefront6targetE0EEEvS10_
; %bb.0:
	.section	.rodata,"a",@progbits
	.p2align	6, 0x0
	.amdhsa_kernel _ZN7rocprim17ROCPRIM_400000_NS6detail17trampoline_kernelINS0_14default_configENS1_21merge_config_selectorINS0_5tupleIJddEEENS0_10empty_typeEEEZNS1_10merge_implIS3_NS0_12zip_iteratorINS5_IJN6thrust23THRUST_200600_302600_NS6detail15normal_iteratorINSC_10device_ptrIKdEEEESI_EEEEESK_NSA_INS5_IJNSE_INSF_IdEEEESM_EEEEEPS7_SP_SP_NSC_11hip_rocprim7__merge17predicate_wrapperIddNSC_4lessIdEEEEEE10hipError_tPvRmT0_T1_T2_T3_T4_T5_mmT6_P12ihipStream_tbEUlT_E_NS1_11comp_targetILNS1_3genE10ELNS1_11target_archE1200ELNS1_3gpuE4ELNS1_3repE0EEENS1_30default_config_static_selectorELNS0_4arch9wavefront6targetE0EEEvS10_
		.amdhsa_group_segment_fixed_size 0
		.amdhsa_private_segment_fixed_size 0
		.amdhsa_kernarg_size 64
		.amdhsa_user_sgpr_count 6
		.amdhsa_user_sgpr_private_segment_buffer 1
		.amdhsa_user_sgpr_dispatch_ptr 0
		.amdhsa_user_sgpr_queue_ptr 0
		.amdhsa_user_sgpr_kernarg_segment_ptr 1
		.amdhsa_user_sgpr_dispatch_id 0
		.amdhsa_user_sgpr_flat_scratch_init 0
		.amdhsa_user_sgpr_private_segment_size 0
		.amdhsa_wavefront_size32 1
		.amdhsa_uses_dynamic_stack 0
		.amdhsa_system_sgpr_private_segment_wavefront_offset 0
		.amdhsa_system_sgpr_workgroup_id_x 1
		.amdhsa_system_sgpr_workgroup_id_y 0
		.amdhsa_system_sgpr_workgroup_id_z 0
		.amdhsa_system_sgpr_workgroup_info 0
		.amdhsa_system_vgpr_workitem_id 0
		.amdhsa_next_free_vgpr 1
		.amdhsa_next_free_sgpr 1
		.amdhsa_reserve_vcc 0
		.amdhsa_reserve_flat_scratch 0
		.amdhsa_float_round_mode_32 0
		.amdhsa_float_round_mode_16_64 0
		.amdhsa_float_denorm_mode_32 3
		.amdhsa_float_denorm_mode_16_64 3
		.amdhsa_dx10_clamp 1
		.amdhsa_ieee_mode 1
		.amdhsa_fp16_overflow 0
		.amdhsa_workgroup_processor_mode 1
		.amdhsa_memory_ordered 1
		.amdhsa_forward_progress 1
		.amdhsa_shared_vgpr_count 0
		.amdhsa_exception_fp_ieee_invalid_op 0
		.amdhsa_exception_fp_denorm_src 0
		.amdhsa_exception_fp_ieee_div_zero 0
		.amdhsa_exception_fp_ieee_overflow 0
		.amdhsa_exception_fp_ieee_underflow 0
		.amdhsa_exception_fp_ieee_inexact 0
		.amdhsa_exception_int_div_zero 0
	.end_amdhsa_kernel
	.section	.text._ZN7rocprim17ROCPRIM_400000_NS6detail17trampoline_kernelINS0_14default_configENS1_21merge_config_selectorINS0_5tupleIJddEEENS0_10empty_typeEEEZNS1_10merge_implIS3_NS0_12zip_iteratorINS5_IJN6thrust23THRUST_200600_302600_NS6detail15normal_iteratorINSC_10device_ptrIKdEEEESI_EEEEESK_NSA_INS5_IJNSE_INSF_IdEEEESM_EEEEEPS7_SP_SP_NSC_11hip_rocprim7__merge17predicate_wrapperIddNSC_4lessIdEEEEEE10hipError_tPvRmT0_T1_T2_T3_T4_T5_mmT6_P12ihipStream_tbEUlT_E_NS1_11comp_targetILNS1_3genE10ELNS1_11target_archE1200ELNS1_3gpuE4ELNS1_3repE0EEENS1_30default_config_static_selectorELNS0_4arch9wavefront6targetE0EEEvS10_,"axG",@progbits,_ZN7rocprim17ROCPRIM_400000_NS6detail17trampoline_kernelINS0_14default_configENS1_21merge_config_selectorINS0_5tupleIJddEEENS0_10empty_typeEEEZNS1_10merge_implIS3_NS0_12zip_iteratorINS5_IJN6thrust23THRUST_200600_302600_NS6detail15normal_iteratorINSC_10device_ptrIKdEEEESI_EEEEESK_NSA_INS5_IJNSE_INSF_IdEEEESM_EEEEEPS7_SP_SP_NSC_11hip_rocprim7__merge17predicate_wrapperIddNSC_4lessIdEEEEEE10hipError_tPvRmT0_T1_T2_T3_T4_T5_mmT6_P12ihipStream_tbEUlT_E_NS1_11comp_targetILNS1_3genE10ELNS1_11target_archE1200ELNS1_3gpuE4ELNS1_3repE0EEENS1_30default_config_static_selectorELNS0_4arch9wavefront6targetE0EEEvS10_,comdat
.Lfunc_end7:
	.size	_ZN7rocprim17ROCPRIM_400000_NS6detail17trampoline_kernelINS0_14default_configENS1_21merge_config_selectorINS0_5tupleIJddEEENS0_10empty_typeEEEZNS1_10merge_implIS3_NS0_12zip_iteratorINS5_IJN6thrust23THRUST_200600_302600_NS6detail15normal_iteratorINSC_10device_ptrIKdEEEESI_EEEEESK_NSA_INS5_IJNSE_INSF_IdEEEESM_EEEEEPS7_SP_SP_NSC_11hip_rocprim7__merge17predicate_wrapperIddNSC_4lessIdEEEEEE10hipError_tPvRmT0_T1_T2_T3_T4_T5_mmT6_P12ihipStream_tbEUlT_E_NS1_11comp_targetILNS1_3genE10ELNS1_11target_archE1200ELNS1_3gpuE4ELNS1_3repE0EEENS1_30default_config_static_selectorELNS0_4arch9wavefront6targetE0EEEvS10_, .Lfunc_end7-_ZN7rocprim17ROCPRIM_400000_NS6detail17trampoline_kernelINS0_14default_configENS1_21merge_config_selectorINS0_5tupleIJddEEENS0_10empty_typeEEEZNS1_10merge_implIS3_NS0_12zip_iteratorINS5_IJN6thrust23THRUST_200600_302600_NS6detail15normal_iteratorINSC_10device_ptrIKdEEEESI_EEEEESK_NSA_INS5_IJNSE_INSF_IdEEEESM_EEEEEPS7_SP_SP_NSC_11hip_rocprim7__merge17predicate_wrapperIddNSC_4lessIdEEEEEE10hipError_tPvRmT0_T1_T2_T3_T4_T5_mmT6_P12ihipStream_tbEUlT_E_NS1_11comp_targetILNS1_3genE10ELNS1_11target_archE1200ELNS1_3gpuE4ELNS1_3repE0EEENS1_30default_config_static_selectorELNS0_4arch9wavefront6targetE0EEEvS10_
                                        ; -- End function
	.set _ZN7rocprim17ROCPRIM_400000_NS6detail17trampoline_kernelINS0_14default_configENS1_21merge_config_selectorINS0_5tupleIJddEEENS0_10empty_typeEEEZNS1_10merge_implIS3_NS0_12zip_iteratorINS5_IJN6thrust23THRUST_200600_302600_NS6detail15normal_iteratorINSC_10device_ptrIKdEEEESI_EEEEESK_NSA_INS5_IJNSE_INSF_IdEEEESM_EEEEEPS7_SP_SP_NSC_11hip_rocprim7__merge17predicate_wrapperIddNSC_4lessIdEEEEEE10hipError_tPvRmT0_T1_T2_T3_T4_T5_mmT6_P12ihipStream_tbEUlT_E_NS1_11comp_targetILNS1_3genE10ELNS1_11target_archE1200ELNS1_3gpuE4ELNS1_3repE0EEENS1_30default_config_static_selectorELNS0_4arch9wavefront6targetE0EEEvS10_.num_vgpr, 0
	.set _ZN7rocprim17ROCPRIM_400000_NS6detail17trampoline_kernelINS0_14default_configENS1_21merge_config_selectorINS0_5tupleIJddEEENS0_10empty_typeEEEZNS1_10merge_implIS3_NS0_12zip_iteratorINS5_IJN6thrust23THRUST_200600_302600_NS6detail15normal_iteratorINSC_10device_ptrIKdEEEESI_EEEEESK_NSA_INS5_IJNSE_INSF_IdEEEESM_EEEEEPS7_SP_SP_NSC_11hip_rocprim7__merge17predicate_wrapperIddNSC_4lessIdEEEEEE10hipError_tPvRmT0_T1_T2_T3_T4_T5_mmT6_P12ihipStream_tbEUlT_E_NS1_11comp_targetILNS1_3genE10ELNS1_11target_archE1200ELNS1_3gpuE4ELNS1_3repE0EEENS1_30default_config_static_selectorELNS0_4arch9wavefront6targetE0EEEvS10_.num_agpr, 0
	.set _ZN7rocprim17ROCPRIM_400000_NS6detail17trampoline_kernelINS0_14default_configENS1_21merge_config_selectorINS0_5tupleIJddEEENS0_10empty_typeEEEZNS1_10merge_implIS3_NS0_12zip_iteratorINS5_IJN6thrust23THRUST_200600_302600_NS6detail15normal_iteratorINSC_10device_ptrIKdEEEESI_EEEEESK_NSA_INS5_IJNSE_INSF_IdEEEESM_EEEEEPS7_SP_SP_NSC_11hip_rocprim7__merge17predicate_wrapperIddNSC_4lessIdEEEEEE10hipError_tPvRmT0_T1_T2_T3_T4_T5_mmT6_P12ihipStream_tbEUlT_E_NS1_11comp_targetILNS1_3genE10ELNS1_11target_archE1200ELNS1_3gpuE4ELNS1_3repE0EEENS1_30default_config_static_selectorELNS0_4arch9wavefront6targetE0EEEvS10_.numbered_sgpr, 0
	.set _ZN7rocprim17ROCPRIM_400000_NS6detail17trampoline_kernelINS0_14default_configENS1_21merge_config_selectorINS0_5tupleIJddEEENS0_10empty_typeEEEZNS1_10merge_implIS3_NS0_12zip_iteratorINS5_IJN6thrust23THRUST_200600_302600_NS6detail15normal_iteratorINSC_10device_ptrIKdEEEESI_EEEEESK_NSA_INS5_IJNSE_INSF_IdEEEESM_EEEEEPS7_SP_SP_NSC_11hip_rocprim7__merge17predicate_wrapperIddNSC_4lessIdEEEEEE10hipError_tPvRmT0_T1_T2_T3_T4_T5_mmT6_P12ihipStream_tbEUlT_E_NS1_11comp_targetILNS1_3genE10ELNS1_11target_archE1200ELNS1_3gpuE4ELNS1_3repE0EEENS1_30default_config_static_selectorELNS0_4arch9wavefront6targetE0EEEvS10_.num_named_barrier, 0
	.set _ZN7rocprim17ROCPRIM_400000_NS6detail17trampoline_kernelINS0_14default_configENS1_21merge_config_selectorINS0_5tupleIJddEEENS0_10empty_typeEEEZNS1_10merge_implIS3_NS0_12zip_iteratorINS5_IJN6thrust23THRUST_200600_302600_NS6detail15normal_iteratorINSC_10device_ptrIKdEEEESI_EEEEESK_NSA_INS5_IJNSE_INSF_IdEEEESM_EEEEEPS7_SP_SP_NSC_11hip_rocprim7__merge17predicate_wrapperIddNSC_4lessIdEEEEEE10hipError_tPvRmT0_T1_T2_T3_T4_T5_mmT6_P12ihipStream_tbEUlT_E_NS1_11comp_targetILNS1_3genE10ELNS1_11target_archE1200ELNS1_3gpuE4ELNS1_3repE0EEENS1_30default_config_static_selectorELNS0_4arch9wavefront6targetE0EEEvS10_.private_seg_size, 0
	.set _ZN7rocprim17ROCPRIM_400000_NS6detail17trampoline_kernelINS0_14default_configENS1_21merge_config_selectorINS0_5tupleIJddEEENS0_10empty_typeEEEZNS1_10merge_implIS3_NS0_12zip_iteratorINS5_IJN6thrust23THRUST_200600_302600_NS6detail15normal_iteratorINSC_10device_ptrIKdEEEESI_EEEEESK_NSA_INS5_IJNSE_INSF_IdEEEESM_EEEEEPS7_SP_SP_NSC_11hip_rocprim7__merge17predicate_wrapperIddNSC_4lessIdEEEEEE10hipError_tPvRmT0_T1_T2_T3_T4_T5_mmT6_P12ihipStream_tbEUlT_E_NS1_11comp_targetILNS1_3genE10ELNS1_11target_archE1200ELNS1_3gpuE4ELNS1_3repE0EEENS1_30default_config_static_selectorELNS0_4arch9wavefront6targetE0EEEvS10_.uses_vcc, 0
	.set _ZN7rocprim17ROCPRIM_400000_NS6detail17trampoline_kernelINS0_14default_configENS1_21merge_config_selectorINS0_5tupleIJddEEENS0_10empty_typeEEEZNS1_10merge_implIS3_NS0_12zip_iteratorINS5_IJN6thrust23THRUST_200600_302600_NS6detail15normal_iteratorINSC_10device_ptrIKdEEEESI_EEEEESK_NSA_INS5_IJNSE_INSF_IdEEEESM_EEEEEPS7_SP_SP_NSC_11hip_rocprim7__merge17predicate_wrapperIddNSC_4lessIdEEEEEE10hipError_tPvRmT0_T1_T2_T3_T4_T5_mmT6_P12ihipStream_tbEUlT_E_NS1_11comp_targetILNS1_3genE10ELNS1_11target_archE1200ELNS1_3gpuE4ELNS1_3repE0EEENS1_30default_config_static_selectorELNS0_4arch9wavefront6targetE0EEEvS10_.uses_flat_scratch, 0
	.set _ZN7rocprim17ROCPRIM_400000_NS6detail17trampoline_kernelINS0_14default_configENS1_21merge_config_selectorINS0_5tupleIJddEEENS0_10empty_typeEEEZNS1_10merge_implIS3_NS0_12zip_iteratorINS5_IJN6thrust23THRUST_200600_302600_NS6detail15normal_iteratorINSC_10device_ptrIKdEEEESI_EEEEESK_NSA_INS5_IJNSE_INSF_IdEEEESM_EEEEEPS7_SP_SP_NSC_11hip_rocprim7__merge17predicate_wrapperIddNSC_4lessIdEEEEEE10hipError_tPvRmT0_T1_T2_T3_T4_T5_mmT6_P12ihipStream_tbEUlT_E_NS1_11comp_targetILNS1_3genE10ELNS1_11target_archE1200ELNS1_3gpuE4ELNS1_3repE0EEENS1_30default_config_static_selectorELNS0_4arch9wavefront6targetE0EEEvS10_.has_dyn_sized_stack, 0
	.set _ZN7rocprim17ROCPRIM_400000_NS6detail17trampoline_kernelINS0_14default_configENS1_21merge_config_selectorINS0_5tupleIJddEEENS0_10empty_typeEEEZNS1_10merge_implIS3_NS0_12zip_iteratorINS5_IJN6thrust23THRUST_200600_302600_NS6detail15normal_iteratorINSC_10device_ptrIKdEEEESI_EEEEESK_NSA_INS5_IJNSE_INSF_IdEEEESM_EEEEEPS7_SP_SP_NSC_11hip_rocprim7__merge17predicate_wrapperIddNSC_4lessIdEEEEEE10hipError_tPvRmT0_T1_T2_T3_T4_T5_mmT6_P12ihipStream_tbEUlT_E_NS1_11comp_targetILNS1_3genE10ELNS1_11target_archE1200ELNS1_3gpuE4ELNS1_3repE0EEENS1_30default_config_static_selectorELNS0_4arch9wavefront6targetE0EEEvS10_.has_recursion, 0
	.set _ZN7rocprim17ROCPRIM_400000_NS6detail17trampoline_kernelINS0_14default_configENS1_21merge_config_selectorINS0_5tupleIJddEEENS0_10empty_typeEEEZNS1_10merge_implIS3_NS0_12zip_iteratorINS5_IJN6thrust23THRUST_200600_302600_NS6detail15normal_iteratorINSC_10device_ptrIKdEEEESI_EEEEESK_NSA_INS5_IJNSE_INSF_IdEEEESM_EEEEEPS7_SP_SP_NSC_11hip_rocprim7__merge17predicate_wrapperIddNSC_4lessIdEEEEEE10hipError_tPvRmT0_T1_T2_T3_T4_T5_mmT6_P12ihipStream_tbEUlT_E_NS1_11comp_targetILNS1_3genE10ELNS1_11target_archE1200ELNS1_3gpuE4ELNS1_3repE0EEENS1_30default_config_static_selectorELNS0_4arch9wavefront6targetE0EEEvS10_.has_indirect_call, 0
	.section	.AMDGPU.csdata,"",@progbits
; Kernel info:
; codeLenInByte = 0
; TotalNumSgprs: 0
; NumVgprs: 0
; ScratchSize: 0
; MemoryBound: 0
; FloatMode: 240
; IeeeMode: 1
; LDSByteSize: 0 bytes/workgroup (compile time only)
; SGPRBlocks: 0
; VGPRBlocks: 0
; NumSGPRsForWavesPerEU: 1
; NumVGPRsForWavesPerEU: 1
; Occupancy: 16
; WaveLimiterHint : 0
; COMPUTE_PGM_RSRC2:SCRATCH_EN: 0
; COMPUTE_PGM_RSRC2:USER_SGPR: 6
; COMPUTE_PGM_RSRC2:TRAP_HANDLER: 0
; COMPUTE_PGM_RSRC2:TGID_X_EN: 1
; COMPUTE_PGM_RSRC2:TGID_Y_EN: 0
; COMPUTE_PGM_RSRC2:TGID_Z_EN: 0
; COMPUTE_PGM_RSRC2:TIDIG_COMP_CNT: 0
	.section	.text._ZN7rocprim17ROCPRIM_400000_NS6detail17trampoline_kernelINS0_14default_configENS1_21merge_config_selectorINS0_5tupleIJddEEENS0_10empty_typeEEEZNS1_10merge_implIS3_NS0_12zip_iteratorINS5_IJN6thrust23THRUST_200600_302600_NS6detail15normal_iteratorINSC_10device_ptrIKdEEEESI_EEEEESK_NSA_INS5_IJNSE_INSF_IdEEEESM_EEEEEPS7_SP_SP_NSC_11hip_rocprim7__merge17predicate_wrapperIddNSC_4lessIdEEEEEE10hipError_tPvRmT0_T1_T2_T3_T4_T5_mmT6_P12ihipStream_tbEUlT_E_NS1_11comp_targetILNS1_3genE9ELNS1_11target_archE1100ELNS1_3gpuE3ELNS1_3repE0EEENS1_30default_config_static_selectorELNS0_4arch9wavefront6targetE0EEEvS10_,"axG",@progbits,_ZN7rocprim17ROCPRIM_400000_NS6detail17trampoline_kernelINS0_14default_configENS1_21merge_config_selectorINS0_5tupleIJddEEENS0_10empty_typeEEEZNS1_10merge_implIS3_NS0_12zip_iteratorINS5_IJN6thrust23THRUST_200600_302600_NS6detail15normal_iteratorINSC_10device_ptrIKdEEEESI_EEEEESK_NSA_INS5_IJNSE_INSF_IdEEEESM_EEEEEPS7_SP_SP_NSC_11hip_rocprim7__merge17predicate_wrapperIddNSC_4lessIdEEEEEE10hipError_tPvRmT0_T1_T2_T3_T4_T5_mmT6_P12ihipStream_tbEUlT_E_NS1_11comp_targetILNS1_3genE9ELNS1_11target_archE1100ELNS1_3gpuE3ELNS1_3repE0EEENS1_30default_config_static_selectorELNS0_4arch9wavefront6targetE0EEEvS10_,comdat
	.protected	_ZN7rocprim17ROCPRIM_400000_NS6detail17trampoline_kernelINS0_14default_configENS1_21merge_config_selectorINS0_5tupleIJddEEENS0_10empty_typeEEEZNS1_10merge_implIS3_NS0_12zip_iteratorINS5_IJN6thrust23THRUST_200600_302600_NS6detail15normal_iteratorINSC_10device_ptrIKdEEEESI_EEEEESK_NSA_INS5_IJNSE_INSF_IdEEEESM_EEEEEPS7_SP_SP_NSC_11hip_rocprim7__merge17predicate_wrapperIddNSC_4lessIdEEEEEE10hipError_tPvRmT0_T1_T2_T3_T4_T5_mmT6_P12ihipStream_tbEUlT_E_NS1_11comp_targetILNS1_3genE9ELNS1_11target_archE1100ELNS1_3gpuE3ELNS1_3repE0EEENS1_30default_config_static_selectorELNS0_4arch9wavefront6targetE0EEEvS10_ ; -- Begin function _ZN7rocprim17ROCPRIM_400000_NS6detail17trampoline_kernelINS0_14default_configENS1_21merge_config_selectorINS0_5tupleIJddEEENS0_10empty_typeEEEZNS1_10merge_implIS3_NS0_12zip_iteratorINS5_IJN6thrust23THRUST_200600_302600_NS6detail15normal_iteratorINSC_10device_ptrIKdEEEESI_EEEEESK_NSA_INS5_IJNSE_INSF_IdEEEESM_EEEEEPS7_SP_SP_NSC_11hip_rocprim7__merge17predicate_wrapperIddNSC_4lessIdEEEEEE10hipError_tPvRmT0_T1_T2_T3_T4_T5_mmT6_P12ihipStream_tbEUlT_E_NS1_11comp_targetILNS1_3genE9ELNS1_11target_archE1100ELNS1_3gpuE3ELNS1_3repE0EEENS1_30default_config_static_selectorELNS0_4arch9wavefront6targetE0EEEvS10_
	.globl	_ZN7rocprim17ROCPRIM_400000_NS6detail17trampoline_kernelINS0_14default_configENS1_21merge_config_selectorINS0_5tupleIJddEEENS0_10empty_typeEEEZNS1_10merge_implIS3_NS0_12zip_iteratorINS5_IJN6thrust23THRUST_200600_302600_NS6detail15normal_iteratorINSC_10device_ptrIKdEEEESI_EEEEESK_NSA_INS5_IJNSE_INSF_IdEEEESM_EEEEEPS7_SP_SP_NSC_11hip_rocprim7__merge17predicate_wrapperIddNSC_4lessIdEEEEEE10hipError_tPvRmT0_T1_T2_T3_T4_T5_mmT6_P12ihipStream_tbEUlT_E_NS1_11comp_targetILNS1_3genE9ELNS1_11target_archE1100ELNS1_3gpuE3ELNS1_3repE0EEENS1_30default_config_static_selectorELNS0_4arch9wavefront6targetE0EEEvS10_
	.p2align	8
	.type	_ZN7rocprim17ROCPRIM_400000_NS6detail17trampoline_kernelINS0_14default_configENS1_21merge_config_selectorINS0_5tupleIJddEEENS0_10empty_typeEEEZNS1_10merge_implIS3_NS0_12zip_iteratorINS5_IJN6thrust23THRUST_200600_302600_NS6detail15normal_iteratorINSC_10device_ptrIKdEEEESI_EEEEESK_NSA_INS5_IJNSE_INSF_IdEEEESM_EEEEEPS7_SP_SP_NSC_11hip_rocprim7__merge17predicate_wrapperIddNSC_4lessIdEEEEEE10hipError_tPvRmT0_T1_T2_T3_T4_T5_mmT6_P12ihipStream_tbEUlT_E_NS1_11comp_targetILNS1_3genE9ELNS1_11target_archE1100ELNS1_3gpuE3ELNS1_3repE0EEENS1_30default_config_static_selectorELNS0_4arch9wavefront6targetE0EEEvS10_,@function
_ZN7rocprim17ROCPRIM_400000_NS6detail17trampoline_kernelINS0_14default_configENS1_21merge_config_selectorINS0_5tupleIJddEEENS0_10empty_typeEEEZNS1_10merge_implIS3_NS0_12zip_iteratorINS5_IJN6thrust23THRUST_200600_302600_NS6detail15normal_iteratorINSC_10device_ptrIKdEEEESI_EEEEESK_NSA_INS5_IJNSE_INSF_IdEEEESM_EEEEEPS7_SP_SP_NSC_11hip_rocprim7__merge17predicate_wrapperIddNSC_4lessIdEEEEEE10hipError_tPvRmT0_T1_T2_T3_T4_T5_mmT6_P12ihipStream_tbEUlT_E_NS1_11comp_targetILNS1_3genE9ELNS1_11target_archE1100ELNS1_3gpuE3ELNS1_3repE0EEENS1_30default_config_static_selectorELNS0_4arch9wavefront6targetE0EEEvS10_: ; @_ZN7rocprim17ROCPRIM_400000_NS6detail17trampoline_kernelINS0_14default_configENS1_21merge_config_selectorINS0_5tupleIJddEEENS0_10empty_typeEEEZNS1_10merge_implIS3_NS0_12zip_iteratorINS5_IJN6thrust23THRUST_200600_302600_NS6detail15normal_iteratorINSC_10device_ptrIKdEEEESI_EEEEESK_NSA_INS5_IJNSE_INSF_IdEEEESM_EEEEEPS7_SP_SP_NSC_11hip_rocprim7__merge17predicate_wrapperIddNSC_4lessIdEEEEEE10hipError_tPvRmT0_T1_T2_T3_T4_T5_mmT6_P12ihipStream_tbEUlT_E_NS1_11comp_targetILNS1_3genE9ELNS1_11target_archE1100ELNS1_3gpuE3ELNS1_3repE0EEENS1_30default_config_static_selectorELNS0_4arch9wavefront6targetE0EEEvS10_
; %bb.0:
	.section	.rodata,"a",@progbits
	.p2align	6, 0x0
	.amdhsa_kernel _ZN7rocprim17ROCPRIM_400000_NS6detail17trampoline_kernelINS0_14default_configENS1_21merge_config_selectorINS0_5tupleIJddEEENS0_10empty_typeEEEZNS1_10merge_implIS3_NS0_12zip_iteratorINS5_IJN6thrust23THRUST_200600_302600_NS6detail15normal_iteratorINSC_10device_ptrIKdEEEESI_EEEEESK_NSA_INS5_IJNSE_INSF_IdEEEESM_EEEEEPS7_SP_SP_NSC_11hip_rocprim7__merge17predicate_wrapperIddNSC_4lessIdEEEEEE10hipError_tPvRmT0_T1_T2_T3_T4_T5_mmT6_P12ihipStream_tbEUlT_E_NS1_11comp_targetILNS1_3genE9ELNS1_11target_archE1100ELNS1_3gpuE3ELNS1_3repE0EEENS1_30default_config_static_selectorELNS0_4arch9wavefront6targetE0EEEvS10_
		.amdhsa_group_segment_fixed_size 0
		.amdhsa_private_segment_fixed_size 0
		.amdhsa_kernarg_size 64
		.amdhsa_user_sgpr_count 6
		.amdhsa_user_sgpr_private_segment_buffer 1
		.amdhsa_user_sgpr_dispatch_ptr 0
		.amdhsa_user_sgpr_queue_ptr 0
		.amdhsa_user_sgpr_kernarg_segment_ptr 1
		.amdhsa_user_sgpr_dispatch_id 0
		.amdhsa_user_sgpr_flat_scratch_init 0
		.amdhsa_user_sgpr_private_segment_size 0
		.amdhsa_wavefront_size32 1
		.amdhsa_uses_dynamic_stack 0
		.amdhsa_system_sgpr_private_segment_wavefront_offset 0
		.amdhsa_system_sgpr_workgroup_id_x 1
		.amdhsa_system_sgpr_workgroup_id_y 0
		.amdhsa_system_sgpr_workgroup_id_z 0
		.amdhsa_system_sgpr_workgroup_info 0
		.amdhsa_system_vgpr_workitem_id 0
		.amdhsa_next_free_vgpr 1
		.amdhsa_next_free_sgpr 1
		.amdhsa_reserve_vcc 0
		.amdhsa_reserve_flat_scratch 0
		.amdhsa_float_round_mode_32 0
		.amdhsa_float_round_mode_16_64 0
		.amdhsa_float_denorm_mode_32 3
		.amdhsa_float_denorm_mode_16_64 3
		.amdhsa_dx10_clamp 1
		.amdhsa_ieee_mode 1
		.amdhsa_fp16_overflow 0
		.amdhsa_workgroup_processor_mode 1
		.amdhsa_memory_ordered 1
		.amdhsa_forward_progress 1
		.amdhsa_shared_vgpr_count 0
		.amdhsa_exception_fp_ieee_invalid_op 0
		.amdhsa_exception_fp_denorm_src 0
		.amdhsa_exception_fp_ieee_div_zero 0
		.amdhsa_exception_fp_ieee_overflow 0
		.amdhsa_exception_fp_ieee_underflow 0
		.amdhsa_exception_fp_ieee_inexact 0
		.amdhsa_exception_int_div_zero 0
	.end_amdhsa_kernel
	.section	.text._ZN7rocprim17ROCPRIM_400000_NS6detail17trampoline_kernelINS0_14default_configENS1_21merge_config_selectorINS0_5tupleIJddEEENS0_10empty_typeEEEZNS1_10merge_implIS3_NS0_12zip_iteratorINS5_IJN6thrust23THRUST_200600_302600_NS6detail15normal_iteratorINSC_10device_ptrIKdEEEESI_EEEEESK_NSA_INS5_IJNSE_INSF_IdEEEESM_EEEEEPS7_SP_SP_NSC_11hip_rocprim7__merge17predicate_wrapperIddNSC_4lessIdEEEEEE10hipError_tPvRmT0_T1_T2_T3_T4_T5_mmT6_P12ihipStream_tbEUlT_E_NS1_11comp_targetILNS1_3genE9ELNS1_11target_archE1100ELNS1_3gpuE3ELNS1_3repE0EEENS1_30default_config_static_selectorELNS0_4arch9wavefront6targetE0EEEvS10_,"axG",@progbits,_ZN7rocprim17ROCPRIM_400000_NS6detail17trampoline_kernelINS0_14default_configENS1_21merge_config_selectorINS0_5tupleIJddEEENS0_10empty_typeEEEZNS1_10merge_implIS3_NS0_12zip_iteratorINS5_IJN6thrust23THRUST_200600_302600_NS6detail15normal_iteratorINSC_10device_ptrIKdEEEESI_EEEEESK_NSA_INS5_IJNSE_INSF_IdEEEESM_EEEEEPS7_SP_SP_NSC_11hip_rocprim7__merge17predicate_wrapperIddNSC_4lessIdEEEEEE10hipError_tPvRmT0_T1_T2_T3_T4_T5_mmT6_P12ihipStream_tbEUlT_E_NS1_11comp_targetILNS1_3genE9ELNS1_11target_archE1100ELNS1_3gpuE3ELNS1_3repE0EEENS1_30default_config_static_selectorELNS0_4arch9wavefront6targetE0EEEvS10_,comdat
.Lfunc_end8:
	.size	_ZN7rocprim17ROCPRIM_400000_NS6detail17trampoline_kernelINS0_14default_configENS1_21merge_config_selectorINS0_5tupleIJddEEENS0_10empty_typeEEEZNS1_10merge_implIS3_NS0_12zip_iteratorINS5_IJN6thrust23THRUST_200600_302600_NS6detail15normal_iteratorINSC_10device_ptrIKdEEEESI_EEEEESK_NSA_INS5_IJNSE_INSF_IdEEEESM_EEEEEPS7_SP_SP_NSC_11hip_rocprim7__merge17predicate_wrapperIddNSC_4lessIdEEEEEE10hipError_tPvRmT0_T1_T2_T3_T4_T5_mmT6_P12ihipStream_tbEUlT_E_NS1_11comp_targetILNS1_3genE9ELNS1_11target_archE1100ELNS1_3gpuE3ELNS1_3repE0EEENS1_30default_config_static_selectorELNS0_4arch9wavefront6targetE0EEEvS10_, .Lfunc_end8-_ZN7rocprim17ROCPRIM_400000_NS6detail17trampoline_kernelINS0_14default_configENS1_21merge_config_selectorINS0_5tupleIJddEEENS0_10empty_typeEEEZNS1_10merge_implIS3_NS0_12zip_iteratorINS5_IJN6thrust23THRUST_200600_302600_NS6detail15normal_iteratorINSC_10device_ptrIKdEEEESI_EEEEESK_NSA_INS5_IJNSE_INSF_IdEEEESM_EEEEEPS7_SP_SP_NSC_11hip_rocprim7__merge17predicate_wrapperIddNSC_4lessIdEEEEEE10hipError_tPvRmT0_T1_T2_T3_T4_T5_mmT6_P12ihipStream_tbEUlT_E_NS1_11comp_targetILNS1_3genE9ELNS1_11target_archE1100ELNS1_3gpuE3ELNS1_3repE0EEENS1_30default_config_static_selectorELNS0_4arch9wavefront6targetE0EEEvS10_
                                        ; -- End function
	.set _ZN7rocprim17ROCPRIM_400000_NS6detail17trampoline_kernelINS0_14default_configENS1_21merge_config_selectorINS0_5tupleIJddEEENS0_10empty_typeEEEZNS1_10merge_implIS3_NS0_12zip_iteratorINS5_IJN6thrust23THRUST_200600_302600_NS6detail15normal_iteratorINSC_10device_ptrIKdEEEESI_EEEEESK_NSA_INS5_IJNSE_INSF_IdEEEESM_EEEEEPS7_SP_SP_NSC_11hip_rocprim7__merge17predicate_wrapperIddNSC_4lessIdEEEEEE10hipError_tPvRmT0_T1_T2_T3_T4_T5_mmT6_P12ihipStream_tbEUlT_E_NS1_11comp_targetILNS1_3genE9ELNS1_11target_archE1100ELNS1_3gpuE3ELNS1_3repE0EEENS1_30default_config_static_selectorELNS0_4arch9wavefront6targetE0EEEvS10_.num_vgpr, 0
	.set _ZN7rocprim17ROCPRIM_400000_NS6detail17trampoline_kernelINS0_14default_configENS1_21merge_config_selectorINS0_5tupleIJddEEENS0_10empty_typeEEEZNS1_10merge_implIS3_NS0_12zip_iteratorINS5_IJN6thrust23THRUST_200600_302600_NS6detail15normal_iteratorINSC_10device_ptrIKdEEEESI_EEEEESK_NSA_INS5_IJNSE_INSF_IdEEEESM_EEEEEPS7_SP_SP_NSC_11hip_rocprim7__merge17predicate_wrapperIddNSC_4lessIdEEEEEE10hipError_tPvRmT0_T1_T2_T3_T4_T5_mmT6_P12ihipStream_tbEUlT_E_NS1_11comp_targetILNS1_3genE9ELNS1_11target_archE1100ELNS1_3gpuE3ELNS1_3repE0EEENS1_30default_config_static_selectorELNS0_4arch9wavefront6targetE0EEEvS10_.num_agpr, 0
	.set _ZN7rocprim17ROCPRIM_400000_NS6detail17trampoline_kernelINS0_14default_configENS1_21merge_config_selectorINS0_5tupleIJddEEENS0_10empty_typeEEEZNS1_10merge_implIS3_NS0_12zip_iteratorINS5_IJN6thrust23THRUST_200600_302600_NS6detail15normal_iteratorINSC_10device_ptrIKdEEEESI_EEEEESK_NSA_INS5_IJNSE_INSF_IdEEEESM_EEEEEPS7_SP_SP_NSC_11hip_rocprim7__merge17predicate_wrapperIddNSC_4lessIdEEEEEE10hipError_tPvRmT0_T1_T2_T3_T4_T5_mmT6_P12ihipStream_tbEUlT_E_NS1_11comp_targetILNS1_3genE9ELNS1_11target_archE1100ELNS1_3gpuE3ELNS1_3repE0EEENS1_30default_config_static_selectorELNS0_4arch9wavefront6targetE0EEEvS10_.numbered_sgpr, 0
	.set _ZN7rocprim17ROCPRIM_400000_NS6detail17trampoline_kernelINS0_14default_configENS1_21merge_config_selectorINS0_5tupleIJddEEENS0_10empty_typeEEEZNS1_10merge_implIS3_NS0_12zip_iteratorINS5_IJN6thrust23THRUST_200600_302600_NS6detail15normal_iteratorINSC_10device_ptrIKdEEEESI_EEEEESK_NSA_INS5_IJNSE_INSF_IdEEEESM_EEEEEPS7_SP_SP_NSC_11hip_rocprim7__merge17predicate_wrapperIddNSC_4lessIdEEEEEE10hipError_tPvRmT0_T1_T2_T3_T4_T5_mmT6_P12ihipStream_tbEUlT_E_NS1_11comp_targetILNS1_3genE9ELNS1_11target_archE1100ELNS1_3gpuE3ELNS1_3repE0EEENS1_30default_config_static_selectorELNS0_4arch9wavefront6targetE0EEEvS10_.num_named_barrier, 0
	.set _ZN7rocprim17ROCPRIM_400000_NS6detail17trampoline_kernelINS0_14default_configENS1_21merge_config_selectorINS0_5tupleIJddEEENS0_10empty_typeEEEZNS1_10merge_implIS3_NS0_12zip_iteratorINS5_IJN6thrust23THRUST_200600_302600_NS6detail15normal_iteratorINSC_10device_ptrIKdEEEESI_EEEEESK_NSA_INS5_IJNSE_INSF_IdEEEESM_EEEEEPS7_SP_SP_NSC_11hip_rocprim7__merge17predicate_wrapperIddNSC_4lessIdEEEEEE10hipError_tPvRmT0_T1_T2_T3_T4_T5_mmT6_P12ihipStream_tbEUlT_E_NS1_11comp_targetILNS1_3genE9ELNS1_11target_archE1100ELNS1_3gpuE3ELNS1_3repE0EEENS1_30default_config_static_selectorELNS0_4arch9wavefront6targetE0EEEvS10_.private_seg_size, 0
	.set _ZN7rocprim17ROCPRIM_400000_NS6detail17trampoline_kernelINS0_14default_configENS1_21merge_config_selectorINS0_5tupleIJddEEENS0_10empty_typeEEEZNS1_10merge_implIS3_NS0_12zip_iteratorINS5_IJN6thrust23THRUST_200600_302600_NS6detail15normal_iteratorINSC_10device_ptrIKdEEEESI_EEEEESK_NSA_INS5_IJNSE_INSF_IdEEEESM_EEEEEPS7_SP_SP_NSC_11hip_rocprim7__merge17predicate_wrapperIddNSC_4lessIdEEEEEE10hipError_tPvRmT0_T1_T2_T3_T4_T5_mmT6_P12ihipStream_tbEUlT_E_NS1_11comp_targetILNS1_3genE9ELNS1_11target_archE1100ELNS1_3gpuE3ELNS1_3repE0EEENS1_30default_config_static_selectorELNS0_4arch9wavefront6targetE0EEEvS10_.uses_vcc, 0
	.set _ZN7rocprim17ROCPRIM_400000_NS6detail17trampoline_kernelINS0_14default_configENS1_21merge_config_selectorINS0_5tupleIJddEEENS0_10empty_typeEEEZNS1_10merge_implIS3_NS0_12zip_iteratorINS5_IJN6thrust23THRUST_200600_302600_NS6detail15normal_iteratorINSC_10device_ptrIKdEEEESI_EEEEESK_NSA_INS5_IJNSE_INSF_IdEEEESM_EEEEEPS7_SP_SP_NSC_11hip_rocprim7__merge17predicate_wrapperIddNSC_4lessIdEEEEEE10hipError_tPvRmT0_T1_T2_T3_T4_T5_mmT6_P12ihipStream_tbEUlT_E_NS1_11comp_targetILNS1_3genE9ELNS1_11target_archE1100ELNS1_3gpuE3ELNS1_3repE0EEENS1_30default_config_static_selectorELNS0_4arch9wavefront6targetE0EEEvS10_.uses_flat_scratch, 0
	.set _ZN7rocprim17ROCPRIM_400000_NS6detail17trampoline_kernelINS0_14default_configENS1_21merge_config_selectorINS0_5tupleIJddEEENS0_10empty_typeEEEZNS1_10merge_implIS3_NS0_12zip_iteratorINS5_IJN6thrust23THRUST_200600_302600_NS6detail15normal_iteratorINSC_10device_ptrIKdEEEESI_EEEEESK_NSA_INS5_IJNSE_INSF_IdEEEESM_EEEEEPS7_SP_SP_NSC_11hip_rocprim7__merge17predicate_wrapperIddNSC_4lessIdEEEEEE10hipError_tPvRmT0_T1_T2_T3_T4_T5_mmT6_P12ihipStream_tbEUlT_E_NS1_11comp_targetILNS1_3genE9ELNS1_11target_archE1100ELNS1_3gpuE3ELNS1_3repE0EEENS1_30default_config_static_selectorELNS0_4arch9wavefront6targetE0EEEvS10_.has_dyn_sized_stack, 0
	.set _ZN7rocprim17ROCPRIM_400000_NS6detail17trampoline_kernelINS0_14default_configENS1_21merge_config_selectorINS0_5tupleIJddEEENS0_10empty_typeEEEZNS1_10merge_implIS3_NS0_12zip_iteratorINS5_IJN6thrust23THRUST_200600_302600_NS6detail15normal_iteratorINSC_10device_ptrIKdEEEESI_EEEEESK_NSA_INS5_IJNSE_INSF_IdEEEESM_EEEEEPS7_SP_SP_NSC_11hip_rocprim7__merge17predicate_wrapperIddNSC_4lessIdEEEEEE10hipError_tPvRmT0_T1_T2_T3_T4_T5_mmT6_P12ihipStream_tbEUlT_E_NS1_11comp_targetILNS1_3genE9ELNS1_11target_archE1100ELNS1_3gpuE3ELNS1_3repE0EEENS1_30default_config_static_selectorELNS0_4arch9wavefront6targetE0EEEvS10_.has_recursion, 0
	.set _ZN7rocprim17ROCPRIM_400000_NS6detail17trampoline_kernelINS0_14default_configENS1_21merge_config_selectorINS0_5tupleIJddEEENS0_10empty_typeEEEZNS1_10merge_implIS3_NS0_12zip_iteratorINS5_IJN6thrust23THRUST_200600_302600_NS6detail15normal_iteratorINSC_10device_ptrIKdEEEESI_EEEEESK_NSA_INS5_IJNSE_INSF_IdEEEESM_EEEEEPS7_SP_SP_NSC_11hip_rocprim7__merge17predicate_wrapperIddNSC_4lessIdEEEEEE10hipError_tPvRmT0_T1_T2_T3_T4_T5_mmT6_P12ihipStream_tbEUlT_E_NS1_11comp_targetILNS1_3genE9ELNS1_11target_archE1100ELNS1_3gpuE3ELNS1_3repE0EEENS1_30default_config_static_selectorELNS0_4arch9wavefront6targetE0EEEvS10_.has_indirect_call, 0
	.section	.AMDGPU.csdata,"",@progbits
; Kernel info:
; codeLenInByte = 0
; TotalNumSgprs: 0
; NumVgprs: 0
; ScratchSize: 0
; MemoryBound: 0
; FloatMode: 240
; IeeeMode: 1
; LDSByteSize: 0 bytes/workgroup (compile time only)
; SGPRBlocks: 0
; VGPRBlocks: 0
; NumSGPRsForWavesPerEU: 1
; NumVGPRsForWavesPerEU: 1
; Occupancy: 16
; WaveLimiterHint : 0
; COMPUTE_PGM_RSRC2:SCRATCH_EN: 0
; COMPUTE_PGM_RSRC2:USER_SGPR: 6
; COMPUTE_PGM_RSRC2:TRAP_HANDLER: 0
; COMPUTE_PGM_RSRC2:TGID_X_EN: 1
; COMPUTE_PGM_RSRC2:TGID_Y_EN: 0
; COMPUTE_PGM_RSRC2:TGID_Z_EN: 0
; COMPUTE_PGM_RSRC2:TIDIG_COMP_CNT: 0
	.section	.text._ZN7rocprim17ROCPRIM_400000_NS6detail17trampoline_kernelINS0_14default_configENS1_21merge_config_selectorINS0_5tupleIJddEEENS0_10empty_typeEEEZNS1_10merge_implIS3_NS0_12zip_iteratorINS5_IJN6thrust23THRUST_200600_302600_NS6detail15normal_iteratorINSC_10device_ptrIKdEEEESI_EEEEESK_NSA_INS5_IJNSE_INSF_IdEEEESM_EEEEEPS7_SP_SP_NSC_11hip_rocprim7__merge17predicate_wrapperIddNSC_4lessIdEEEEEE10hipError_tPvRmT0_T1_T2_T3_T4_T5_mmT6_P12ihipStream_tbEUlT_E_NS1_11comp_targetILNS1_3genE8ELNS1_11target_archE1030ELNS1_3gpuE2ELNS1_3repE0EEENS1_30default_config_static_selectorELNS0_4arch9wavefront6targetE0EEEvS10_,"axG",@progbits,_ZN7rocprim17ROCPRIM_400000_NS6detail17trampoline_kernelINS0_14default_configENS1_21merge_config_selectorINS0_5tupleIJddEEENS0_10empty_typeEEEZNS1_10merge_implIS3_NS0_12zip_iteratorINS5_IJN6thrust23THRUST_200600_302600_NS6detail15normal_iteratorINSC_10device_ptrIKdEEEESI_EEEEESK_NSA_INS5_IJNSE_INSF_IdEEEESM_EEEEEPS7_SP_SP_NSC_11hip_rocprim7__merge17predicate_wrapperIddNSC_4lessIdEEEEEE10hipError_tPvRmT0_T1_T2_T3_T4_T5_mmT6_P12ihipStream_tbEUlT_E_NS1_11comp_targetILNS1_3genE8ELNS1_11target_archE1030ELNS1_3gpuE2ELNS1_3repE0EEENS1_30default_config_static_selectorELNS0_4arch9wavefront6targetE0EEEvS10_,comdat
	.protected	_ZN7rocprim17ROCPRIM_400000_NS6detail17trampoline_kernelINS0_14default_configENS1_21merge_config_selectorINS0_5tupleIJddEEENS0_10empty_typeEEEZNS1_10merge_implIS3_NS0_12zip_iteratorINS5_IJN6thrust23THRUST_200600_302600_NS6detail15normal_iteratorINSC_10device_ptrIKdEEEESI_EEEEESK_NSA_INS5_IJNSE_INSF_IdEEEESM_EEEEEPS7_SP_SP_NSC_11hip_rocprim7__merge17predicate_wrapperIddNSC_4lessIdEEEEEE10hipError_tPvRmT0_T1_T2_T3_T4_T5_mmT6_P12ihipStream_tbEUlT_E_NS1_11comp_targetILNS1_3genE8ELNS1_11target_archE1030ELNS1_3gpuE2ELNS1_3repE0EEENS1_30default_config_static_selectorELNS0_4arch9wavefront6targetE0EEEvS10_ ; -- Begin function _ZN7rocprim17ROCPRIM_400000_NS6detail17trampoline_kernelINS0_14default_configENS1_21merge_config_selectorINS0_5tupleIJddEEENS0_10empty_typeEEEZNS1_10merge_implIS3_NS0_12zip_iteratorINS5_IJN6thrust23THRUST_200600_302600_NS6detail15normal_iteratorINSC_10device_ptrIKdEEEESI_EEEEESK_NSA_INS5_IJNSE_INSF_IdEEEESM_EEEEEPS7_SP_SP_NSC_11hip_rocprim7__merge17predicate_wrapperIddNSC_4lessIdEEEEEE10hipError_tPvRmT0_T1_T2_T3_T4_T5_mmT6_P12ihipStream_tbEUlT_E_NS1_11comp_targetILNS1_3genE8ELNS1_11target_archE1030ELNS1_3gpuE2ELNS1_3repE0EEENS1_30default_config_static_selectorELNS0_4arch9wavefront6targetE0EEEvS10_
	.globl	_ZN7rocprim17ROCPRIM_400000_NS6detail17trampoline_kernelINS0_14default_configENS1_21merge_config_selectorINS0_5tupleIJddEEENS0_10empty_typeEEEZNS1_10merge_implIS3_NS0_12zip_iteratorINS5_IJN6thrust23THRUST_200600_302600_NS6detail15normal_iteratorINSC_10device_ptrIKdEEEESI_EEEEESK_NSA_INS5_IJNSE_INSF_IdEEEESM_EEEEEPS7_SP_SP_NSC_11hip_rocprim7__merge17predicate_wrapperIddNSC_4lessIdEEEEEE10hipError_tPvRmT0_T1_T2_T3_T4_T5_mmT6_P12ihipStream_tbEUlT_E_NS1_11comp_targetILNS1_3genE8ELNS1_11target_archE1030ELNS1_3gpuE2ELNS1_3repE0EEENS1_30default_config_static_selectorELNS0_4arch9wavefront6targetE0EEEvS10_
	.p2align	8
	.type	_ZN7rocprim17ROCPRIM_400000_NS6detail17trampoline_kernelINS0_14default_configENS1_21merge_config_selectorINS0_5tupleIJddEEENS0_10empty_typeEEEZNS1_10merge_implIS3_NS0_12zip_iteratorINS5_IJN6thrust23THRUST_200600_302600_NS6detail15normal_iteratorINSC_10device_ptrIKdEEEESI_EEEEESK_NSA_INS5_IJNSE_INSF_IdEEEESM_EEEEEPS7_SP_SP_NSC_11hip_rocprim7__merge17predicate_wrapperIddNSC_4lessIdEEEEEE10hipError_tPvRmT0_T1_T2_T3_T4_T5_mmT6_P12ihipStream_tbEUlT_E_NS1_11comp_targetILNS1_3genE8ELNS1_11target_archE1030ELNS1_3gpuE2ELNS1_3repE0EEENS1_30default_config_static_selectorELNS0_4arch9wavefront6targetE0EEEvS10_,@function
_ZN7rocprim17ROCPRIM_400000_NS6detail17trampoline_kernelINS0_14default_configENS1_21merge_config_selectorINS0_5tupleIJddEEENS0_10empty_typeEEEZNS1_10merge_implIS3_NS0_12zip_iteratorINS5_IJN6thrust23THRUST_200600_302600_NS6detail15normal_iteratorINSC_10device_ptrIKdEEEESI_EEEEESK_NSA_INS5_IJNSE_INSF_IdEEEESM_EEEEEPS7_SP_SP_NSC_11hip_rocprim7__merge17predicate_wrapperIddNSC_4lessIdEEEEEE10hipError_tPvRmT0_T1_T2_T3_T4_T5_mmT6_P12ihipStream_tbEUlT_E_NS1_11comp_targetILNS1_3genE8ELNS1_11target_archE1030ELNS1_3gpuE2ELNS1_3repE0EEENS1_30default_config_static_selectorELNS0_4arch9wavefront6targetE0EEEvS10_: ; @_ZN7rocprim17ROCPRIM_400000_NS6detail17trampoline_kernelINS0_14default_configENS1_21merge_config_selectorINS0_5tupleIJddEEENS0_10empty_typeEEEZNS1_10merge_implIS3_NS0_12zip_iteratorINS5_IJN6thrust23THRUST_200600_302600_NS6detail15normal_iteratorINSC_10device_ptrIKdEEEESI_EEEEESK_NSA_INS5_IJNSE_INSF_IdEEEESM_EEEEEPS7_SP_SP_NSC_11hip_rocprim7__merge17predicate_wrapperIddNSC_4lessIdEEEEEE10hipError_tPvRmT0_T1_T2_T3_T4_T5_mmT6_P12ihipStream_tbEUlT_E_NS1_11comp_targetILNS1_3genE8ELNS1_11target_archE1030ELNS1_3gpuE2ELNS1_3repE0EEENS1_30default_config_static_selectorELNS0_4arch9wavefront6targetE0EEEvS10_
; %bb.0:
	s_clause 0x2
	s_load_dword s2, s[4:5], 0x38
	s_load_dword s0, s[4:5], 0x4c
	s_load_dwordx4 s[12:15], s[4:5], 0x28
	s_waitcnt lgkmcnt(0)
	v_cvt_f32_u32_e32 v1, s2
	s_and_b32 s3, s0, 0xffff
	s_add_u32 s0, s14, s12
	s_addc_u32 s1, s15, s13
	s_sub_i32 s8, 0, s2
	v_rcp_iflag_f32_e32 v1, v1
	s_add_i32 s9, s2, s0
	s_add_i32 s9, s9, -1
	v_mul_f32_e32 v1, 0x4f7ffffe, v1
	v_cvt_u32_f32_e32 v1, v1
	v_readfirstlane_b32 s7, v1
	v_mad_u64_u32 v[0:1], null, s6, s3, v[0:1]
	s_mul_i32 s8, s8, s7
	s_mul_hi_u32 s8, s7, s8
	s_add_i32 s7, s7, s8
	s_mul_hi_u32 s7, s9, s7
	s_mul_i32 s8, s7, s2
	s_sub_i32 s8, s9, s8
	s_add_i32 s9, s7, 1
	s_sub_i32 s10, s8, s2
	s_cmp_ge_u32 s8, s2
	s_cselect_b32 s3, s9, s7
	s_cselect_b32 s6, s10, s8
	s_add_i32 s7, s3, 1
	s_cmp_ge_u32 s6, s2
	s_cselect_b32 s3, s7, s3
	v_cmp_ge_u32_e32 vcc_lo, s3, v0
	s_and_saveexec_b32 s3, vcc_lo
	s_cbranch_execz .LBB9_6
; %bb.1:
	v_mul_lo_u32 v1, v0, s2
	v_mov_b32_e32 v2, 0
	s_load_dwordx4 s[8:11], s[4:5], 0x0
	v_cmp_gt_u64_e32 vcc_lo, s[0:1], v[1:2]
	v_cndmask_b32_e32 v6, s0, v1, vcc_lo
	v_cndmask_b32_e64 v7, s1, 0, vcc_lo
	s_mov_b32 s1, exec_lo
	v_sub_co_u32 v1, vcc_lo, v6, s14
	v_subrev_co_ci_u32_e64 v2, null, s15, v7, vcc_lo
	v_cmp_gt_u64_e64 s0, s[12:13], v[6:7]
	v_cmp_gt_u64_e32 vcc_lo, v[1:2], v[6:7]
	v_cndmask_b32_e64 v5, s13, v7, s0
	v_cndmask_b32_e64 v4, s12, v6, s0
	v_cndmask_b32_e64 v3, v2, 0, vcc_lo
	v_cndmask_b32_e64 v2, v1, 0, vcc_lo
	v_cmpx_lt_u64_e64 v[2:3], v[4:5]
	s_cbranch_execz .LBB9_5
; %bb.2:
	s_load_dwordx2 s[2:3], s[4:5], 0x18
	v_lshlrev_b64 v[6:7], 3, v[6:7]
	s_waitcnt lgkmcnt(0)
	v_add_co_u32 v1, vcc_lo, s2, v6
	v_add_co_ci_u32_e64 v6, null, s3, v7, vcc_lo
	s_mov_b32 s2, 0
	s_inst_prefetch 0x1
	.p2align	6
.LBB9_3:                                ; =>This Inner Loop Header: Depth=1
	v_add_co_u32 v7, vcc_lo, v4, v2
	v_add_co_ci_u32_e64 v8, null, v5, v3, vcc_lo
	v_lshrrev_b64 v[7:8], 1, v[7:8]
	v_lshlrev_b64 v[9:10], 3, v[7:8]
	v_xor_b32_e32 v11, -8, v9
	v_xor_b32_e32 v12, -1, v10
	v_add_co_u32 v9, vcc_lo, s10, v9
	v_add_co_ci_u32_e64 v10, null, s11, v10, vcc_lo
	v_add_co_u32 v11, vcc_lo, v1, v11
	v_add_co_ci_u32_e64 v12, null, v6, v12, vcc_lo
	global_load_dwordx2 v[9:10], v[9:10], off
	global_load_dwordx2 v[11:12], v[11:12], off
	s_waitcnt vmcnt(0)
	v_cmp_lt_f64_e32 vcc_lo, v[11:12], v[9:10]
	v_add_co_u32 v9, s0, v7, 1
	v_add_co_ci_u32_e64 v10, null, 0, v8, s0
	v_cndmask_b32_e32 v5, v5, v8, vcc_lo
	v_cndmask_b32_e32 v4, v4, v7, vcc_lo
	;; [unrolled: 1-line block ×4, first 2 shown]
	v_cmp_ge_u64_e32 vcc_lo, v[2:3], v[4:5]
	s_or_b32 s2, vcc_lo, s2
	s_andn2_b32 exec_lo, exec_lo, s2
	s_cbranch_execnz .LBB9_3
; %bb.4:
	s_inst_prefetch 0x2
	s_or_b32 exec_lo, exec_lo, s2
.LBB9_5:
	s_or_b32 exec_lo, exec_lo, s1
	v_mov_b32_e32 v1, 0
	v_lshlrev_b64 v[0:1], 2, v[0:1]
	s_waitcnt lgkmcnt(0)
	v_add_co_u32 v0, vcc_lo, s8, v0
	v_add_co_ci_u32_e64 v1, null, s9, v1, vcc_lo
	global_store_dword v[0:1], v2, off
.LBB9_6:
	s_endpgm
	.section	.rodata,"a",@progbits
	.p2align	6, 0x0
	.amdhsa_kernel _ZN7rocprim17ROCPRIM_400000_NS6detail17trampoline_kernelINS0_14default_configENS1_21merge_config_selectorINS0_5tupleIJddEEENS0_10empty_typeEEEZNS1_10merge_implIS3_NS0_12zip_iteratorINS5_IJN6thrust23THRUST_200600_302600_NS6detail15normal_iteratorINSC_10device_ptrIKdEEEESI_EEEEESK_NSA_INS5_IJNSE_INSF_IdEEEESM_EEEEEPS7_SP_SP_NSC_11hip_rocprim7__merge17predicate_wrapperIddNSC_4lessIdEEEEEE10hipError_tPvRmT0_T1_T2_T3_T4_T5_mmT6_P12ihipStream_tbEUlT_E_NS1_11comp_targetILNS1_3genE8ELNS1_11target_archE1030ELNS1_3gpuE2ELNS1_3repE0EEENS1_30default_config_static_selectorELNS0_4arch9wavefront6targetE0EEEvS10_
		.amdhsa_group_segment_fixed_size 0
		.amdhsa_private_segment_fixed_size 0
		.amdhsa_kernarg_size 320
		.amdhsa_user_sgpr_count 6
		.amdhsa_user_sgpr_private_segment_buffer 1
		.amdhsa_user_sgpr_dispatch_ptr 0
		.amdhsa_user_sgpr_queue_ptr 0
		.amdhsa_user_sgpr_kernarg_segment_ptr 1
		.amdhsa_user_sgpr_dispatch_id 0
		.amdhsa_user_sgpr_flat_scratch_init 0
		.amdhsa_user_sgpr_private_segment_size 0
		.amdhsa_wavefront_size32 1
		.amdhsa_uses_dynamic_stack 0
		.amdhsa_system_sgpr_private_segment_wavefront_offset 0
		.amdhsa_system_sgpr_workgroup_id_x 1
		.amdhsa_system_sgpr_workgroup_id_y 0
		.amdhsa_system_sgpr_workgroup_id_z 0
		.amdhsa_system_sgpr_workgroup_info 0
		.amdhsa_system_vgpr_workitem_id 0
		.amdhsa_next_free_vgpr 13
		.amdhsa_next_free_sgpr 16
		.amdhsa_reserve_vcc 1
		.amdhsa_reserve_flat_scratch 0
		.amdhsa_float_round_mode_32 0
		.amdhsa_float_round_mode_16_64 0
		.amdhsa_float_denorm_mode_32 3
		.amdhsa_float_denorm_mode_16_64 3
		.amdhsa_dx10_clamp 1
		.amdhsa_ieee_mode 1
		.amdhsa_fp16_overflow 0
		.amdhsa_workgroup_processor_mode 1
		.amdhsa_memory_ordered 1
		.amdhsa_forward_progress 1
		.amdhsa_shared_vgpr_count 0
		.amdhsa_exception_fp_ieee_invalid_op 0
		.amdhsa_exception_fp_denorm_src 0
		.amdhsa_exception_fp_ieee_div_zero 0
		.amdhsa_exception_fp_ieee_overflow 0
		.amdhsa_exception_fp_ieee_underflow 0
		.amdhsa_exception_fp_ieee_inexact 0
		.amdhsa_exception_int_div_zero 0
	.end_amdhsa_kernel
	.section	.text._ZN7rocprim17ROCPRIM_400000_NS6detail17trampoline_kernelINS0_14default_configENS1_21merge_config_selectorINS0_5tupleIJddEEENS0_10empty_typeEEEZNS1_10merge_implIS3_NS0_12zip_iteratorINS5_IJN6thrust23THRUST_200600_302600_NS6detail15normal_iteratorINSC_10device_ptrIKdEEEESI_EEEEESK_NSA_INS5_IJNSE_INSF_IdEEEESM_EEEEEPS7_SP_SP_NSC_11hip_rocprim7__merge17predicate_wrapperIddNSC_4lessIdEEEEEE10hipError_tPvRmT0_T1_T2_T3_T4_T5_mmT6_P12ihipStream_tbEUlT_E_NS1_11comp_targetILNS1_3genE8ELNS1_11target_archE1030ELNS1_3gpuE2ELNS1_3repE0EEENS1_30default_config_static_selectorELNS0_4arch9wavefront6targetE0EEEvS10_,"axG",@progbits,_ZN7rocprim17ROCPRIM_400000_NS6detail17trampoline_kernelINS0_14default_configENS1_21merge_config_selectorINS0_5tupleIJddEEENS0_10empty_typeEEEZNS1_10merge_implIS3_NS0_12zip_iteratorINS5_IJN6thrust23THRUST_200600_302600_NS6detail15normal_iteratorINSC_10device_ptrIKdEEEESI_EEEEESK_NSA_INS5_IJNSE_INSF_IdEEEESM_EEEEEPS7_SP_SP_NSC_11hip_rocprim7__merge17predicate_wrapperIddNSC_4lessIdEEEEEE10hipError_tPvRmT0_T1_T2_T3_T4_T5_mmT6_P12ihipStream_tbEUlT_E_NS1_11comp_targetILNS1_3genE8ELNS1_11target_archE1030ELNS1_3gpuE2ELNS1_3repE0EEENS1_30default_config_static_selectorELNS0_4arch9wavefront6targetE0EEEvS10_,comdat
.Lfunc_end9:
	.size	_ZN7rocprim17ROCPRIM_400000_NS6detail17trampoline_kernelINS0_14default_configENS1_21merge_config_selectorINS0_5tupleIJddEEENS0_10empty_typeEEEZNS1_10merge_implIS3_NS0_12zip_iteratorINS5_IJN6thrust23THRUST_200600_302600_NS6detail15normal_iteratorINSC_10device_ptrIKdEEEESI_EEEEESK_NSA_INS5_IJNSE_INSF_IdEEEESM_EEEEEPS7_SP_SP_NSC_11hip_rocprim7__merge17predicate_wrapperIddNSC_4lessIdEEEEEE10hipError_tPvRmT0_T1_T2_T3_T4_T5_mmT6_P12ihipStream_tbEUlT_E_NS1_11comp_targetILNS1_3genE8ELNS1_11target_archE1030ELNS1_3gpuE2ELNS1_3repE0EEENS1_30default_config_static_selectorELNS0_4arch9wavefront6targetE0EEEvS10_, .Lfunc_end9-_ZN7rocprim17ROCPRIM_400000_NS6detail17trampoline_kernelINS0_14default_configENS1_21merge_config_selectorINS0_5tupleIJddEEENS0_10empty_typeEEEZNS1_10merge_implIS3_NS0_12zip_iteratorINS5_IJN6thrust23THRUST_200600_302600_NS6detail15normal_iteratorINSC_10device_ptrIKdEEEESI_EEEEESK_NSA_INS5_IJNSE_INSF_IdEEEESM_EEEEEPS7_SP_SP_NSC_11hip_rocprim7__merge17predicate_wrapperIddNSC_4lessIdEEEEEE10hipError_tPvRmT0_T1_T2_T3_T4_T5_mmT6_P12ihipStream_tbEUlT_E_NS1_11comp_targetILNS1_3genE8ELNS1_11target_archE1030ELNS1_3gpuE2ELNS1_3repE0EEENS1_30default_config_static_selectorELNS0_4arch9wavefront6targetE0EEEvS10_
                                        ; -- End function
	.set _ZN7rocprim17ROCPRIM_400000_NS6detail17trampoline_kernelINS0_14default_configENS1_21merge_config_selectorINS0_5tupleIJddEEENS0_10empty_typeEEEZNS1_10merge_implIS3_NS0_12zip_iteratorINS5_IJN6thrust23THRUST_200600_302600_NS6detail15normal_iteratorINSC_10device_ptrIKdEEEESI_EEEEESK_NSA_INS5_IJNSE_INSF_IdEEEESM_EEEEEPS7_SP_SP_NSC_11hip_rocprim7__merge17predicate_wrapperIddNSC_4lessIdEEEEEE10hipError_tPvRmT0_T1_T2_T3_T4_T5_mmT6_P12ihipStream_tbEUlT_E_NS1_11comp_targetILNS1_3genE8ELNS1_11target_archE1030ELNS1_3gpuE2ELNS1_3repE0EEENS1_30default_config_static_selectorELNS0_4arch9wavefront6targetE0EEEvS10_.num_vgpr, 13
	.set _ZN7rocprim17ROCPRIM_400000_NS6detail17trampoline_kernelINS0_14default_configENS1_21merge_config_selectorINS0_5tupleIJddEEENS0_10empty_typeEEEZNS1_10merge_implIS3_NS0_12zip_iteratorINS5_IJN6thrust23THRUST_200600_302600_NS6detail15normal_iteratorINSC_10device_ptrIKdEEEESI_EEEEESK_NSA_INS5_IJNSE_INSF_IdEEEESM_EEEEEPS7_SP_SP_NSC_11hip_rocprim7__merge17predicate_wrapperIddNSC_4lessIdEEEEEE10hipError_tPvRmT0_T1_T2_T3_T4_T5_mmT6_P12ihipStream_tbEUlT_E_NS1_11comp_targetILNS1_3genE8ELNS1_11target_archE1030ELNS1_3gpuE2ELNS1_3repE0EEENS1_30default_config_static_selectorELNS0_4arch9wavefront6targetE0EEEvS10_.num_agpr, 0
	.set _ZN7rocprim17ROCPRIM_400000_NS6detail17trampoline_kernelINS0_14default_configENS1_21merge_config_selectorINS0_5tupleIJddEEENS0_10empty_typeEEEZNS1_10merge_implIS3_NS0_12zip_iteratorINS5_IJN6thrust23THRUST_200600_302600_NS6detail15normal_iteratorINSC_10device_ptrIKdEEEESI_EEEEESK_NSA_INS5_IJNSE_INSF_IdEEEESM_EEEEEPS7_SP_SP_NSC_11hip_rocprim7__merge17predicate_wrapperIddNSC_4lessIdEEEEEE10hipError_tPvRmT0_T1_T2_T3_T4_T5_mmT6_P12ihipStream_tbEUlT_E_NS1_11comp_targetILNS1_3genE8ELNS1_11target_archE1030ELNS1_3gpuE2ELNS1_3repE0EEENS1_30default_config_static_selectorELNS0_4arch9wavefront6targetE0EEEvS10_.numbered_sgpr, 16
	.set _ZN7rocprim17ROCPRIM_400000_NS6detail17trampoline_kernelINS0_14default_configENS1_21merge_config_selectorINS0_5tupleIJddEEENS0_10empty_typeEEEZNS1_10merge_implIS3_NS0_12zip_iteratorINS5_IJN6thrust23THRUST_200600_302600_NS6detail15normal_iteratorINSC_10device_ptrIKdEEEESI_EEEEESK_NSA_INS5_IJNSE_INSF_IdEEEESM_EEEEEPS7_SP_SP_NSC_11hip_rocprim7__merge17predicate_wrapperIddNSC_4lessIdEEEEEE10hipError_tPvRmT0_T1_T2_T3_T4_T5_mmT6_P12ihipStream_tbEUlT_E_NS1_11comp_targetILNS1_3genE8ELNS1_11target_archE1030ELNS1_3gpuE2ELNS1_3repE0EEENS1_30default_config_static_selectorELNS0_4arch9wavefront6targetE0EEEvS10_.num_named_barrier, 0
	.set _ZN7rocprim17ROCPRIM_400000_NS6detail17trampoline_kernelINS0_14default_configENS1_21merge_config_selectorINS0_5tupleIJddEEENS0_10empty_typeEEEZNS1_10merge_implIS3_NS0_12zip_iteratorINS5_IJN6thrust23THRUST_200600_302600_NS6detail15normal_iteratorINSC_10device_ptrIKdEEEESI_EEEEESK_NSA_INS5_IJNSE_INSF_IdEEEESM_EEEEEPS7_SP_SP_NSC_11hip_rocprim7__merge17predicate_wrapperIddNSC_4lessIdEEEEEE10hipError_tPvRmT0_T1_T2_T3_T4_T5_mmT6_P12ihipStream_tbEUlT_E_NS1_11comp_targetILNS1_3genE8ELNS1_11target_archE1030ELNS1_3gpuE2ELNS1_3repE0EEENS1_30default_config_static_selectorELNS0_4arch9wavefront6targetE0EEEvS10_.private_seg_size, 0
	.set _ZN7rocprim17ROCPRIM_400000_NS6detail17trampoline_kernelINS0_14default_configENS1_21merge_config_selectorINS0_5tupleIJddEEENS0_10empty_typeEEEZNS1_10merge_implIS3_NS0_12zip_iteratorINS5_IJN6thrust23THRUST_200600_302600_NS6detail15normal_iteratorINSC_10device_ptrIKdEEEESI_EEEEESK_NSA_INS5_IJNSE_INSF_IdEEEESM_EEEEEPS7_SP_SP_NSC_11hip_rocprim7__merge17predicate_wrapperIddNSC_4lessIdEEEEEE10hipError_tPvRmT0_T1_T2_T3_T4_T5_mmT6_P12ihipStream_tbEUlT_E_NS1_11comp_targetILNS1_3genE8ELNS1_11target_archE1030ELNS1_3gpuE2ELNS1_3repE0EEENS1_30default_config_static_selectorELNS0_4arch9wavefront6targetE0EEEvS10_.uses_vcc, 1
	.set _ZN7rocprim17ROCPRIM_400000_NS6detail17trampoline_kernelINS0_14default_configENS1_21merge_config_selectorINS0_5tupleIJddEEENS0_10empty_typeEEEZNS1_10merge_implIS3_NS0_12zip_iteratorINS5_IJN6thrust23THRUST_200600_302600_NS6detail15normal_iteratorINSC_10device_ptrIKdEEEESI_EEEEESK_NSA_INS5_IJNSE_INSF_IdEEEESM_EEEEEPS7_SP_SP_NSC_11hip_rocprim7__merge17predicate_wrapperIddNSC_4lessIdEEEEEE10hipError_tPvRmT0_T1_T2_T3_T4_T5_mmT6_P12ihipStream_tbEUlT_E_NS1_11comp_targetILNS1_3genE8ELNS1_11target_archE1030ELNS1_3gpuE2ELNS1_3repE0EEENS1_30default_config_static_selectorELNS0_4arch9wavefront6targetE0EEEvS10_.uses_flat_scratch, 0
	.set _ZN7rocprim17ROCPRIM_400000_NS6detail17trampoline_kernelINS0_14default_configENS1_21merge_config_selectorINS0_5tupleIJddEEENS0_10empty_typeEEEZNS1_10merge_implIS3_NS0_12zip_iteratorINS5_IJN6thrust23THRUST_200600_302600_NS6detail15normal_iteratorINSC_10device_ptrIKdEEEESI_EEEEESK_NSA_INS5_IJNSE_INSF_IdEEEESM_EEEEEPS7_SP_SP_NSC_11hip_rocprim7__merge17predicate_wrapperIddNSC_4lessIdEEEEEE10hipError_tPvRmT0_T1_T2_T3_T4_T5_mmT6_P12ihipStream_tbEUlT_E_NS1_11comp_targetILNS1_3genE8ELNS1_11target_archE1030ELNS1_3gpuE2ELNS1_3repE0EEENS1_30default_config_static_selectorELNS0_4arch9wavefront6targetE0EEEvS10_.has_dyn_sized_stack, 0
	.set _ZN7rocprim17ROCPRIM_400000_NS6detail17trampoline_kernelINS0_14default_configENS1_21merge_config_selectorINS0_5tupleIJddEEENS0_10empty_typeEEEZNS1_10merge_implIS3_NS0_12zip_iteratorINS5_IJN6thrust23THRUST_200600_302600_NS6detail15normal_iteratorINSC_10device_ptrIKdEEEESI_EEEEESK_NSA_INS5_IJNSE_INSF_IdEEEESM_EEEEEPS7_SP_SP_NSC_11hip_rocprim7__merge17predicate_wrapperIddNSC_4lessIdEEEEEE10hipError_tPvRmT0_T1_T2_T3_T4_T5_mmT6_P12ihipStream_tbEUlT_E_NS1_11comp_targetILNS1_3genE8ELNS1_11target_archE1030ELNS1_3gpuE2ELNS1_3repE0EEENS1_30default_config_static_selectorELNS0_4arch9wavefront6targetE0EEEvS10_.has_recursion, 0
	.set _ZN7rocprim17ROCPRIM_400000_NS6detail17trampoline_kernelINS0_14default_configENS1_21merge_config_selectorINS0_5tupleIJddEEENS0_10empty_typeEEEZNS1_10merge_implIS3_NS0_12zip_iteratorINS5_IJN6thrust23THRUST_200600_302600_NS6detail15normal_iteratorINSC_10device_ptrIKdEEEESI_EEEEESK_NSA_INS5_IJNSE_INSF_IdEEEESM_EEEEEPS7_SP_SP_NSC_11hip_rocprim7__merge17predicate_wrapperIddNSC_4lessIdEEEEEE10hipError_tPvRmT0_T1_T2_T3_T4_T5_mmT6_P12ihipStream_tbEUlT_E_NS1_11comp_targetILNS1_3genE8ELNS1_11target_archE1030ELNS1_3gpuE2ELNS1_3repE0EEENS1_30default_config_static_selectorELNS0_4arch9wavefront6targetE0EEEvS10_.has_indirect_call, 0
	.section	.AMDGPU.csdata,"",@progbits
; Kernel info:
; codeLenInByte = 520
; TotalNumSgprs: 18
; NumVgprs: 13
; ScratchSize: 0
; MemoryBound: 0
; FloatMode: 240
; IeeeMode: 1
; LDSByteSize: 0 bytes/workgroup (compile time only)
; SGPRBlocks: 0
; VGPRBlocks: 1
; NumSGPRsForWavesPerEU: 18
; NumVGPRsForWavesPerEU: 13
; Occupancy: 16
; WaveLimiterHint : 0
; COMPUTE_PGM_RSRC2:SCRATCH_EN: 0
; COMPUTE_PGM_RSRC2:USER_SGPR: 6
; COMPUTE_PGM_RSRC2:TRAP_HANDLER: 0
; COMPUTE_PGM_RSRC2:TGID_X_EN: 1
; COMPUTE_PGM_RSRC2:TGID_Y_EN: 0
; COMPUTE_PGM_RSRC2:TGID_Z_EN: 0
; COMPUTE_PGM_RSRC2:TIDIG_COMP_CNT: 0
	.section	.text._ZN7rocprim17ROCPRIM_400000_NS6detail17trampoline_kernelINS0_14default_configENS1_21merge_config_selectorINS0_5tupleIJddEEENS0_10empty_typeEEEZNS1_10merge_implIS3_NS0_12zip_iteratorINS5_IJN6thrust23THRUST_200600_302600_NS6detail15normal_iteratorINSC_10device_ptrIKdEEEESI_EEEEESK_NSA_INS5_IJNSE_INSF_IdEEEESM_EEEEEPS7_SP_SP_NSC_11hip_rocprim7__merge17predicate_wrapperIddNSC_4lessIdEEEEEE10hipError_tPvRmT0_T1_T2_T3_T4_T5_mmT6_P12ihipStream_tbEUlT_E0_NS1_11comp_targetILNS1_3genE0ELNS1_11target_archE4294967295ELNS1_3gpuE0ELNS1_3repE0EEENS1_30default_config_static_selectorELNS0_4arch9wavefront6targetE0EEEvS10_,"axG",@progbits,_ZN7rocprim17ROCPRIM_400000_NS6detail17trampoline_kernelINS0_14default_configENS1_21merge_config_selectorINS0_5tupleIJddEEENS0_10empty_typeEEEZNS1_10merge_implIS3_NS0_12zip_iteratorINS5_IJN6thrust23THRUST_200600_302600_NS6detail15normal_iteratorINSC_10device_ptrIKdEEEESI_EEEEESK_NSA_INS5_IJNSE_INSF_IdEEEESM_EEEEEPS7_SP_SP_NSC_11hip_rocprim7__merge17predicate_wrapperIddNSC_4lessIdEEEEEE10hipError_tPvRmT0_T1_T2_T3_T4_T5_mmT6_P12ihipStream_tbEUlT_E0_NS1_11comp_targetILNS1_3genE0ELNS1_11target_archE4294967295ELNS1_3gpuE0ELNS1_3repE0EEENS1_30default_config_static_selectorELNS0_4arch9wavefront6targetE0EEEvS10_,comdat
	.protected	_ZN7rocprim17ROCPRIM_400000_NS6detail17trampoline_kernelINS0_14default_configENS1_21merge_config_selectorINS0_5tupleIJddEEENS0_10empty_typeEEEZNS1_10merge_implIS3_NS0_12zip_iteratorINS5_IJN6thrust23THRUST_200600_302600_NS6detail15normal_iteratorINSC_10device_ptrIKdEEEESI_EEEEESK_NSA_INS5_IJNSE_INSF_IdEEEESM_EEEEEPS7_SP_SP_NSC_11hip_rocprim7__merge17predicate_wrapperIddNSC_4lessIdEEEEEE10hipError_tPvRmT0_T1_T2_T3_T4_T5_mmT6_P12ihipStream_tbEUlT_E0_NS1_11comp_targetILNS1_3genE0ELNS1_11target_archE4294967295ELNS1_3gpuE0ELNS1_3repE0EEENS1_30default_config_static_selectorELNS0_4arch9wavefront6targetE0EEEvS10_ ; -- Begin function _ZN7rocprim17ROCPRIM_400000_NS6detail17trampoline_kernelINS0_14default_configENS1_21merge_config_selectorINS0_5tupleIJddEEENS0_10empty_typeEEEZNS1_10merge_implIS3_NS0_12zip_iteratorINS5_IJN6thrust23THRUST_200600_302600_NS6detail15normal_iteratorINSC_10device_ptrIKdEEEESI_EEEEESK_NSA_INS5_IJNSE_INSF_IdEEEESM_EEEEEPS7_SP_SP_NSC_11hip_rocprim7__merge17predicate_wrapperIddNSC_4lessIdEEEEEE10hipError_tPvRmT0_T1_T2_T3_T4_T5_mmT6_P12ihipStream_tbEUlT_E0_NS1_11comp_targetILNS1_3genE0ELNS1_11target_archE4294967295ELNS1_3gpuE0ELNS1_3repE0EEENS1_30default_config_static_selectorELNS0_4arch9wavefront6targetE0EEEvS10_
	.globl	_ZN7rocprim17ROCPRIM_400000_NS6detail17trampoline_kernelINS0_14default_configENS1_21merge_config_selectorINS0_5tupleIJddEEENS0_10empty_typeEEEZNS1_10merge_implIS3_NS0_12zip_iteratorINS5_IJN6thrust23THRUST_200600_302600_NS6detail15normal_iteratorINSC_10device_ptrIKdEEEESI_EEEEESK_NSA_INS5_IJNSE_INSF_IdEEEESM_EEEEEPS7_SP_SP_NSC_11hip_rocprim7__merge17predicate_wrapperIddNSC_4lessIdEEEEEE10hipError_tPvRmT0_T1_T2_T3_T4_T5_mmT6_P12ihipStream_tbEUlT_E0_NS1_11comp_targetILNS1_3genE0ELNS1_11target_archE4294967295ELNS1_3gpuE0ELNS1_3repE0EEENS1_30default_config_static_selectorELNS0_4arch9wavefront6targetE0EEEvS10_
	.p2align	8
	.type	_ZN7rocprim17ROCPRIM_400000_NS6detail17trampoline_kernelINS0_14default_configENS1_21merge_config_selectorINS0_5tupleIJddEEENS0_10empty_typeEEEZNS1_10merge_implIS3_NS0_12zip_iteratorINS5_IJN6thrust23THRUST_200600_302600_NS6detail15normal_iteratorINSC_10device_ptrIKdEEEESI_EEEEESK_NSA_INS5_IJNSE_INSF_IdEEEESM_EEEEEPS7_SP_SP_NSC_11hip_rocprim7__merge17predicate_wrapperIddNSC_4lessIdEEEEEE10hipError_tPvRmT0_T1_T2_T3_T4_T5_mmT6_P12ihipStream_tbEUlT_E0_NS1_11comp_targetILNS1_3genE0ELNS1_11target_archE4294967295ELNS1_3gpuE0ELNS1_3repE0EEENS1_30default_config_static_selectorELNS0_4arch9wavefront6targetE0EEEvS10_,@function
_ZN7rocprim17ROCPRIM_400000_NS6detail17trampoline_kernelINS0_14default_configENS1_21merge_config_selectorINS0_5tupleIJddEEENS0_10empty_typeEEEZNS1_10merge_implIS3_NS0_12zip_iteratorINS5_IJN6thrust23THRUST_200600_302600_NS6detail15normal_iteratorINSC_10device_ptrIKdEEEESI_EEEEESK_NSA_INS5_IJNSE_INSF_IdEEEESM_EEEEEPS7_SP_SP_NSC_11hip_rocprim7__merge17predicate_wrapperIddNSC_4lessIdEEEEEE10hipError_tPvRmT0_T1_T2_T3_T4_T5_mmT6_P12ihipStream_tbEUlT_E0_NS1_11comp_targetILNS1_3genE0ELNS1_11target_archE4294967295ELNS1_3gpuE0ELNS1_3repE0EEENS1_30default_config_static_selectorELNS0_4arch9wavefront6targetE0EEEvS10_: ; @_ZN7rocprim17ROCPRIM_400000_NS6detail17trampoline_kernelINS0_14default_configENS1_21merge_config_selectorINS0_5tupleIJddEEENS0_10empty_typeEEEZNS1_10merge_implIS3_NS0_12zip_iteratorINS5_IJN6thrust23THRUST_200600_302600_NS6detail15normal_iteratorINSC_10device_ptrIKdEEEESI_EEEEESK_NSA_INS5_IJNSE_INSF_IdEEEESM_EEEEEPS7_SP_SP_NSC_11hip_rocprim7__merge17predicate_wrapperIddNSC_4lessIdEEEEEE10hipError_tPvRmT0_T1_T2_T3_T4_T5_mmT6_P12ihipStream_tbEUlT_E0_NS1_11comp_targetILNS1_3genE0ELNS1_11target_archE4294967295ELNS1_3gpuE0ELNS1_3repE0EEENS1_30default_config_static_selectorELNS0_4arch9wavefront6targetE0EEEvS10_
; %bb.0:
	.section	.rodata,"a",@progbits
	.p2align	6, 0x0
	.amdhsa_kernel _ZN7rocprim17ROCPRIM_400000_NS6detail17trampoline_kernelINS0_14default_configENS1_21merge_config_selectorINS0_5tupleIJddEEENS0_10empty_typeEEEZNS1_10merge_implIS3_NS0_12zip_iteratorINS5_IJN6thrust23THRUST_200600_302600_NS6detail15normal_iteratorINSC_10device_ptrIKdEEEESI_EEEEESK_NSA_INS5_IJNSE_INSF_IdEEEESM_EEEEEPS7_SP_SP_NSC_11hip_rocprim7__merge17predicate_wrapperIddNSC_4lessIdEEEEEE10hipError_tPvRmT0_T1_T2_T3_T4_T5_mmT6_P12ihipStream_tbEUlT_E0_NS1_11comp_targetILNS1_3genE0ELNS1_11target_archE4294967295ELNS1_3gpuE0ELNS1_3repE0EEENS1_30default_config_static_selectorELNS0_4arch9wavefront6targetE0EEEvS10_
		.amdhsa_group_segment_fixed_size 0
		.amdhsa_private_segment_fixed_size 0
		.amdhsa_kernarg_size 112
		.amdhsa_user_sgpr_count 6
		.amdhsa_user_sgpr_private_segment_buffer 1
		.amdhsa_user_sgpr_dispatch_ptr 0
		.amdhsa_user_sgpr_queue_ptr 0
		.amdhsa_user_sgpr_kernarg_segment_ptr 1
		.amdhsa_user_sgpr_dispatch_id 0
		.amdhsa_user_sgpr_flat_scratch_init 0
		.amdhsa_user_sgpr_private_segment_size 0
		.amdhsa_wavefront_size32 1
		.amdhsa_uses_dynamic_stack 0
		.amdhsa_system_sgpr_private_segment_wavefront_offset 0
		.amdhsa_system_sgpr_workgroup_id_x 1
		.amdhsa_system_sgpr_workgroup_id_y 0
		.amdhsa_system_sgpr_workgroup_id_z 0
		.amdhsa_system_sgpr_workgroup_info 0
		.amdhsa_system_vgpr_workitem_id 0
		.amdhsa_next_free_vgpr 1
		.amdhsa_next_free_sgpr 1
		.amdhsa_reserve_vcc 0
		.amdhsa_reserve_flat_scratch 0
		.amdhsa_float_round_mode_32 0
		.amdhsa_float_round_mode_16_64 0
		.amdhsa_float_denorm_mode_32 3
		.amdhsa_float_denorm_mode_16_64 3
		.amdhsa_dx10_clamp 1
		.amdhsa_ieee_mode 1
		.amdhsa_fp16_overflow 0
		.amdhsa_workgroup_processor_mode 1
		.amdhsa_memory_ordered 1
		.amdhsa_forward_progress 1
		.amdhsa_shared_vgpr_count 0
		.amdhsa_exception_fp_ieee_invalid_op 0
		.amdhsa_exception_fp_denorm_src 0
		.amdhsa_exception_fp_ieee_div_zero 0
		.amdhsa_exception_fp_ieee_overflow 0
		.amdhsa_exception_fp_ieee_underflow 0
		.amdhsa_exception_fp_ieee_inexact 0
		.amdhsa_exception_int_div_zero 0
	.end_amdhsa_kernel
	.section	.text._ZN7rocprim17ROCPRIM_400000_NS6detail17trampoline_kernelINS0_14default_configENS1_21merge_config_selectorINS0_5tupleIJddEEENS0_10empty_typeEEEZNS1_10merge_implIS3_NS0_12zip_iteratorINS5_IJN6thrust23THRUST_200600_302600_NS6detail15normal_iteratorINSC_10device_ptrIKdEEEESI_EEEEESK_NSA_INS5_IJNSE_INSF_IdEEEESM_EEEEEPS7_SP_SP_NSC_11hip_rocprim7__merge17predicate_wrapperIddNSC_4lessIdEEEEEE10hipError_tPvRmT0_T1_T2_T3_T4_T5_mmT6_P12ihipStream_tbEUlT_E0_NS1_11comp_targetILNS1_3genE0ELNS1_11target_archE4294967295ELNS1_3gpuE0ELNS1_3repE0EEENS1_30default_config_static_selectorELNS0_4arch9wavefront6targetE0EEEvS10_,"axG",@progbits,_ZN7rocprim17ROCPRIM_400000_NS6detail17trampoline_kernelINS0_14default_configENS1_21merge_config_selectorINS0_5tupleIJddEEENS0_10empty_typeEEEZNS1_10merge_implIS3_NS0_12zip_iteratorINS5_IJN6thrust23THRUST_200600_302600_NS6detail15normal_iteratorINSC_10device_ptrIKdEEEESI_EEEEESK_NSA_INS5_IJNSE_INSF_IdEEEESM_EEEEEPS7_SP_SP_NSC_11hip_rocprim7__merge17predicate_wrapperIddNSC_4lessIdEEEEEE10hipError_tPvRmT0_T1_T2_T3_T4_T5_mmT6_P12ihipStream_tbEUlT_E0_NS1_11comp_targetILNS1_3genE0ELNS1_11target_archE4294967295ELNS1_3gpuE0ELNS1_3repE0EEENS1_30default_config_static_selectorELNS0_4arch9wavefront6targetE0EEEvS10_,comdat
.Lfunc_end10:
	.size	_ZN7rocprim17ROCPRIM_400000_NS6detail17trampoline_kernelINS0_14default_configENS1_21merge_config_selectorINS0_5tupleIJddEEENS0_10empty_typeEEEZNS1_10merge_implIS3_NS0_12zip_iteratorINS5_IJN6thrust23THRUST_200600_302600_NS6detail15normal_iteratorINSC_10device_ptrIKdEEEESI_EEEEESK_NSA_INS5_IJNSE_INSF_IdEEEESM_EEEEEPS7_SP_SP_NSC_11hip_rocprim7__merge17predicate_wrapperIddNSC_4lessIdEEEEEE10hipError_tPvRmT0_T1_T2_T3_T4_T5_mmT6_P12ihipStream_tbEUlT_E0_NS1_11comp_targetILNS1_3genE0ELNS1_11target_archE4294967295ELNS1_3gpuE0ELNS1_3repE0EEENS1_30default_config_static_selectorELNS0_4arch9wavefront6targetE0EEEvS10_, .Lfunc_end10-_ZN7rocprim17ROCPRIM_400000_NS6detail17trampoline_kernelINS0_14default_configENS1_21merge_config_selectorINS0_5tupleIJddEEENS0_10empty_typeEEEZNS1_10merge_implIS3_NS0_12zip_iteratorINS5_IJN6thrust23THRUST_200600_302600_NS6detail15normal_iteratorINSC_10device_ptrIKdEEEESI_EEEEESK_NSA_INS5_IJNSE_INSF_IdEEEESM_EEEEEPS7_SP_SP_NSC_11hip_rocprim7__merge17predicate_wrapperIddNSC_4lessIdEEEEEE10hipError_tPvRmT0_T1_T2_T3_T4_T5_mmT6_P12ihipStream_tbEUlT_E0_NS1_11comp_targetILNS1_3genE0ELNS1_11target_archE4294967295ELNS1_3gpuE0ELNS1_3repE0EEENS1_30default_config_static_selectorELNS0_4arch9wavefront6targetE0EEEvS10_
                                        ; -- End function
	.set _ZN7rocprim17ROCPRIM_400000_NS6detail17trampoline_kernelINS0_14default_configENS1_21merge_config_selectorINS0_5tupleIJddEEENS0_10empty_typeEEEZNS1_10merge_implIS3_NS0_12zip_iteratorINS5_IJN6thrust23THRUST_200600_302600_NS6detail15normal_iteratorINSC_10device_ptrIKdEEEESI_EEEEESK_NSA_INS5_IJNSE_INSF_IdEEEESM_EEEEEPS7_SP_SP_NSC_11hip_rocprim7__merge17predicate_wrapperIddNSC_4lessIdEEEEEE10hipError_tPvRmT0_T1_T2_T3_T4_T5_mmT6_P12ihipStream_tbEUlT_E0_NS1_11comp_targetILNS1_3genE0ELNS1_11target_archE4294967295ELNS1_3gpuE0ELNS1_3repE0EEENS1_30default_config_static_selectorELNS0_4arch9wavefront6targetE0EEEvS10_.num_vgpr, 0
	.set _ZN7rocprim17ROCPRIM_400000_NS6detail17trampoline_kernelINS0_14default_configENS1_21merge_config_selectorINS0_5tupleIJddEEENS0_10empty_typeEEEZNS1_10merge_implIS3_NS0_12zip_iteratorINS5_IJN6thrust23THRUST_200600_302600_NS6detail15normal_iteratorINSC_10device_ptrIKdEEEESI_EEEEESK_NSA_INS5_IJNSE_INSF_IdEEEESM_EEEEEPS7_SP_SP_NSC_11hip_rocprim7__merge17predicate_wrapperIddNSC_4lessIdEEEEEE10hipError_tPvRmT0_T1_T2_T3_T4_T5_mmT6_P12ihipStream_tbEUlT_E0_NS1_11comp_targetILNS1_3genE0ELNS1_11target_archE4294967295ELNS1_3gpuE0ELNS1_3repE0EEENS1_30default_config_static_selectorELNS0_4arch9wavefront6targetE0EEEvS10_.num_agpr, 0
	.set _ZN7rocprim17ROCPRIM_400000_NS6detail17trampoline_kernelINS0_14default_configENS1_21merge_config_selectorINS0_5tupleIJddEEENS0_10empty_typeEEEZNS1_10merge_implIS3_NS0_12zip_iteratorINS5_IJN6thrust23THRUST_200600_302600_NS6detail15normal_iteratorINSC_10device_ptrIKdEEEESI_EEEEESK_NSA_INS5_IJNSE_INSF_IdEEEESM_EEEEEPS7_SP_SP_NSC_11hip_rocprim7__merge17predicate_wrapperIddNSC_4lessIdEEEEEE10hipError_tPvRmT0_T1_T2_T3_T4_T5_mmT6_P12ihipStream_tbEUlT_E0_NS1_11comp_targetILNS1_3genE0ELNS1_11target_archE4294967295ELNS1_3gpuE0ELNS1_3repE0EEENS1_30default_config_static_selectorELNS0_4arch9wavefront6targetE0EEEvS10_.numbered_sgpr, 0
	.set _ZN7rocprim17ROCPRIM_400000_NS6detail17trampoline_kernelINS0_14default_configENS1_21merge_config_selectorINS0_5tupleIJddEEENS0_10empty_typeEEEZNS1_10merge_implIS3_NS0_12zip_iteratorINS5_IJN6thrust23THRUST_200600_302600_NS6detail15normal_iteratorINSC_10device_ptrIKdEEEESI_EEEEESK_NSA_INS5_IJNSE_INSF_IdEEEESM_EEEEEPS7_SP_SP_NSC_11hip_rocprim7__merge17predicate_wrapperIddNSC_4lessIdEEEEEE10hipError_tPvRmT0_T1_T2_T3_T4_T5_mmT6_P12ihipStream_tbEUlT_E0_NS1_11comp_targetILNS1_3genE0ELNS1_11target_archE4294967295ELNS1_3gpuE0ELNS1_3repE0EEENS1_30default_config_static_selectorELNS0_4arch9wavefront6targetE0EEEvS10_.num_named_barrier, 0
	.set _ZN7rocprim17ROCPRIM_400000_NS6detail17trampoline_kernelINS0_14default_configENS1_21merge_config_selectorINS0_5tupleIJddEEENS0_10empty_typeEEEZNS1_10merge_implIS3_NS0_12zip_iteratorINS5_IJN6thrust23THRUST_200600_302600_NS6detail15normal_iteratorINSC_10device_ptrIKdEEEESI_EEEEESK_NSA_INS5_IJNSE_INSF_IdEEEESM_EEEEEPS7_SP_SP_NSC_11hip_rocprim7__merge17predicate_wrapperIddNSC_4lessIdEEEEEE10hipError_tPvRmT0_T1_T2_T3_T4_T5_mmT6_P12ihipStream_tbEUlT_E0_NS1_11comp_targetILNS1_3genE0ELNS1_11target_archE4294967295ELNS1_3gpuE0ELNS1_3repE0EEENS1_30default_config_static_selectorELNS0_4arch9wavefront6targetE0EEEvS10_.private_seg_size, 0
	.set _ZN7rocprim17ROCPRIM_400000_NS6detail17trampoline_kernelINS0_14default_configENS1_21merge_config_selectorINS0_5tupleIJddEEENS0_10empty_typeEEEZNS1_10merge_implIS3_NS0_12zip_iteratorINS5_IJN6thrust23THRUST_200600_302600_NS6detail15normal_iteratorINSC_10device_ptrIKdEEEESI_EEEEESK_NSA_INS5_IJNSE_INSF_IdEEEESM_EEEEEPS7_SP_SP_NSC_11hip_rocprim7__merge17predicate_wrapperIddNSC_4lessIdEEEEEE10hipError_tPvRmT0_T1_T2_T3_T4_T5_mmT6_P12ihipStream_tbEUlT_E0_NS1_11comp_targetILNS1_3genE0ELNS1_11target_archE4294967295ELNS1_3gpuE0ELNS1_3repE0EEENS1_30default_config_static_selectorELNS0_4arch9wavefront6targetE0EEEvS10_.uses_vcc, 0
	.set _ZN7rocprim17ROCPRIM_400000_NS6detail17trampoline_kernelINS0_14default_configENS1_21merge_config_selectorINS0_5tupleIJddEEENS0_10empty_typeEEEZNS1_10merge_implIS3_NS0_12zip_iteratorINS5_IJN6thrust23THRUST_200600_302600_NS6detail15normal_iteratorINSC_10device_ptrIKdEEEESI_EEEEESK_NSA_INS5_IJNSE_INSF_IdEEEESM_EEEEEPS7_SP_SP_NSC_11hip_rocprim7__merge17predicate_wrapperIddNSC_4lessIdEEEEEE10hipError_tPvRmT0_T1_T2_T3_T4_T5_mmT6_P12ihipStream_tbEUlT_E0_NS1_11comp_targetILNS1_3genE0ELNS1_11target_archE4294967295ELNS1_3gpuE0ELNS1_3repE0EEENS1_30default_config_static_selectorELNS0_4arch9wavefront6targetE0EEEvS10_.uses_flat_scratch, 0
	.set _ZN7rocprim17ROCPRIM_400000_NS6detail17trampoline_kernelINS0_14default_configENS1_21merge_config_selectorINS0_5tupleIJddEEENS0_10empty_typeEEEZNS1_10merge_implIS3_NS0_12zip_iteratorINS5_IJN6thrust23THRUST_200600_302600_NS6detail15normal_iteratorINSC_10device_ptrIKdEEEESI_EEEEESK_NSA_INS5_IJNSE_INSF_IdEEEESM_EEEEEPS7_SP_SP_NSC_11hip_rocprim7__merge17predicate_wrapperIddNSC_4lessIdEEEEEE10hipError_tPvRmT0_T1_T2_T3_T4_T5_mmT6_P12ihipStream_tbEUlT_E0_NS1_11comp_targetILNS1_3genE0ELNS1_11target_archE4294967295ELNS1_3gpuE0ELNS1_3repE0EEENS1_30default_config_static_selectorELNS0_4arch9wavefront6targetE0EEEvS10_.has_dyn_sized_stack, 0
	.set _ZN7rocprim17ROCPRIM_400000_NS6detail17trampoline_kernelINS0_14default_configENS1_21merge_config_selectorINS0_5tupleIJddEEENS0_10empty_typeEEEZNS1_10merge_implIS3_NS0_12zip_iteratorINS5_IJN6thrust23THRUST_200600_302600_NS6detail15normal_iteratorINSC_10device_ptrIKdEEEESI_EEEEESK_NSA_INS5_IJNSE_INSF_IdEEEESM_EEEEEPS7_SP_SP_NSC_11hip_rocprim7__merge17predicate_wrapperIddNSC_4lessIdEEEEEE10hipError_tPvRmT0_T1_T2_T3_T4_T5_mmT6_P12ihipStream_tbEUlT_E0_NS1_11comp_targetILNS1_3genE0ELNS1_11target_archE4294967295ELNS1_3gpuE0ELNS1_3repE0EEENS1_30default_config_static_selectorELNS0_4arch9wavefront6targetE0EEEvS10_.has_recursion, 0
	.set _ZN7rocprim17ROCPRIM_400000_NS6detail17trampoline_kernelINS0_14default_configENS1_21merge_config_selectorINS0_5tupleIJddEEENS0_10empty_typeEEEZNS1_10merge_implIS3_NS0_12zip_iteratorINS5_IJN6thrust23THRUST_200600_302600_NS6detail15normal_iteratorINSC_10device_ptrIKdEEEESI_EEEEESK_NSA_INS5_IJNSE_INSF_IdEEEESM_EEEEEPS7_SP_SP_NSC_11hip_rocprim7__merge17predicate_wrapperIddNSC_4lessIdEEEEEE10hipError_tPvRmT0_T1_T2_T3_T4_T5_mmT6_P12ihipStream_tbEUlT_E0_NS1_11comp_targetILNS1_3genE0ELNS1_11target_archE4294967295ELNS1_3gpuE0ELNS1_3repE0EEENS1_30default_config_static_selectorELNS0_4arch9wavefront6targetE0EEEvS10_.has_indirect_call, 0
	.section	.AMDGPU.csdata,"",@progbits
; Kernel info:
; codeLenInByte = 0
; TotalNumSgprs: 0
; NumVgprs: 0
; ScratchSize: 0
; MemoryBound: 0
; FloatMode: 240
; IeeeMode: 1
; LDSByteSize: 0 bytes/workgroup (compile time only)
; SGPRBlocks: 0
; VGPRBlocks: 0
; NumSGPRsForWavesPerEU: 1
; NumVGPRsForWavesPerEU: 1
; Occupancy: 16
; WaveLimiterHint : 0
; COMPUTE_PGM_RSRC2:SCRATCH_EN: 0
; COMPUTE_PGM_RSRC2:USER_SGPR: 6
; COMPUTE_PGM_RSRC2:TRAP_HANDLER: 0
; COMPUTE_PGM_RSRC2:TGID_X_EN: 1
; COMPUTE_PGM_RSRC2:TGID_Y_EN: 0
; COMPUTE_PGM_RSRC2:TGID_Z_EN: 0
; COMPUTE_PGM_RSRC2:TIDIG_COMP_CNT: 0
	.section	.text._ZN7rocprim17ROCPRIM_400000_NS6detail17trampoline_kernelINS0_14default_configENS1_21merge_config_selectorINS0_5tupleIJddEEENS0_10empty_typeEEEZNS1_10merge_implIS3_NS0_12zip_iteratorINS5_IJN6thrust23THRUST_200600_302600_NS6detail15normal_iteratorINSC_10device_ptrIKdEEEESI_EEEEESK_NSA_INS5_IJNSE_INSF_IdEEEESM_EEEEEPS7_SP_SP_NSC_11hip_rocprim7__merge17predicate_wrapperIddNSC_4lessIdEEEEEE10hipError_tPvRmT0_T1_T2_T3_T4_T5_mmT6_P12ihipStream_tbEUlT_E0_NS1_11comp_targetILNS1_3genE5ELNS1_11target_archE942ELNS1_3gpuE9ELNS1_3repE0EEENS1_30default_config_static_selectorELNS0_4arch9wavefront6targetE0EEEvS10_,"axG",@progbits,_ZN7rocprim17ROCPRIM_400000_NS6detail17trampoline_kernelINS0_14default_configENS1_21merge_config_selectorINS0_5tupleIJddEEENS0_10empty_typeEEEZNS1_10merge_implIS3_NS0_12zip_iteratorINS5_IJN6thrust23THRUST_200600_302600_NS6detail15normal_iteratorINSC_10device_ptrIKdEEEESI_EEEEESK_NSA_INS5_IJNSE_INSF_IdEEEESM_EEEEEPS7_SP_SP_NSC_11hip_rocprim7__merge17predicate_wrapperIddNSC_4lessIdEEEEEE10hipError_tPvRmT0_T1_T2_T3_T4_T5_mmT6_P12ihipStream_tbEUlT_E0_NS1_11comp_targetILNS1_3genE5ELNS1_11target_archE942ELNS1_3gpuE9ELNS1_3repE0EEENS1_30default_config_static_selectorELNS0_4arch9wavefront6targetE0EEEvS10_,comdat
	.protected	_ZN7rocprim17ROCPRIM_400000_NS6detail17trampoline_kernelINS0_14default_configENS1_21merge_config_selectorINS0_5tupleIJddEEENS0_10empty_typeEEEZNS1_10merge_implIS3_NS0_12zip_iteratorINS5_IJN6thrust23THRUST_200600_302600_NS6detail15normal_iteratorINSC_10device_ptrIKdEEEESI_EEEEESK_NSA_INS5_IJNSE_INSF_IdEEEESM_EEEEEPS7_SP_SP_NSC_11hip_rocprim7__merge17predicate_wrapperIddNSC_4lessIdEEEEEE10hipError_tPvRmT0_T1_T2_T3_T4_T5_mmT6_P12ihipStream_tbEUlT_E0_NS1_11comp_targetILNS1_3genE5ELNS1_11target_archE942ELNS1_3gpuE9ELNS1_3repE0EEENS1_30default_config_static_selectorELNS0_4arch9wavefront6targetE0EEEvS10_ ; -- Begin function _ZN7rocprim17ROCPRIM_400000_NS6detail17trampoline_kernelINS0_14default_configENS1_21merge_config_selectorINS0_5tupleIJddEEENS0_10empty_typeEEEZNS1_10merge_implIS3_NS0_12zip_iteratorINS5_IJN6thrust23THRUST_200600_302600_NS6detail15normal_iteratorINSC_10device_ptrIKdEEEESI_EEEEESK_NSA_INS5_IJNSE_INSF_IdEEEESM_EEEEEPS7_SP_SP_NSC_11hip_rocprim7__merge17predicate_wrapperIddNSC_4lessIdEEEEEE10hipError_tPvRmT0_T1_T2_T3_T4_T5_mmT6_P12ihipStream_tbEUlT_E0_NS1_11comp_targetILNS1_3genE5ELNS1_11target_archE942ELNS1_3gpuE9ELNS1_3repE0EEENS1_30default_config_static_selectorELNS0_4arch9wavefront6targetE0EEEvS10_
	.globl	_ZN7rocprim17ROCPRIM_400000_NS6detail17trampoline_kernelINS0_14default_configENS1_21merge_config_selectorINS0_5tupleIJddEEENS0_10empty_typeEEEZNS1_10merge_implIS3_NS0_12zip_iteratorINS5_IJN6thrust23THRUST_200600_302600_NS6detail15normal_iteratorINSC_10device_ptrIKdEEEESI_EEEEESK_NSA_INS5_IJNSE_INSF_IdEEEESM_EEEEEPS7_SP_SP_NSC_11hip_rocprim7__merge17predicate_wrapperIddNSC_4lessIdEEEEEE10hipError_tPvRmT0_T1_T2_T3_T4_T5_mmT6_P12ihipStream_tbEUlT_E0_NS1_11comp_targetILNS1_3genE5ELNS1_11target_archE942ELNS1_3gpuE9ELNS1_3repE0EEENS1_30default_config_static_selectorELNS0_4arch9wavefront6targetE0EEEvS10_
	.p2align	8
	.type	_ZN7rocprim17ROCPRIM_400000_NS6detail17trampoline_kernelINS0_14default_configENS1_21merge_config_selectorINS0_5tupleIJddEEENS0_10empty_typeEEEZNS1_10merge_implIS3_NS0_12zip_iteratorINS5_IJN6thrust23THRUST_200600_302600_NS6detail15normal_iteratorINSC_10device_ptrIKdEEEESI_EEEEESK_NSA_INS5_IJNSE_INSF_IdEEEESM_EEEEEPS7_SP_SP_NSC_11hip_rocprim7__merge17predicate_wrapperIddNSC_4lessIdEEEEEE10hipError_tPvRmT0_T1_T2_T3_T4_T5_mmT6_P12ihipStream_tbEUlT_E0_NS1_11comp_targetILNS1_3genE5ELNS1_11target_archE942ELNS1_3gpuE9ELNS1_3repE0EEENS1_30default_config_static_selectorELNS0_4arch9wavefront6targetE0EEEvS10_,@function
_ZN7rocprim17ROCPRIM_400000_NS6detail17trampoline_kernelINS0_14default_configENS1_21merge_config_selectorINS0_5tupleIJddEEENS0_10empty_typeEEEZNS1_10merge_implIS3_NS0_12zip_iteratorINS5_IJN6thrust23THRUST_200600_302600_NS6detail15normal_iteratorINSC_10device_ptrIKdEEEESI_EEEEESK_NSA_INS5_IJNSE_INSF_IdEEEESM_EEEEEPS7_SP_SP_NSC_11hip_rocprim7__merge17predicate_wrapperIddNSC_4lessIdEEEEEE10hipError_tPvRmT0_T1_T2_T3_T4_T5_mmT6_P12ihipStream_tbEUlT_E0_NS1_11comp_targetILNS1_3genE5ELNS1_11target_archE942ELNS1_3gpuE9ELNS1_3repE0EEENS1_30default_config_static_selectorELNS0_4arch9wavefront6targetE0EEEvS10_: ; @_ZN7rocprim17ROCPRIM_400000_NS6detail17trampoline_kernelINS0_14default_configENS1_21merge_config_selectorINS0_5tupleIJddEEENS0_10empty_typeEEEZNS1_10merge_implIS3_NS0_12zip_iteratorINS5_IJN6thrust23THRUST_200600_302600_NS6detail15normal_iteratorINSC_10device_ptrIKdEEEESI_EEEEESK_NSA_INS5_IJNSE_INSF_IdEEEESM_EEEEEPS7_SP_SP_NSC_11hip_rocprim7__merge17predicate_wrapperIddNSC_4lessIdEEEEEE10hipError_tPvRmT0_T1_T2_T3_T4_T5_mmT6_P12ihipStream_tbEUlT_E0_NS1_11comp_targetILNS1_3genE5ELNS1_11target_archE942ELNS1_3gpuE9ELNS1_3repE0EEENS1_30default_config_static_selectorELNS0_4arch9wavefront6targetE0EEEvS10_
; %bb.0:
	.section	.rodata,"a",@progbits
	.p2align	6, 0x0
	.amdhsa_kernel _ZN7rocprim17ROCPRIM_400000_NS6detail17trampoline_kernelINS0_14default_configENS1_21merge_config_selectorINS0_5tupleIJddEEENS0_10empty_typeEEEZNS1_10merge_implIS3_NS0_12zip_iteratorINS5_IJN6thrust23THRUST_200600_302600_NS6detail15normal_iteratorINSC_10device_ptrIKdEEEESI_EEEEESK_NSA_INS5_IJNSE_INSF_IdEEEESM_EEEEEPS7_SP_SP_NSC_11hip_rocprim7__merge17predicate_wrapperIddNSC_4lessIdEEEEEE10hipError_tPvRmT0_T1_T2_T3_T4_T5_mmT6_P12ihipStream_tbEUlT_E0_NS1_11comp_targetILNS1_3genE5ELNS1_11target_archE942ELNS1_3gpuE9ELNS1_3repE0EEENS1_30default_config_static_selectorELNS0_4arch9wavefront6targetE0EEEvS10_
		.amdhsa_group_segment_fixed_size 0
		.amdhsa_private_segment_fixed_size 0
		.amdhsa_kernarg_size 112
		.amdhsa_user_sgpr_count 6
		.amdhsa_user_sgpr_private_segment_buffer 1
		.amdhsa_user_sgpr_dispatch_ptr 0
		.amdhsa_user_sgpr_queue_ptr 0
		.amdhsa_user_sgpr_kernarg_segment_ptr 1
		.amdhsa_user_sgpr_dispatch_id 0
		.amdhsa_user_sgpr_flat_scratch_init 0
		.amdhsa_user_sgpr_private_segment_size 0
		.amdhsa_wavefront_size32 1
		.amdhsa_uses_dynamic_stack 0
		.amdhsa_system_sgpr_private_segment_wavefront_offset 0
		.amdhsa_system_sgpr_workgroup_id_x 1
		.amdhsa_system_sgpr_workgroup_id_y 0
		.amdhsa_system_sgpr_workgroup_id_z 0
		.amdhsa_system_sgpr_workgroup_info 0
		.amdhsa_system_vgpr_workitem_id 0
		.amdhsa_next_free_vgpr 1
		.amdhsa_next_free_sgpr 1
		.amdhsa_reserve_vcc 0
		.amdhsa_reserve_flat_scratch 0
		.amdhsa_float_round_mode_32 0
		.amdhsa_float_round_mode_16_64 0
		.amdhsa_float_denorm_mode_32 3
		.amdhsa_float_denorm_mode_16_64 3
		.amdhsa_dx10_clamp 1
		.amdhsa_ieee_mode 1
		.amdhsa_fp16_overflow 0
		.amdhsa_workgroup_processor_mode 1
		.amdhsa_memory_ordered 1
		.amdhsa_forward_progress 1
		.amdhsa_shared_vgpr_count 0
		.amdhsa_exception_fp_ieee_invalid_op 0
		.amdhsa_exception_fp_denorm_src 0
		.amdhsa_exception_fp_ieee_div_zero 0
		.amdhsa_exception_fp_ieee_overflow 0
		.amdhsa_exception_fp_ieee_underflow 0
		.amdhsa_exception_fp_ieee_inexact 0
		.amdhsa_exception_int_div_zero 0
	.end_amdhsa_kernel
	.section	.text._ZN7rocprim17ROCPRIM_400000_NS6detail17trampoline_kernelINS0_14default_configENS1_21merge_config_selectorINS0_5tupleIJddEEENS0_10empty_typeEEEZNS1_10merge_implIS3_NS0_12zip_iteratorINS5_IJN6thrust23THRUST_200600_302600_NS6detail15normal_iteratorINSC_10device_ptrIKdEEEESI_EEEEESK_NSA_INS5_IJNSE_INSF_IdEEEESM_EEEEEPS7_SP_SP_NSC_11hip_rocprim7__merge17predicate_wrapperIddNSC_4lessIdEEEEEE10hipError_tPvRmT0_T1_T2_T3_T4_T5_mmT6_P12ihipStream_tbEUlT_E0_NS1_11comp_targetILNS1_3genE5ELNS1_11target_archE942ELNS1_3gpuE9ELNS1_3repE0EEENS1_30default_config_static_selectorELNS0_4arch9wavefront6targetE0EEEvS10_,"axG",@progbits,_ZN7rocprim17ROCPRIM_400000_NS6detail17trampoline_kernelINS0_14default_configENS1_21merge_config_selectorINS0_5tupleIJddEEENS0_10empty_typeEEEZNS1_10merge_implIS3_NS0_12zip_iteratorINS5_IJN6thrust23THRUST_200600_302600_NS6detail15normal_iteratorINSC_10device_ptrIKdEEEESI_EEEEESK_NSA_INS5_IJNSE_INSF_IdEEEESM_EEEEEPS7_SP_SP_NSC_11hip_rocprim7__merge17predicate_wrapperIddNSC_4lessIdEEEEEE10hipError_tPvRmT0_T1_T2_T3_T4_T5_mmT6_P12ihipStream_tbEUlT_E0_NS1_11comp_targetILNS1_3genE5ELNS1_11target_archE942ELNS1_3gpuE9ELNS1_3repE0EEENS1_30default_config_static_selectorELNS0_4arch9wavefront6targetE0EEEvS10_,comdat
.Lfunc_end11:
	.size	_ZN7rocprim17ROCPRIM_400000_NS6detail17trampoline_kernelINS0_14default_configENS1_21merge_config_selectorINS0_5tupleIJddEEENS0_10empty_typeEEEZNS1_10merge_implIS3_NS0_12zip_iteratorINS5_IJN6thrust23THRUST_200600_302600_NS6detail15normal_iteratorINSC_10device_ptrIKdEEEESI_EEEEESK_NSA_INS5_IJNSE_INSF_IdEEEESM_EEEEEPS7_SP_SP_NSC_11hip_rocprim7__merge17predicate_wrapperIddNSC_4lessIdEEEEEE10hipError_tPvRmT0_T1_T2_T3_T4_T5_mmT6_P12ihipStream_tbEUlT_E0_NS1_11comp_targetILNS1_3genE5ELNS1_11target_archE942ELNS1_3gpuE9ELNS1_3repE0EEENS1_30default_config_static_selectorELNS0_4arch9wavefront6targetE0EEEvS10_, .Lfunc_end11-_ZN7rocprim17ROCPRIM_400000_NS6detail17trampoline_kernelINS0_14default_configENS1_21merge_config_selectorINS0_5tupleIJddEEENS0_10empty_typeEEEZNS1_10merge_implIS3_NS0_12zip_iteratorINS5_IJN6thrust23THRUST_200600_302600_NS6detail15normal_iteratorINSC_10device_ptrIKdEEEESI_EEEEESK_NSA_INS5_IJNSE_INSF_IdEEEESM_EEEEEPS7_SP_SP_NSC_11hip_rocprim7__merge17predicate_wrapperIddNSC_4lessIdEEEEEE10hipError_tPvRmT0_T1_T2_T3_T4_T5_mmT6_P12ihipStream_tbEUlT_E0_NS1_11comp_targetILNS1_3genE5ELNS1_11target_archE942ELNS1_3gpuE9ELNS1_3repE0EEENS1_30default_config_static_selectorELNS0_4arch9wavefront6targetE0EEEvS10_
                                        ; -- End function
	.set _ZN7rocprim17ROCPRIM_400000_NS6detail17trampoline_kernelINS0_14default_configENS1_21merge_config_selectorINS0_5tupleIJddEEENS0_10empty_typeEEEZNS1_10merge_implIS3_NS0_12zip_iteratorINS5_IJN6thrust23THRUST_200600_302600_NS6detail15normal_iteratorINSC_10device_ptrIKdEEEESI_EEEEESK_NSA_INS5_IJNSE_INSF_IdEEEESM_EEEEEPS7_SP_SP_NSC_11hip_rocprim7__merge17predicate_wrapperIddNSC_4lessIdEEEEEE10hipError_tPvRmT0_T1_T2_T3_T4_T5_mmT6_P12ihipStream_tbEUlT_E0_NS1_11comp_targetILNS1_3genE5ELNS1_11target_archE942ELNS1_3gpuE9ELNS1_3repE0EEENS1_30default_config_static_selectorELNS0_4arch9wavefront6targetE0EEEvS10_.num_vgpr, 0
	.set _ZN7rocprim17ROCPRIM_400000_NS6detail17trampoline_kernelINS0_14default_configENS1_21merge_config_selectorINS0_5tupleIJddEEENS0_10empty_typeEEEZNS1_10merge_implIS3_NS0_12zip_iteratorINS5_IJN6thrust23THRUST_200600_302600_NS6detail15normal_iteratorINSC_10device_ptrIKdEEEESI_EEEEESK_NSA_INS5_IJNSE_INSF_IdEEEESM_EEEEEPS7_SP_SP_NSC_11hip_rocprim7__merge17predicate_wrapperIddNSC_4lessIdEEEEEE10hipError_tPvRmT0_T1_T2_T3_T4_T5_mmT6_P12ihipStream_tbEUlT_E0_NS1_11comp_targetILNS1_3genE5ELNS1_11target_archE942ELNS1_3gpuE9ELNS1_3repE0EEENS1_30default_config_static_selectorELNS0_4arch9wavefront6targetE0EEEvS10_.num_agpr, 0
	.set _ZN7rocprim17ROCPRIM_400000_NS6detail17trampoline_kernelINS0_14default_configENS1_21merge_config_selectorINS0_5tupleIJddEEENS0_10empty_typeEEEZNS1_10merge_implIS3_NS0_12zip_iteratorINS5_IJN6thrust23THRUST_200600_302600_NS6detail15normal_iteratorINSC_10device_ptrIKdEEEESI_EEEEESK_NSA_INS5_IJNSE_INSF_IdEEEESM_EEEEEPS7_SP_SP_NSC_11hip_rocprim7__merge17predicate_wrapperIddNSC_4lessIdEEEEEE10hipError_tPvRmT0_T1_T2_T3_T4_T5_mmT6_P12ihipStream_tbEUlT_E0_NS1_11comp_targetILNS1_3genE5ELNS1_11target_archE942ELNS1_3gpuE9ELNS1_3repE0EEENS1_30default_config_static_selectorELNS0_4arch9wavefront6targetE0EEEvS10_.numbered_sgpr, 0
	.set _ZN7rocprim17ROCPRIM_400000_NS6detail17trampoline_kernelINS0_14default_configENS1_21merge_config_selectorINS0_5tupleIJddEEENS0_10empty_typeEEEZNS1_10merge_implIS3_NS0_12zip_iteratorINS5_IJN6thrust23THRUST_200600_302600_NS6detail15normal_iteratorINSC_10device_ptrIKdEEEESI_EEEEESK_NSA_INS5_IJNSE_INSF_IdEEEESM_EEEEEPS7_SP_SP_NSC_11hip_rocprim7__merge17predicate_wrapperIddNSC_4lessIdEEEEEE10hipError_tPvRmT0_T1_T2_T3_T4_T5_mmT6_P12ihipStream_tbEUlT_E0_NS1_11comp_targetILNS1_3genE5ELNS1_11target_archE942ELNS1_3gpuE9ELNS1_3repE0EEENS1_30default_config_static_selectorELNS0_4arch9wavefront6targetE0EEEvS10_.num_named_barrier, 0
	.set _ZN7rocprim17ROCPRIM_400000_NS6detail17trampoline_kernelINS0_14default_configENS1_21merge_config_selectorINS0_5tupleIJddEEENS0_10empty_typeEEEZNS1_10merge_implIS3_NS0_12zip_iteratorINS5_IJN6thrust23THRUST_200600_302600_NS6detail15normal_iteratorINSC_10device_ptrIKdEEEESI_EEEEESK_NSA_INS5_IJNSE_INSF_IdEEEESM_EEEEEPS7_SP_SP_NSC_11hip_rocprim7__merge17predicate_wrapperIddNSC_4lessIdEEEEEE10hipError_tPvRmT0_T1_T2_T3_T4_T5_mmT6_P12ihipStream_tbEUlT_E0_NS1_11comp_targetILNS1_3genE5ELNS1_11target_archE942ELNS1_3gpuE9ELNS1_3repE0EEENS1_30default_config_static_selectorELNS0_4arch9wavefront6targetE0EEEvS10_.private_seg_size, 0
	.set _ZN7rocprim17ROCPRIM_400000_NS6detail17trampoline_kernelINS0_14default_configENS1_21merge_config_selectorINS0_5tupleIJddEEENS0_10empty_typeEEEZNS1_10merge_implIS3_NS0_12zip_iteratorINS5_IJN6thrust23THRUST_200600_302600_NS6detail15normal_iteratorINSC_10device_ptrIKdEEEESI_EEEEESK_NSA_INS5_IJNSE_INSF_IdEEEESM_EEEEEPS7_SP_SP_NSC_11hip_rocprim7__merge17predicate_wrapperIddNSC_4lessIdEEEEEE10hipError_tPvRmT0_T1_T2_T3_T4_T5_mmT6_P12ihipStream_tbEUlT_E0_NS1_11comp_targetILNS1_3genE5ELNS1_11target_archE942ELNS1_3gpuE9ELNS1_3repE0EEENS1_30default_config_static_selectorELNS0_4arch9wavefront6targetE0EEEvS10_.uses_vcc, 0
	.set _ZN7rocprim17ROCPRIM_400000_NS6detail17trampoline_kernelINS0_14default_configENS1_21merge_config_selectorINS0_5tupleIJddEEENS0_10empty_typeEEEZNS1_10merge_implIS3_NS0_12zip_iteratorINS5_IJN6thrust23THRUST_200600_302600_NS6detail15normal_iteratorINSC_10device_ptrIKdEEEESI_EEEEESK_NSA_INS5_IJNSE_INSF_IdEEEESM_EEEEEPS7_SP_SP_NSC_11hip_rocprim7__merge17predicate_wrapperIddNSC_4lessIdEEEEEE10hipError_tPvRmT0_T1_T2_T3_T4_T5_mmT6_P12ihipStream_tbEUlT_E0_NS1_11comp_targetILNS1_3genE5ELNS1_11target_archE942ELNS1_3gpuE9ELNS1_3repE0EEENS1_30default_config_static_selectorELNS0_4arch9wavefront6targetE0EEEvS10_.uses_flat_scratch, 0
	.set _ZN7rocprim17ROCPRIM_400000_NS6detail17trampoline_kernelINS0_14default_configENS1_21merge_config_selectorINS0_5tupleIJddEEENS0_10empty_typeEEEZNS1_10merge_implIS3_NS0_12zip_iteratorINS5_IJN6thrust23THRUST_200600_302600_NS6detail15normal_iteratorINSC_10device_ptrIKdEEEESI_EEEEESK_NSA_INS5_IJNSE_INSF_IdEEEESM_EEEEEPS7_SP_SP_NSC_11hip_rocprim7__merge17predicate_wrapperIddNSC_4lessIdEEEEEE10hipError_tPvRmT0_T1_T2_T3_T4_T5_mmT6_P12ihipStream_tbEUlT_E0_NS1_11comp_targetILNS1_3genE5ELNS1_11target_archE942ELNS1_3gpuE9ELNS1_3repE0EEENS1_30default_config_static_selectorELNS0_4arch9wavefront6targetE0EEEvS10_.has_dyn_sized_stack, 0
	.set _ZN7rocprim17ROCPRIM_400000_NS6detail17trampoline_kernelINS0_14default_configENS1_21merge_config_selectorINS0_5tupleIJddEEENS0_10empty_typeEEEZNS1_10merge_implIS3_NS0_12zip_iteratorINS5_IJN6thrust23THRUST_200600_302600_NS6detail15normal_iteratorINSC_10device_ptrIKdEEEESI_EEEEESK_NSA_INS5_IJNSE_INSF_IdEEEESM_EEEEEPS7_SP_SP_NSC_11hip_rocprim7__merge17predicate_wrapperIddNSC_4lessIdEEEEEE10hipError_tPvRmT0_T1_T2_T3_T4_T5_mmT6_P12ihipStream_tbEUlT_E0_NS1_11comp_targetILNS1_3genE5ELNS1_11target_archE942ELNS1_3gpuE9ELNS1_3repE0EEENS1_30default_config_static_selectorELNS0_4arch9wavefront6targetE0EEEvS10_.has_recursion, 0
	.set _ZN7rocprim17ROCPRIM_400000_NS6detail17trampoline_kernelINS0_14default_configENS1_21merge_config_selectorINS0_5tupleIJddEEENS0_10empty_typeEEEZNS1_10merge_implIS3_NS0_12zip_iteratorINS5_IJN6thrust23THRUST_200600_302600_NS6detail15normal_iteratorINSC_10device_ptrIKdEEEESI_EEEEESK_NSA_INS5_IJNSE_INSF_IdEEEESM_EEEEEPS7_SP_SP_NSC_11hip_rocprim7__merge17predicate_wrapperIddNSC_4lessIdEEEEEE10hipError_tPvRmT0_T1_T2_T3_T4_T5_mmT6_P12ihipStream_tbEUlT_E0_NS1_11comp_targetILNS1_3genE5ELNS1_11target_archE942ELNS1_3gpuE9ELNS1_3repE0EEENS1_30default_config_static_selectorELNS0_4arch9wavefront6targetE0EEEvS10_.has_indirect_call, 0
	.section	.AMDGPU.csdata,"",@progbits
; Kernel info:
; codeLenInByte = 0
; TotalNumSgprs: 0
; NumVgprs: 0
; ScratchSize: 0
; MemoryBound: 0
; FloatMode: 240
; IeeeMode: 1
; LDSByteSize: 0 bytes/workgroup (compile time only)
; SGPRBlocks: 0
; VGPRBlocks: 0
; NumSGPRsForWavesPerEU: 1
; NumVGPRsForWavesPerEU: 1
; Occupancy: 16
; WaveLimiterHint : 0
; COMPUTE_PGM_RSRC2:SCRATCH_EN: 0
; COMPUTE_PGM_RSRC2:USER_SGPR: 6
; COMPUTE_PGM_RSRC2:TRAP_HANDLER: 0
; COMPUTE_PGM_RSRC2:TGID_X_EN: 1
; COMPUTE_PGM_RSRC2:TGID_Y_EN: 0
; COMPUTE_PGM_RSRC2:TGID_Z_EN: 0
; COMPUTE_PGM_RSRC2:TIDIG_COMP_CNT: 0
	.section	.text._ZN7rocprim17ROCPRIM_400000_NS6detail17trampoline_kernelINS0_14default_configENS1_21merge_config_selectorINS0_5tupleIJddEEENS0_10empty_typeEEEZNS1_10merge_implIS3_NS0_12zip_iteratorINS5_IJN6thrust23THRUST_200600_302600_NS6detail15normal_iteratorINSC_10device_ptrIKdEEEESI_EEEEESK_NSA_INS5_IJNSE_INSF_IdEEEESM_EEEEEPS7_SP_SP_NSC_11hip_rocprim7__merge17predicate_wrapperIddNSC_4lessIdEEEEEE10hipError_tPvRmT0_T1_T2_T3_T4_T5_mmT6_P12ihipStream_tbEUlT_E0_NS1_11comp_targetILNS1_3genE4ELNS1_11target_archE910ELNS1_3gpuE8ELNS1_3repE0EEENS1_30default_config_static_selectorELNS0_4arch9wavefront6targetE0EEEvS10_,"axG",@progbits,_ZN7rocprim17ROCPRIM_400000_NS6detail17trampoline_kernelINS0_14default_configENS1_21merge_config_selectorINS0_5tupleIJddEEENS0_10empty_typeEEEZNS1_10merge_implIS3_NS0_12zip_iteratorINS5_IJN6thrust23THRUST_200600_302600_NS6detail15normal_iteratorINSC_10device_ptrIKdEEEESI_EEEEESK_NSA_INS5_IJNSE_INSF_IdEEEESM_EEEEEPS7_SP_SP_NSC_11hip_rocprim7__merge17predicate_wrapperIddNSC_4lessIdEEEEEE10hipError_tPvRmT0_T1_T2_T3_T4_T5_mmT6_P12ihipStream_tbEUlT_E0_NS1_11comp_targetILNS1_3genE4ELNS1_11target_archE910ELNS1_3gpuE8ELNS1_3repE0EEENS1_30default_config_static_selectorELNS0_4arch9wavefront6targetE0EEEvS10_,comdat
	.protected	_ZN7rocprim17ROCPRIM_400000_NS6detail17trampoline_kernelINS0_14default_configENS1_21merge_config_selectorINS0_5tupleIJddEEENS0_10empty_typeEEEZNS1_10merge_implIS3_NS0_12zip_iteratorINS5_IJN6thrust23THRUST_200600_302600_NS6detail15normal_iteratorINSC_10device_ptrIKdEEEESI_EEEEESK_NSA_INS5_IJNSE_INSF_IdEEEESM_EEEEEPS7_SP_SP_NSC_11hip_rocprim7__merge17predicate_wrapperIddNSC_4lessIdEEEEEE10hipError_tPvRmT0_T1_T2_T3_T4_T5_mmT6_P12ihipStream_tbEUlT_E0_NS1_11comp_targetILNS1_3genE4ELNS1_11target_archE910ELNS1_3gpuE8ELNS1_3repE0EEENS1_30default_config_static_selectorELNS0_4arch9wavefront6targetE0EEEvS10_ ; -- Begin function _ZN7rocprim17ROCPRIM_400000_NS6detail17trampoline_kernelINS0_14default_configENS1_21merge_config_selectorINS0_5tupleIJddEEENS0_10empty_typeEEEZNS1_10merge_implIS3_NS0_12zip_iteratorINS5_IJN6thrust23THRUST_200600_302600_NS6detail15normal_iteratorINSC_10device_ptrIKdEEEESI_EEEEESK_NSA_INS5_IJNSE_INSF_IdEEEESM_EEEEEPS7_SP_SP_NSC_11hip_rocprim7__merge17predicate_wrapperIddNSC_4lessIdEEEEEE10hipError_tPvRmT0_T1_T2_T3_T4_T5_mmT6_P12ihipStream_tbEUlT_E0_NS1_11comp_targetILNS1_3genE4ELNS1_11target_archE910ELNS1_3gpuE8ELNS1_3repE0EEENS1_30default_config_static_selectorELNS0_4arch9wavefront6targetE0EEEvS10_
	.globl	_ZN7rocprim17ROCPRIM_400000_NS6detail17trampoline_kernelINS0_14default_configENS1_21merge_config_selectorINS0_5tupleIJddEEENS0_10empty_typeEEEZNS1_10merge_implIS3_NS0_12zip_iteratorINS5_IJN6thrust23THRUST_200600_302600_NS6detail15normal_iteratorINSC_10device_ptrIKdEEEESI_EEEEESK_NSA_INS5_IJNSE_INSF_IdEEEESM_EEEEEPS7_SP_SP_NSC_11hip_rocprim7__merge17predicate_wrapperIddNSC_4lessIdEEEEEE10hipError_tPvRmT0_T1_T2_T3_T4_T5_mmT6_P12ihipStream_tbEUlT_E0_NS1_11comp_targetILNS1_3genE4ELNS1_11target_archE910ELNS1_3gpuE8ELNS1_3repE0EEENS1_30default_config_static_selectorELNS0_4arch9wavefront6targetE0EEEvS10_
	.p2align	8
	.type	_ZN7rocprim17ROCPRIM_400000_NS6detail17trampoline_kernelINS0_14default_configENS1_21merge_config_selectorINS0_5tupleIJddEEENS0_10empty_typeEEEZNS1_10merge_implIS3_NS0_12zip_iteratorINS5_IJN6thrust23THRUST_200600_302600_NS6detail15normal_iteratorINSC_10device_ptrIKdEEEESI_EEEEESK_NSA_INS5_IJNSE_INSF_IdEEEESM_EEEEEPS7_SP_SP_NSC_11hip_rocprim7__merge17predicate_wrapperIddNSC_4lessIdEEEEEE10hipError_tPvRmT0_T1_T2_T3_T4_T5_mmT6_P12ihipStream_tbEUlT_E0_NS1_11comp_targetILNS1_3genE4ELNS1_11target_archE910ELNS1_3gpuE8ELNS1_3repE0EEENS1_30default_config_static_selectorELNS0_4arch9wavefront6targetE0EEEvS10_,@function
_ZN7rocprim17ROCPRIM_400000_NS6detail17trampoline_kernelINS0_14default_configENS1_21merge_config_selectorINS0_5tupleIJddEEENS0_10empty_typeEEEZNS1_10merge_implIS3_NS0_12zip_iteratorINS5_IJN6thrust23THRUST_200600_302600_NS6detail15normal_iteratorINSC_10device_ptrIKdEEEESI_EEEEESK_NSA_INS5_IJNSE_INSF_IdEEEESM_EEEEEPS7_SP_SP_NSC_11hip_rocprim7__merge17predicate_wrapperIddNSC_4lessIdEEEEEE10hipError_tPvRmT0_T1_T2_T3_T4_T5_mmT6_P12ihipStream_tbEUlT_E0_NS1_11comp_targetILNS1_3genE4ELNS1_11target_archE910ELNS1_3gpuE8ELNS1_3repE0EEENS1_30default_config_static_selectorELNS0_4arch9wavefront6targetE0EEEvS10_: ; @_ZN7rocprim17ROCPRIM_400000_NS6detail17trampoline_kernelINS0_14default_configENS1_21merge_config_selectorINS0_5tupleIJddEEENS0_10empty_typeEEEZNS1_10merge_implIS3_NS0_12zip_iteratorINS5_IJN6thrust23THRUST_200600_302600_NS6detail15normal_iteratorINSC_10device_ptrIKdEEEESI_EEEEESK_NSA_INS5_IJNSE_INSF_IdEEEESM_EEEEEPS7_SP_SP_NSC_11hip_rocprim7__merge17predicate_wrapperIddNSC_4lessIdEEEEEE10hipError_tPvRmT0_T1_T2_T3_T4_T5_mmT6_P12ihipStream_tbEUlT_E0_NS1_11comp_targetILNS1_3genE4ELNS1_11target_archE910ELNS1_3gpuE8ELNS1_3repE0EEENS1_30default_config_static_selectorELNS0_4arch9wavefront6targetE0EEEvS10_
; %bb.0:
	.section	.rodata,"a",@progbits
	.p2align	6, 0x0
	.amdhsa_kernel _ZN7rocprim17ROCPRIM_400000_NS6detail17trampoline_kernelINS0_14default_configENS1_21merge_config_selectorINS0_5tupleIJddEEENS0_10empty_typeEEEZNS1_10merge_implIS3_NS0_12zip_iteratorINS5_IJN6thrust23THRUST_200600_302600_NS6detail15normal_iteratorINSC_10device_ptrIKdEEEESI_EEEEESK_NSA_INS5_IJNSE_INSF_IdEEEESM_EEEEEPS7_SP_SP_NSC_11hip_rocprim7__merge17predicate_wrapperIddNSC_4lessIdEEEEEE10hipError_tPvRmT0_T1_T2_T3_T4_T5_mmT6_P12ihipStream_tbEUlT_E0_NS1_11comp_targetILNS1_3genE4ELNS1_11target_archE910ELNS1_3gpuE8ELNS1_3repE0EEENS1_30default_config_static_selectorELNS0_4arch9wavefront6targetE0EEEvS10_
		.amdhsa_group_segment_fixed_size 0
		.amdhsa_private_segment_fixed_size 0
		.amdhsa_kernarg_size 112
		.amdhsa_user_sgpr_count 6
		.amdhsa_user_sgpr_private_segment_buffer 1
		.amdhsa_user_sgpr_dispatch_ptr 0
		.amdhsa_user_sgpr_queue_ptr 0
		.amdhsa_user_sgpr_kernarg_segment_ptr 1
		.amdhsa_user_sgpr_dispatch_id 0
		.amdhsa_user_sgpr_flat_scratch_init 0
		.amdhsa_user_sgpr_private_segment_size 0
		.amdhsa_wavefront_size32 1
		.amdhsa_uses_dynamic_stack 0
		.amdhsa_system_sgpr_private_segment_wavefront_offset 0
		.amdhsa_system_sgpr_workgroup_id_x 1
		.amdhsa_system_sgpr_workgroup_id_y 0
		.amdhsa_system_sgpr_workgroup_id_z 0
		.amdhsa_system_sgpr_workgroup_info 0
		.amdhsa_system_vgpr_workitem_id 0
		.amdhsa_next_free_vgpr 1
		.amdhsa_next_free_sgpr 1
		.amdhsa_reserve_vcc 0
		.amdhsa_reserve_flat_scratch 0
		.amdhsa_float_round_mode_32 0
		.amdhsa_float_round_mode_16_64 0
		.amdhsa_float_denorm_mode_32 3
		.amdhsa_float_denorm_mode_16_64 3
		.amdhsa_dx10_clamp 1
		.amdhsa_ieee_mode 1
		.amdhsa_fp16_overflow 0
		.amdhsa_workgroup_processor_mode 1
		.amdhsa_memory_ordered 1
		.amdhsa_forward_progress 1
		.amdhsa_shared_vgpr_count 0
		.amdhsa_exception_fp_ieee_invalid_op 0
		.amdhsa_exception_fp_denorm_src 0
		.amdhsa_exception_fp_ieee_div_zero 0
		.amdhsa_exception_fp_ieee_overflow 0
		.amdhsa_exception_fp_ieee_underflow 0
		.amdhsa_exception_fp_ieee_inexact 0
		.amdhsa_exception_int_div_zero 0
	.end_amdhsa_kernel
	.section	.text._ZN7rocprim17ROCPRIM_400000_NS6detail17trampoline_kernelINS0_14default_configENS1_21merge_config_selectorINS0_5tupleIJddEEENS0_10empty_typeEEEZNS1_10merge_implIS3_NS0_12zip_iteratorINS5_IJN6thrust23THRUST_200600_302600_NS6detail15normal_iteratorINSC_10device_ptrIKdEEEESI_EEEEESK_NSA_INS5_IJNSE_INSF_IdEEEESM_EEEEEPS7_SP_SP_NSC_11hip_rocprim7__merge17predicate_wrapperIddNSC_4lessIdEEEEEE10hipError_tPvRmT0_T1_T2_T3_T4_T5_mmT6_P12ihipStream_tbEUlT_E0_NS1_11comp_targetILNS1_3genE4ELNS1_11target_archE910ELNS1_3gpuE8ELNS1_3repE0EEENS1_30default_config_static_selectorELNS0_4arch9wavefront6targetE0EEEvS10_,"axG",@progbits,_ZN7rocprim17ROCPRIM_400000_NS6detail17trampoline_kernelINS0_14default_configENS1_21merge_config_selectorINS0_5tupleIJddEEENS0_10empty_typeEEEZNS1_10merge_implIS3_NS0_12zip_iteratorINS5_IJN6thrust23THRUST_200600_302600_NS6detail15normal_iteratorINSC_10device_ptrIKdEEEESI_EEEEESK_NSA_INS5_IJNSE_INSF_IdEEEESM_EEEEEPS7_SP_SP_NSC_11hip_rocprim7__merge17predicate_wrapperIddNSC_4lessIdEEEEEE10hipError_tPvRmT0_T1_T2_T3_T4_T5_mmT6_P12ihipStream_tbEUlT_E0_NS1_11comp_targetILNS1_3genE4ELNS1_11target_archE910ELNS1_3gpuE8ELNS1_3repE0EEENS1_30default_config_static_selectorELNS0_4arch9wavefront6targetE0EEEvS10_,comdat
.Lfunc_end12:
	.size	_ZN7rocprim17ROCPRIM_400000_NS6detail17trampoline_kernelINS0_14default_configENS1_21merge_config_selectorINS0_5tupleIJddEEENS0_10empty_typeEEEZNS1_10merge_implIS3_NS0_12zip_iteratorINS5_IJN6thrust23THRUST_200600_302600_NS6detail15normal_iteratorINSC_10device_ptrIKdEEEESI_EEEEESK_NSA_INS5_IJNSE_INSF_IdEEEESM_EEEEEPS7_SP_SP_NSC_11hip_rocprim7__merge17predicate_wrapperIddNSC_4lessIdEEEEEE10hipError_tPvRmT0_T1_T2_T3_T4_T5_mmT6_P12ihipStream_tbEUlT_E0_NS1_11comp_targetILNS1_3genE4ELNS1_11target_archE910ELNS1_3gpuE8ELNS1_3repE0EEENS1_30default_config_static_selectorELNS0_4arch9wavefront6targetE0EEEvS10_, .Lfunc_end12-_ZN7rocprim17ROCPRIM_400000_NS6detail17trampoline_kernelINS0_14default_configENS1_21merge_config_selectorINS0_5tupleIJddEEENS0_10empty_typeEEEZNS1_10merge_implIS3_NS0_12zip_iteratorINS5_IJN6thrust23THRUST_200600_302600_NS6detail15normal_iteratorINSC_10device_ptrIKdEEEESI_EEEEESK_NSA_INS5_IJNSE_INSF_IdEEEESM_EEEEEPS7_SP_SP_NSC_11hip_rocprim7__merge17predicate_wrapperIddNSC_4lessIdEEEEEE10hipError_tPvRmT0_T1_T2_T3_T4_T5_mmT6_P12ihipStream_tbEUlT_E0_NS1_11comp_targetILNS1_3genE4ELNS1_11target_archE910ELNS1_3gpuE8ELNS1_3repE0EEENS1_30default_config_static_selectorELNS0_4arch9wavefront6targetE0EEEvS10_
                                        ; -- End function
	.set _ZN7rocprim17ROCPRIM_400000_NS6detail17trampoline_kernelINS0_14default_configENS1_21merge_config_selectorINS0_5tupleIJddEEENS0_10empty_typeEEEZNS1_10merge_implIS3_NS0_12zip_iteratorINS5_IJN6thrust23THRUST_200600_302600_NS6detail15normal_iteratorINSC_10device_ptrIKdEEEESI_EEEEESK_NSA_INS5_IJNSE_INSF_IdEEEESM_EEEEEPS7_SP_SP_NSC_11hip_rocprim7__merge17predicate_wrapperIddNSC_4lessIdEEEEEE10hipError_tPvRmT0_T1_T2_T3_T4_T5_mmT6_P12ihipStream_tbEUlT_E0_NS1_11comp_targetILNS1_3genE4ELNS1_11target_archE910ELNS1_3gpuE8ELNS1_3repE0EEENS1_30default_config_static_selectorELNS0_4arch9wavefront6targetE0EEEvS10_.num_vgpr, 0
	.set _ZN7rocprim17ROCPRIM_400000_NS6detail17trampoline_kernelINS0_14default_configENS1_21merge_config_selectorINS0_5tupleIJddEEENS0_10empty_typeEEEZNS1_10merge_implIS3_NS0_12zip_iteratorINS5_IJN6thrust23THRUST_200600_302600_NS6detail15normal_iteratorINSC_10device_ptrIKdEEEESI_EEEEESK_NSA_INS5_IJNSE_INSF_IdEEEESM_EEEEEPS7_SP_SP_NSC_11hip_rocprim7__merge17predicate_wrapperIddNSC_4lessIdEEEEEE10hipError_tPvRmT0_T1_T2_T3_T4_T5_mmT6_P12ihipStream_tbEUlT_E0_NS1_11comp_targetILNS1_3genE4ELNS1_11target_archE910ELNS1_3gpuE8ELNS1_3repE0EEENS1_30default_config_static_selectorELNS0_4arch9wavefront6targetE0EEEvS10_.num_agpr, 0
	.set _ZN7rocprim17ROCPRIM_400000_NS6detail17trampoline_kernelINS0_14default_configENS1_21merge_config_selectorINS0_5tupleIJddEEENS0_10empty_typeEEEZNS1_10merge_implIS3_NS0_12zip_iteratorINS5_IJN6thrust23THRUST_200600_302600_NS6detail15normal_iteratorINSC_10device_ptrIKdEEEESI_EEEEESK_NSA_INS5_IJNSE_INSF_IdEEEESM_EEEEEPS7_SP_SP_NSC_11hip_rocprim7__merge17predicate_wrapperIddNSC_4lessIdEEEEEE10hipError_tPvRmT0_T1_T2_T3_T4_T5_mmT6_P12ihipStream_tbEUlT_E0_NS1_11comp_targetILNS1_3genE4ELNS1_11target_archE910ELNS1_3gpuE8ELNS1_3repE0EEENS1_30default_config_static_selectorELNS0_4arch9wavefront6targetE0EEEvS10_.numbered_sgpr, 0
	.set _ZN7rocprim17ROCPRIM_400000_NS6detail17trampoline_kernelINS0_14default_configENS1_21merge_config_selectorINS0_5tupleIJddEEENS0_10empty_typeEEEZNS1_10merge_implIS3_NS0_12zip_iteratorINS5_IJN6thrust23THRUST_200600_302600_NS6detail15normal_iteratorINSC_10device_ptrIKdEEEESI_EEEEESK_NSA_INS5_IJNSE_INSF_IdEEEESM_EEEEEPS7_SP_SP_NSC_11hip_rocprim7__merge17predicate_wrapperIddNSC_4lessIdEEEEEE10hipError_tPvRmT0_T1_T2_T3_T4_T5_mmT6_P12ihipStream_tbEUlT_E0_NS1_11comp_targetILNS1_3genE4ELNS1_11target_archE910ELNS1_3gpuE8ELNS1_3repE0EEENS1_30default_config_static_selectorELNS0_4arch9wavefront6targetE0EEEvS10_.num_named_barrier, 0
	.set _ZN7rocprim17ROCPRIM_400000_NS6detail17trampoline_kernelINS0_14default_configENS1_21merge_config_selectorINS0_5tupleIJddEEENS0_10empty_typeEEEZNS1_10merge_implIS3_NS0_12zip_iteratorINS5_IJN6thrust23THRUST_200600_302600_NS6detail15normal_iteratorINSC_10device_ptrIKdEEEESI_EEEEESK_NSA_INS5_IJNSE_INSF_IdEEEESM_EEEEEPS7_SP_SP_NSC_11hip_rocprim7__merge17predicate_wrapperIddNSC_4lessIdEEEEEE10hipError_tPvRmT0_T1_T2_T3_T4_T5_mmT6_P12ihipStream_tbEUlT_E0_NS1_11comp_targetILNS1_3genE4ELNS1_11target_archE910ELNS1_3gpuE8ELNS1_3repE0EEENS1_30default_config_static_selectorELNS0_4arch9wavefront6targetE0EEEvS10_.private_seg_size, 0
	.set _ZN7rocprim17ROCPRIM_400000_NS6detail17trampoline_kernelINS0_14default_configENS1_21merge_config_selectorINS0_5tupleIJddEEENS0_10empty_typeEEEZNS1_10merge_implIS3_NS0_12zip_iteratorINS5_IJN6thrust23THRUST_200600_302600_NS6detail15normal_iteratorINSC_10device_ptrIKdEEEESI_EEEEESK_NSA_INS5_IJNSE_INSF_IdEEEESM_EEEEEPS7_SP_SP_NSC_11hip_rocprim7__merge17predicate_wrapperIddNSC_4lessIdEEEEEE10hipError_tPvRmT0_T1_T2_T3_T4_T5_mmT6_P12ihipStream_tbEUlT_E0_NS1_11comp_targetILNS1_3genE4ELNS1_11target_archE910ELNS1_3gpuE8ELNS1_3repE0EEENS1_30default_config_static_selectorELNS0_4arch9wavefront6targetE0EEEvS10_.uses_vcc, 0
	.set _ZN7rocprim17ROCPRIM_400000_NS6detail17trampoline_kernelINS0_14default_configENS1_21merge_config_selectorINS0_5tupleIJddEEENS0_10empty_typeEEEZNS1_10merge_implIS3_NS0_12zip_iteratorINS5_IJN6thrust23THRUST_200600_302600_NS6detail15normal_iteratorINSC_10device_ptrIKdEEEESI_EEEEESK_NSA_INS5_IJNSE_INSF_IdEEEESM_EEEEEPS7_SP_SP_NSC_11hip_rocprim7__merge17predicate_wrapperIddNSC_4lessIdEEEEEE10hipError_tPvRmT0_T1_T2_T3_T4_T5_mmT6_P12ihipStream_tbEUlT_E0_NS1_11comp_targetILNS1_3genE4ELNS1_11target_archE910ELNS1_3gpuE8ELNS1_3repE0EEENS1_30default_config_static_selectorELNS0_4arch9wavefront6targetE0EEEvS10_.uses_flat_scratch, 0
	.set _ZN7rocprim17ROCPRIM_400000_NS6detail17trampoline_kernelINS0_14default_configENS1_21merge_config_selectorINS0_5tupleIJddEEENS0_10empty_typeEEEZNS1_10merge_implIS3_NS0_12zip_iteratorINS5_IJN6thrust23THRUST_200600_302600_NS6detail15normal_iteratorINSC_10device_ptrIKdEEEESI_EEEEESK_NSA_INS5_IJNSE_INSF_IdEEEESM_EEEEEPS7_SP_SP_NSC_11hip_rocprim7__merge17predicate_wrapperIddNSC_4lessIdEEEEEE10hipError_tPvRmT0_T1_T2_T3_T4_T5_mmT6_P12ihipStream_tbEUlT_E0_NS1_11comp_targetILNS1_3genE4ELNS1_11target_archE910ELNS1_3gpuE8ELNS1_3repE0EEENS1_30default_config_static_selectorELNS0_4arch9wavefront6targetE0EEEvS10_.has_dyn_sized_stack, 0
	.set _ZN7rocprim17ROCPRIM_400000_NS6detail17trampoline_kernelINS0_14default_configENS1_21merge_config_selectorINS0_5tupleIJddEEENS0_10empty_typeEEEZNS1_10merge_implIS3_NS0_12zip_iteratorINS5_IJN6thrust23THRUST_200600_302600_NS6detail15normal_iteratorINSC_10device_ptrIKdEEEESI_EEEEESK_NSA_INS5_IJNSE_INSF_IdEEEESM_EEEEEPS7_SP_SP_NSC_11hip_rocprim7__merge17predicate_wrapperIddNSC_4lessIdEEEEEE10hipError_tPvRmT0_T1_T2_T3_T4_T5_mmT6_P12ihipStream_tbEUlT_E0_NS1_11comp_targetILNS1_3genE4ELNS1_11target_archE910ELNS1_3gpuE8ELNS1_3repE0EEENS1_30default_config_static_selectorELNS0_4arch9wavefront6targetE0EEEvS10_.has_recursion, 0
	.set _ZN7rocprim17ROCPRIM_400000_NS6detail17trampoline_kernelINS0_14default_configENS1_21merge_config_selectorINS0_5tupleIJddEEENS0_10empty_typeEEEZNS1_10merge_implIS3_NS0_12zip_iteratorINS5_IJN6thrust23THRUST_200600_302600_NS6detail15normal_iteratorINSC_10device_ptrIKdEEEESI_EEEEESK_NSA_INS5_IJNSE_INSF_IdEEEESM_EEEEEPS7_SP_SP_NSC_11hip_rocprim7__merge17predicate_wrapperIddNSC_4lessIdEEEEEE10hipError_tPvRmT0_T1_T2_T3_T4_T5_mmT6_P12ihipStream_tbEUlT_E0_NS1_11comp_targetILNS1_3genE4ELNS1_11target_archE910ELNS1_3gpuE8ELNS1_3repE0EEENS1_30default_config_static_selectorELNS0_4arch9wavefront6targetE0EEEvS10_.has_indirect_call, 0
	.section	.AMDGPU.csdata,"",@progbits
; Kernel info:
; codeLenInByte = 0
; TotalNumSgprs: 0
; NumVgprs: 0
; ScratchSize: 0
; MemoryBound: 0
; FloatMode: 240
; IeeeMode: 1
; LDSByteSize: 0 bytes/workgroup (compile time only)
; SGPRBlocks: 0
; VGPRBlocks: 0
; NumSGPRsForWavesPerEU: 1
; NumVGPRsForWavesPerEU: 1
; Occupancy: 16
; WaveLimiterHint : 0
; COMPUTE_PGM_RSRC2:SCRATCH_EN: 0
; COMPUTE_PGM_RSRC2:USER_SGPR: 6
; COMPUTE_PGM_RSRC2:TRAP_HANDLER: 0
; COMPUTE_PGM_RSRC2:TGID_X_EN: 1
; COMPUTE_PGM_RSRC2:TGID_Y_EN: 0
; COMPUTE_PGM_RSRC2:TGID_Z_EN: 0
; COMPUTE_PGM_RSRC2:TIDIG_COMP_CNT: 0
	.section	.text._ZN7rocprim17ROCPRIM_400000_NS6detail17trampoline_kernelINS0_14default_configENS1_21merge_config_selectorINS0_5tupleIJddEEENS0_10empty_typeEEEZNS1_10merge_implIS3_NS0_12zip_iteratorINS5_IJN6thrust23THRUST_200600_302600_NS6detail15normal_iteratorINSC_10device_ptrIKdEEEESI_EEEEESK_NSA_INS5_IJNSE_INSF_IdEEEESM_EEEEEPS7_SP_SP_NSC_11hip_rocprim7__merge17predicate_wrapperIddNSC_4lessIdEEEEEE10hipError_tPvRmT0_T1_T2_T3_T4_T5_mmT6_P12ihipStream_tbEUlT_E0_NS1_11comp_targetILNS1_3genE3ELNS1_11target_archE908ELNS1_3gpuE7ELNS1_3repE0EEENS1_30default_config_static_selectorELNS0_4arch9wavefront6targetE0EEEvS10_,"axG",@progbits,_ZN7rocprim17ROCPRIM_400000_NS6detail17trampoline_kernelINS0_14default_configENS1_21merge_config_selectorINS0_5tupleIJddEEENS0_10empty_typeEEEZNS1_10merge_implIS3_NS0_12zip_iteratorINS5_IJN6thrust23THRUST_200600_302600_NS6detail15normal_iteratorINSC_10device_ptrIKdEEEESI_EEEEESK_NSA_INS5_IJNSE_INSF_IdEEEESM_EEEEEPS7_SP_SP_NSC_11hip_rocprim7__merge17predicate_wrapperIddNSC_4lessIdEEEEEE10hipError_tPvRmT0_T1_T2_T3_T4_T5_mmT6_P12ihipStream_tbEUlT_E0_NS1_11comp_targetILNS1_3genE3ELNS1_11target_archE908ELNS1_3gpuE7ELNS1_3repE0EEENS1_30default_config_static_selectorELNS0_4arch9wavefront6targetE0EEEvS10_,comdat
	.protected	_ZN7rocprim17ROCPRIM_400000_NS6detail17trampoline_kernelINS0_14default_configENS1_21merge_config_selectorINS0_5tupleIJddEEENS0_10empty_typeEEEZNS1_10merge_implIS3_NS0_12zip_iteratorINS5_IJN6thrust23THRUST_200600_302600_NS6detail15normal_iteratorINSC_10device_ptrIKdEEEESI_EEEEESK_NSA_INS5_IJNSE_INSF_IdEEEESM_EEEEEPS7_SP_SP_NSC_11hip_rocprim7__merge17predicate_wrapperIddNSC_4lessIdEEEEEE10hipError_tPvRmT0_T1_T2_T3_T4_T5_mmT6_P12ihipStream_tbEUlT_E0_NS1_11comp_targetILNS1_3genE3ELNS1_11target_archE908ELNS1_3gpuE7ELNS1_3repE0EEENS1_30default_config_static_selectorELNS0_4arch9wavefront6targetE0EEEvS10_ ; -- Begin function _ZN7rocprim17ROCPRIM_400000_NS6detail17trampoline_kernelINS0_14default_configENS1_21merge_config_selectorINS0_5tupleIJddEEENS0_10empty_typeEEEZNS1_10merge_implIS3_NS0_12zip_iteratorINS5_IJN6thrust23THRUST_200600_302600_NS6detail15normal_iteratorINSC_10device_ptrIKdEEEESI_EEEEESK_NSA_INS5_IJNSE_INSF_IdEEEESM_EEEEEPS7_SP_SP_NSC_11hip_rocprim7__merge17predicate_wrapperIddNSC_4lessIdEEEEEE10hipError_tPvRmT0_T1_T2_T3_T4_T5_mmT6_P12ihipStream_tbEUlT_E0_NS1_11comp_targetILNS1_3genE3ELNS1_11target_archE908ELNS1_3gpuE7ELNS1_3repE0EEENS1_30default_config_static_selectorELNS0_4arch9wavefront6targetE0EEEvS10_
	.globl	_ZN7rocprim17ROCPRIM_400000_NS6detail17trampoline_kernelINS0_14default_configENS1_21merge_config_selectorINS0_5tupleIJddEEENS0_10empty_typeEEEZNS1_10merge_implIS3_NS0_12zip_iteratorINS5_IJN6thrust23THRUST_200600_302600_NS6detail15normal_iteratorINSC_10device_ptrIKdEEEESI_EEEEESK_NSA_INS5_IJNSE_INSF_IdEEEESM_EEEEEPS7_SP_SP_NSC_11hip_rocprim7__merge17predicate_wrapperIddNSC_4lessIdEEEEEE10hipError_tPvRmT0_T1_T2_T3_T4_T5_mmT6_P12ihipStream_tbEUlT_E0_NS1_11comp_targetILNS1_3genE3ELNS1_11target_archE908ELNS1_3gpuE7ELNS1_3repE0EEENS1_30default_config_static_selectorELNS0_4arch9wavefront6targetE0EEEvS10_
	.p2align	8
	.type	_ZN7rocprim17ROCPRIM_400000_NS6detail17trampoline_kernelINS0_14default_configENS1_21merge_config_selectorINS0_5tupleIJddEEENS0_10empty_typeEEEZNS1_10merge_implIS3_NS0_12zip_iteratorINS5_IJN6thrust23THRUST_200600_302600_NS6detail15normal_iteratorINSC_10device_ptrIKdEEEESI_EEEEESK_NSA_INS5_IJNSE_INSF_IdEEEESM_EEEEEPS7_SP_SP_NSC_11hip_rocprim7__merge17predicate_wrapperIddNSC_4lessIdEEEEEE10hipError_tPvRmT0_T1_T2_T3_T4_T5_mmT6_P12ihipStream_tbEUlT_E0_NS1_11comp_targetILNS1_3genE3ELNS1_11target_archE908ELNS1_3gpuE7ELNS1_3repE0EEENS1_30default_config_static_selectorELNS0_4arch9wavefront6targetE0EEEvS10_,@function
_ZN7rocprim17ROCPRIM_400000_NS6detail17trampoline_kernelINS0_14default_configENS1_21merge_config_selectorINS0_5tupleIJddEEENS0_10empty_typeEEEZNS1_10merge_implIS3_NS0_12zip_iteratorINS5_IJN6thrust23THRUST_200600_302600_NS6detail15normal_iteratorINSC_10device_ptrIKdEEEESI_EEEEESK_NSA_INS5_IJNSE_INSF_IdEEEESM_EEEEEPS7_SP_SP_NSC_11hip_rocprim7__merge17predicate_wrapperIddNSC_4lessIdEEEEEE10hipError_tPvRmT0_T1_T2_T3_T4_T5_mmT6_P12ihipStream_tbEUlT_E0_NS1_11comp_targetILNS1_3genE3ELNS1_11target_archE908ELNS1_3gpuE7ELNS1_3repE0EEENS1_30default_config_static_selectorELNS0_4arch9wavefront6targetE0EEEvS10_: ; @_ZN7rocprim17ROCPRIM_400000_NS6detail17trampoline_kernelINS0_14default_configENS1_21merge_config_selectorINS0_5tupleIJddEEENS0_10empty_typeEEEZNS1_10merge_implIS3_NS0_12zip_iteratorINS5_IJN6thrust23THRUST_200600_302600_NS6detail15normal_iteratorINSC_10device_ptrIKdEEEESI_EEEEESK_NSA_INS5_IJNSE_INSF_IdEEEESM_EEEEEPS7_SP_SP_NSC_11hip_rocprim7__merge17predicate_wrapperIddNSC_4lessIdEEEEEE10hipError_tPvRmT0_T1_T2_T3_T4_T5_mmT6_P12ihipStream_tbEUlT_E0_NS1_11comp_targetILNS1_3genE3ELNS1_11target_archE908ELNS1_3gpuE7ELNS1_3repE0EEENS1_30default_config_static_selectorELNS0_4arch9wavefront6targetE0EEEvS10_
; %bb.0:
	.section	.rodata,"a",@progbits
	.p2align	6, 0x0
	.amdhsa_kernel _ZN7rocprim17ROCPRIM_400000_NS6detail17trampoline_kernelINS0_14default_configENS1_21merge_config_selectorINS0_5tupleIJddEEENS0_10empty_typeEEEZNS1_10merge_implIS3_NS0_12zip_iteratorINS5_IJN6thrust23THRUST_200600_302600_NS6detail15normal_iteratorINSC_10device_ptrIKdEEEESI_EEEEESK_NSA_INS5_IJNSE_INSF_IdEEEESM_EEEEEPS7_SP_SP_NSC_11hip_rocprim7__merge17predicate_wrapperIddNSC_4lessIdEEEEEE10hipError_tPvRmT0_T1_T2_T3_T4_T5_mmT6_P12ihipStream_tbEUlT_E0_NS1_11comp_targetILNS1_3genE3ELNS1_11target_archE908ELNS1_3gpuE7ELNS1_3repE0EEENS1_30default_config_static_selectorELNS0_4arch9wavefront6targetE0EEEvS10_
		.amdhsa_group_segment_fixed_size 0
		.amdhsa_private_segment_fixed_size 0
		.amdhsa_kernarg_size 112
		.amdhsa_user_sgpr_count 6
		.amdhsa_user_sgpr_private_segment_buffer 1
		.amdhsa_user_sgpr_dispatch_ptr 0
		.amdhsa_user_sgpr_queue_ptr 0
		.amdhsa_user_sgpr_kernarg_segment_ptr 1
		.amdhsa_user_sgpr_dispatch_id 0
		.amdhsa_user_sgpr_flat_scratch_init 0
		.amdhsa_user_sgpr_private_segment_size 0
		.amdhsa_wavefront_size32 1
		.amdhsa_uses_dynamic_stack 0
		.amdhsa_system_sgpr_private_segment_wavefront_offset 0
		.amdhsa_system_sgpr_workgroup_id_x 1
		.amdhsa_system_sgpr_workgroup_id_y 0
		.amdhsa_system_sgpr_workgroup_id_z 0
		.amdhsa_system_sgpr_workgroup_info 0
		.amdhsa_system_vgpr_workitem_id 0
		.amdhsa_next_free_vgpr 1
		.amdhsa_next_free_sgpr 1
		.amdhsa_reserve_vcc 0
		.amdhsa_reserve_flat_scratch 0
		.amdhsa_float_round_mode_32 0
		.amdhsa_float_round_mode_16_64 0
		.amdhsa_float_denorm_mode_32 3
		.amdhsa_float_denorm_mode_16_64 3
		.amdhsa_dx10_clamp 1
		.amdhsa_ieee_mode 1
		.amdhsa_fp16_overflow 0
		.amdhsa_workgroup_processor_mode 1
		.amdhsa_memory_ordered 1
		.amdhsa_forward_progress 1
		.amdhsa_shared_vgpr_count 0
		.amdhsa_exception_fp_ieee_invalid_op 0
		.amdhsa_exception_fp_denorm_src 0
		.amdhsa_exception_fp_ieee_div_zero 0
		.amdhsa_exception_fp_ieee_overflow 0
		.amdhsa_exception_fp_ieee_underflow 0
		.amdhsa_exception_fp_ieee_inexact 0
		.amdhsa_exception_int_div_zero 0
	.end_amdhsa_kernel
	.section	.text._ZN7rocprim17ROCPRIM_400000_NS6detail17trampoline_kernelINS0_14default_configENS1_21merge_config_selectorINS0_5tupleIJddEEENS0_10empty_typeEEEZNS1_10merge_implIS3_NS0_12zip_iteratorINS5_IJN6thrust23THRUST_200600_302600_NS6detail15normal_iteratorINSC_10device_ptrIKdEEEESI_EEEEESK_NSA_INS5_IJNSE_INSF_IdEEEESM_EEEEEPS7_SP_SP_NSC_11hip_rocprim7__merge17predicate_wrapperIddNSC_4lessIdEEEEEE10hipError_tPvRmT0_T1_T2_T3_T4_T5_mmT6_P12ihipStream_tbEUlT_E0_NS1_11comp_targetILNS1_3genE3ELNS1_11target_archE908ELNS1_3gpuE7ELNS1_3repE0EEENS1_30default_config_static_selectorELNS0_4arch9wavefront6targetE0EEEvS10_,"axG",@progbits,_ZN7rocprim17ROCPRIM_400000_NS6detail17trampoline_kernelINS0_14default_configENS1_21merge_config_selectorINS0_5tupleIJddEEENS0_10empty_typeEEEZNS1_10merge_implIS3_NS0_12zip_iteratorINS5_IJN6thrust23THRUST_200600_302600_NS6detail15normal_iteratorINSC_10device_ptrIKdEEEESI_EEEEESK_NSA_INS5_IJNSE_INSF_IdEEEESM_EEEEEPS7_SP_SP_NSC_11hip_rocprim7__merge17predicate_wrapperIddNSC_4lessIdEEEEEE10hipError_tPvRmT0_T1_T2_T3_T4_T5_mmT6_P12ihipStream_tbEUlT_E0_NS1_11comp_targetILNS1_3genE3ELNS1_11target_archE908ELNS1_3gpuE7ELNS1_3repE0EEENS1_30default_config_static_selectorELNS0_4arch9wavefront6targetE0EEEvS10_,comdat
.Lfunc_end13:
	.size	_ZN7rocprim17ROCPRIM_400000_NS6detail17trampoline_kernelINS0_14default_configENS1_21merge_config_selectorINS0_5tupleIJddEEENS0_10empty_typeEEEZNS1_10merge_implIS3_NS0_12zip_iteratorINS5_IJN6thrust23THRUST_200600_302600_NS6detail15normal_iteratorINSC_10device_ptrIKdEEEESI_EEEEESK_NSA_INS5_IJNSE_INSF_IdEEEESM_EEEEEPS7_SP_SP_NSC_11hip_rocprim7__merge17predicate_wrapperIddNSC_4lessIdEEEEEE10hipError_tPvRmT0_T1_T2_T3_T4_T5_mmT6_P12ihipStream_tbEUlT_E0_NS1_11comp_targetILNS1_3genE3ELNS1_11target_archE908ELNS1_3gpuE7ELNS1_3repE0EEENS1_30default_config_static_selectorELNS0_4arch9wavefront6targetE0EEEvS10_, .Lfunc_end13-_ZN7rocprim17ROCPRIM_400000_NS6detail17trampoline_kernelINS0_14default_configENS1_21merge_config_selectorINS0_5tupleIJddEEENS0_10empty_typeEEEZNS1_10merge_implIS3_NS0_12zip_iteratorINS5_IJN6thrust23THRUST_200600_302600_NS6detail15normal_iteratorINSC_10device_ptrIKdEEEESI_EEEEESK_NSA_INS5_IJNSE_INSF_IdEEEESM_EEEEEPS7_SP_SP_NSC_11hip_rocprim7__merge17predicate_wrapperIddNSC_4lessIdEEEEEE10hipError_tPvRmT0_T1_T2_T3_T4_T5_mmT6_P12ihipStream_tbEUlT_E0_NS1_11comp_targetILNS1_3genE3ELNS1_11target_archE908ELNS1_3gpuE7ELNS1_3repE0EEENS1_30default_config_static_selectorELNS0_4arch9wavefront6targetE0EEEvS10_
                                        ; -- End function
	.set _ZN7rocprim17ROCPRIM_400000_NS6detail17trampoline_kernelINS0_14default_configENS1_21merge_config_selectorINS0_5tupleIJddEEENS0_10empty_typeEEEZNS1_10merge_implIS3_NS0_12zip_iteratorINS5_IJN6thrust23THRUST_200600_302600_NS6detail15normal_iteratorINSC_10device_ptrIKdEEEESI_EEEEESK_NSA_INS5_IJNSE_INSF_IdEEEESM_EEEEEPS7_SP_SP_NSC_11hip_rocprim7__merge17predicate_wrapperIddNSC_4lessIdEEEEEE10hipError_tPvRmT0_T1_T2_T3_T4_T5_mmT6_P12ihipStream_tbEUlT_E0_NS1_11comp_targetILNS1_3genE3ELNS1_11target_archE908ELNS1_3gpuE7ELNS1_3repE0EEENS1_30default_config_static_selectorELNS0_4arch9wavefront6targetE0EEEvS10_.num_vgpr, 0
	.set _ZN7rocprim17ROCPRIM_400000_NS6detail17trampoline_kernelINS0_14default_configENS1_21merge_config_selectorINS0_5tupleIJddEEENS0_10empty_typeEEEZNS1_10merge_implIS3_NS0_12zip_iteratorINS5_IJN6thrust23THRUST_200600_302600_NS6detail15normal_iteratorINSC_10device_ptrIKdEEEESI_EEEEESK_NSA_INS5_IJNSE_INSF_IdEEEESM_EEEEEPS7_SP_SP_NSC_11hip_rocprim7__merge17predicate_wrapperIddNSC_4lessIdEEEEEE10hipError_tPvRmT0_T1_T2_T3_T4_T5_mmT6_P12ihipStream_tbEUlT_E0_NS1_11comp_targetILNS1_3genE3ELNS1_11target_archE908ELNS1_3gpuE7ELNS1_3repE0EEENS1_30default_config_static_selectorELNS0_4arch9wavefront6targetE0EEEvS10_.num_agpr, 0
	.set _ZN7rocprim17ROCPRIM_400000_NS6detail17trampoline_kernelINS0_14default_configENS1_21merge_config_selectorINS0_5tupleIJddEEENS0_10empty_typeEEEZNS1_10merge_implIS3_NS0_12zip_iteratorINS5_IJN6thrust23THRUST_200600_302600_NS6detail15normal_iteratorINSC_10device_ptrIKdEEEESI_EEEEESK_NSA_INS5_IJNSE_INSF_IdEEEESM_EEEEEPS7_SP_SP_NSC_11hip_rocprim7__merge17predicate_wrapperIddNSC_4lessIdEEEEEE10hipError_tPvRmT0_T1_T2_T3_T4_T5_mmT6_P12ihipStream_tbEUlT_E0_NS1_11comp_targetILNS1_3genE3ELNS1_11target_archE908ELNS1_3gpuE7ELNS1_3repE0EEENS1_30default_config_static_selectorELNS0_4arch9wavefront6targetE0EEEvS10_.numbered_sgpr, 0
	.set _ZN7rocprim17ROCPRIM_400000_NS6detail17trampoline_kernelINS0_14default_configENS1_21merge_config_selectorINS0_5tupleIJddEEENS0_10empty_typeEEEZNS1_10merge_implIS3_NS0_12zip_iteratorINS5_IJN6thrust23THRUST_200600_302600_NS6detail15normal_iteratorINSC_10device_ptrIKdEEEESI_EEEEESK_NSA_INS5_IJNSE_INSF_IdEEEESM_EEEEEPS7_SP_SP_NSC_11hip_rocprim7__merge17predicate_wrapperIddNSC_4lessIdEEEEEE10hipError_tPvRmT0_T1_T2_T3_T4_T5_mmT6_P12ihipStream_tbEUlT_E0_NS1_11comp_targetILNS1_3genE3ELNS1_11target_archE908ELNS1_3gpuE7ELNS1_3repE0EEENS1_30default_config_static_selectorELNS0_4arch9wavefront6targetE0EEEvS10_.num_named_barrier, 0
	.set _ZN7rocprim17ROCPRIM_400000_NS6detail17trampoline_kernelINS0_14default_configENS1_21merge_config_selectorINS0_5tupleIJddEEENS0_10empty_typeEEEZNS1_10merge_implIS3_NS0_12zip_iteratorINS5_IJN6thrust23THRUST_200600_302600_NS6detail15normal_iteratorINSC_10device_ptrIKdEEEESI_EEEEESK_NSA_INS5_IJNSE_INSF_IdEEEESM_EEEEEPS7_SP_SP_NSC_11hip_rocprim7__merge17predicate_wrapperIddNSC_4lessIdEEEEEE10hipError_tPvRmT0_T1_T2_T3_T4_T5_mmT6_P12ihipStream_tbEUlT_E0_NS1_11comp_targetILNS1_3genE3ELNS1_11target_archE908ELNS1_3gpuE7ELNS1_3repE0EEENS1_30default_config_static_selectorELNS0_4arch9wavefront6targetE0EEEvS10_.private_seg_size, 0
	.set _ZN7rocprim17ROCPRIM_400000_NS6detail17trampoline_kernelINS0_14default_configENS1_21merge_config_selectorINS0_5tupleIJddEEENS0_10empty_typeEEEZNS1_10merge_implIS3_NS0_12zip_iteratorINS5_IJN6thrust23THRUST_200600_302600_NS6detail15normal_iteratorINSC_10device_ptrIKdEEEESI_EEEEESK_NSA_INS5_IJNSE_INSF_IdEEEESM_EEEEEPS7_SP_SP_NSC_11hip_rocprim7__merge17predicate_wrapperIddNSC_4lessIdEEEEEE10hipError_tPvRmT0_T1_T2_T3_T4_T5_mmT6_P12ihipStream_tbEUlT_E0_NS1_11comp_targetILNS1_3genE3ELNS1_11target_archE908ELNS1_3gpuE7ELNS1_3repE0EEENS1_30default_config_static_selectorELNS0_4arch9wavefront6targetE0EEEvS10_.uses_vcc, 0
	.set _ZN7rocprim17ROCPRIM_400000_NS6detail17trampoline_kernelINS0_14default_configENS1_21merge_config_selectorINS0_5tupleIJddEEENS0_10empty_typeEEEZNS1_10merge_implIS3_NS0_12zip_iteratorINS5_IJN6thrust23THRUST_200600_302600_NS6detail15normal_iteratorINSC_10device_ptrIKdEEEESI_EEEEESK_NSA_INS5_IJNSE_INSF_IdEEEESM_EEEEEPS7_SP_SP_NSC_11hip_rocprim7__merge17predicate_wrapperIddNSC_4lessIdEEEEEE10hipError_tPvRmT0_T1_T2_T3_T4_T5_mmT6_P12ihipStream_tbEUlT_E0_NS1_11comp_targetILNS1_3genE3ELNS1_11target_archE908ELNS1_3gpuE7ELNS1_3repE0EEENS1_30default_config_static_selectorELNS0_4arch9wavefront6targetE0EEEvS10_.uses_flat_scratch, 0
	.set _ZN7rocprim17ROCPRIM_400000_NS6detail17trampoline_kernelINS0_14default_configENS1_21merge_config_selectorINS0_5tupleIJddEEENS0_10empty_typeEEEZNS1_10merge_implIS3_NS0_12zip_iteratorINS5_IJN6thrust23THRUST_200600_302600_NS6detail15normal_iteratorINSC_10device_ptrIKdEEEESI_EEEEESK_NSA_INS5_IJNSE_INSF_IdEEEESM_EEEEEPS7_SP_SP_NSC_11hip_rocprim7__merge17predicate_wrapperIddNSC_4lessIdEEEEEE10hipError_tPvRmT0_T1_T2_T3_T4_T5_mmT6_P12ihipStream_tbEUlT_E0_NS1_11comp_targetILNS1_3genE3ELNS1_11target_archE908ELNS1_3gpuE7ELNS1_3repE0EEENS1_30default_config_static_selectorELNS0_4arch9wavefront6targetE0EEEvS10_.has_dyn_sized_stack, 0
	.set _ZN7rocprim17ROCPRIM_400000_NS6detail17trampoline_kernelINS0_14default_configENS1_21merge_config_selectorINS0_5tupleIJddEEENS0_10empty_typeEEEZNS1_10merge_implIS3_NS0_12zip_iteratorINS5_IJN6thrust23THRUST_200600_302600_NS6detail15normal_iteratorINSC_10device_ptrIKdEEEESI_EEEEESK_NSA_INS5_IJNSE_INSF_IdEEEESM_EEEEEPS7_SP_SP_NSC_11hip_rocprim7__merge17predicate_wrapperIddNSC_4lessIdEEEEEE10hipError_tPvRmT0_T1_T2_T3_T4_T5_mmT6_P12ihipStream_tbEUlT_E0_NS1_11comp_targetILNS1_3genE3ELNS1_11target_archE908ELNS1_3gpuE7ELNS1_3repE0EEENS1_30default_config_static_selectorELNS0_4arch9wavefront6targetE0EEEvS10_.has_recursion, 0
	.set _ZN7rocprim17ROCPRIM_400000_NS6detail17trampoline_kernelINS0_14default_configENS1_21merge_config_selectorINS0_5tupleIJddEEENS0_10empty_typeEEEZNS1_10merge_implIS3_NS0_12zip_iteratorINS5_IJN6thrust23THRUST_200600_302600_NS6detail15normal_iteratorINSC_10device_ptrIKdEEEESI_EEEEESK_NSA_INS5_IJNSE_INSF_IdEEEESM_EEEEEPS7_SP_SP_NSC_11hip_rocprim7__merge17predicate_wrapperIddNSC_4lessIdEEEEEE10hipError_tPvRmT0_T1_T2_T3_T4_T5_mmT6_P12ihipStream_tbEUlT_E0_NS1_11comp_targetILNS1_3genE3ELNS1_11target_archE908ELNS1_3gpuE7ELNS1_3repE0EEENS1_30default_config_static_selectorELNS0_4arch9wavefront6targetE0EEEvS10_.has_indirect_call, 0
	.section	.AMDGPU.csdata,"",@progbits
; Kernel info:
; codeLenInByte = 0
; TotalNumSgprs: 0
; NumVgprs: 0
; ScratchSize: 0
; MemoryBound: 0
; FloatMode: 240
; IeeeMode: 1
; LDSByteSize: 0 bytes/workgroup (compile time only)
; SGPRBlocks: 0
; VGPRBlocks: 0
; NumSGPRsForWavesPerEU: 1
; NumVGPRsForWavesPerEU: 1
; Occupancy: 16
; WaveLimiterHint : 0
; COMPUTE_PGM_RSRC2:SCRATCH_EN: 0
; COMPUTE_PGM_RSRC2:USER_SGPR: 6
; COMPUTE_PGM_RSRC2:TRAP_HANDLER: 0
; COMPUTE_PGM_RSRC2:TGID_X_EN: 1
; COMPUTE_PGM_RSRC2:TGID_Y_EN: 0
; COMPUTE_PGM_RSRC2:TGID_Z_EN: 0
; COMPUTE_PGM_RSRC2:TIDIG_COMP_CNT: 0
	.section	.text._ZN7rocprim17ROCPRIM_400000_NS6detail17trampoline_kernelINS0_14default_configENS1_21merge_config_selectorINS0_5tupleIJddEEENS0_10empty_typeEEEZNS1_10merge_implIS3_NS0_12zip_iteratorINS5_IJN6thrust23THRUST_200600_302600_NS6detail15normal_iteratorINSC_10device_ptrIKdEEEESI_EEEEESK_NSA_INS5_IJNSE_INSF_IdEEEESM_EEEEEPS7_SP_SP_NSC_11hip_rocprim7__merge17predicate_wrapperIddNSC_4lessIdEEEEEE10hipError_tPvRmT0_T1_T2_T3_T4_T5_mmT6_P12ihipStream_tbEUlT_E0_NS1_11comp_targetILNS1_3genE2ELNS1_11target_archE906ELNS1_3gpuE6ELNS1_3repE0EEENS1_30default_config_static_selectorELNS0_4arch9wavefront6targetE0EEEvS10_,"axG",@progbits,_ZN7rocprim17ROCPRIM_400000_NS6detail17trampoline_kernelINS0_14default_configENS1_21merge_config_selectorINS0_5tupleIJddEEENS0_10empty_typeEEEZNS1_10merge_implIS3_NS0_12zip_iteratorINS5_IJN6thrust23THRUST_200600_302600_NS6detail15normal_iteratorINSC_10device_ptrIKdEEEESI_EEEEESK_NSA_INS5_IJNSE_INSF_IdEEEESM_EEEEEPS7_SP_SP_NSC_11hip_rocprim7__merge17predicate_wrapperIddNSC_4lessIdEEEEEE10hipError_tPvRmT0_T1_T2_T3_T4_T5_mmT6_P12ihipStream_tbEUlT_E0_NS1_11comp_targetILNS1_3genE2ELNS1_11target_archE906ELNS1_3gpuE6ELNS1_3repE0EEENS1_30default_config_static_selectorELNS0_4arch9wavefront6targetE0EEEvS10_,comdat
	.protected	_ZN7rocprim17ROCPRIM_400000_NS6detail17trampoline_kernelINS0_14default_configENS1_21merge_config_selectorINS0_5tupleIJddEEENS0_10empty_typeEEEZNS1_10merge_implIS3_NS0_12zip_iteratorINS5_IJN6thrust23THRUST_200600_302600_NS6detail15normal_iteratorINSC_10device_ptrIKdEEEESI_EEEEESK_NSA_INS5_IJNSE_INSF_IdEEEESM_EEEEEPS7_SP_SP_NSC_11hip_rocprim7__merge17predicate_wrapperIddNSC_4lessIdEEEEEE10hipError_tPvRmT0_T1_T2_T3_T4_T5_mmT6_P12ihipStream_tbEUlT_E0_NS1_11comp_targetILNS1_3genE2ELNS1_11target_archE906ELNS1_3gpuE6ELNS1_3repE0EEENS1_30default_config_static_selectorELNS0_4arch9wavefront6targetE0EEEvS10_ ; -- Begin function _ZN7rocprim17ROCPRIM_400000_NS6detail17trampoline_kernelINS0_14default_configENS1_21merge_config_selectorINS0_5tupleIJddEEENS0_10empty_typeEEEZNS1_10merge_implIS3_NS0_12zip_iteratorINS5_IJN6thrust23THRUST_200600_302600_NS6detail15normal_iteratorINSC_10device_ptrIKdEEEESI_EEEEESK_NSA_INS5_IJNSE_INSF_IdEEEESM_EEEEEPS7_SP_SP_NSC_11hip_rocprim7__merge17predicate_wrapperIddNSC_4lessIdEEEEEE10hipError_tPvRmT0_T1_T2_T3_T4_T5_mmT6_P12ihipStream_tbEUlT_E0_NS1_11comp_targetILNS1_3genE2ELNS1_11target_archE906ELNS1_3gpuE6ELNS1_3repE0EEENS1_30default_config_static_selectorELNS0_4arch9wavefront6targetE0EEEvS10_
	.globl	_ZN7rocprim17ROCPRIM_400000_NS6detail17trampoline_kernelINS0_14default_configENS1_21merge_config_selectorINS0_5tupleIJddEEENS0_10empty_typeEEEZNS1_10merge_implIS3_NS0_12zip_iteratorINS5_IJN6thrust23THRUST_200600_302600_NS6detail15normal_iteratorINSC_10device_ptrIKdEEEESI_EEEEESK_NSA_INS5_IJNSE_INSF_IdEEEESM_EEEEEPS7_SP_SP_NSC_11hip_rocprim7__merge17predicate_wrapperIddNSC_4lessIdEEEEEE10hipError_tPvRmT0_T1_T2_T3_T4_T5_mmT6_P12ihipStream_tbEUlT_E0_NS1_11comp_targetILNS1_3genE2ELNS1_11target_archE906ELNS1_3gpuE6ELNS1_3repE0EEENS1_30default_config_static_selectorELNS0_4arch9wavefront6targetE0EEEvS10_
	.p2align	8
	.type	_ZN7rocprim17ROCPRIM_400000_NS6detail17trampoline_kernelINS0_14default_configENS1_21merge_config_selectorINS0_5tupleIJddEEENS0_10empty_typeEEEZNS1_10merge_implIS3_NS0_12zip_iteratorINS5_IJN6thrust23THRUST_200600_302600_NS6detail15normal_iteratorINSC_10device_ptrIKdEEEESI_EEEEESK_NSA_INS5_IJNSE_INSF_IdEEEESM_EEEEEPS7_SP_SP_NSC_11hip_rocprim7__merge17predicate_wrapperIddNSC_4lessIdEEEEEE10hipError_tPvRmT0_T1_T2_T3_T4_T5_mmT6_P12ihipStream_tbEUlT_E0_NS1_11comp_targetILNS1_3genE2ELNS1_11target_archE906ELNS1_3gpuE6ELNS1_3repE0EEENS1_30default_config_static_selectorELNS0_4arch9wavefront6targetE0EEEvS10_,@function
_ZN7rocprim17ROCPRIM_400000_NS6detail17trampoline_kernelINS0_14default_configENS1_21merge_config_selectorINS0_5tupleIJddEEENS0_10empty_typeEEEZNS1_10merge_implIS3_NS0_12zip_iteratorINS5_IJN6thrust23THRUST_200600_302600_NS6detail15normal_iteratorINSC_10device_ptrIKdEEEESI_EEEEESK_NSA_INS5_IJNSE_INSF_IdEEEESM_EEEEEPS7_SP_SP_NSC_11hip_rocprim7__merge17predicate_wrapperIddNSC_4lessIdEEEEEE10hipError_tPvRmT0_T1_T2_T3_T4_T5_mmT6_P12ihipStream_tbEUlT_E0_NS1_11comp_targetILNS1_3genE2ELNS1_11target_archE906ELNS1_3gpuE6ELNS1_3repE0EEENS1_30default_config_static_selectorELNS0_4arch9wavefront6targetE0EEEvS10_: ; @_ZN7rocprim17ROCPRIM_400000_NS6detail17trampoline_kernelINS0_14default_configENS1_21merge_config_selectorINS0_5tupleIJddEEENS0_10empty_typeEEEZNS1_10merge_implIS3_NS0_12zip_iteratorINS5_IJN6thrust23THRUST_200600_302600_NS6detail15normal_iteratorINSC_10device_ptrIKdEEEESI_EEEEESK_NSA_INS5_IJNSE_INSF_IdEEEESM_EEEEEPS7_SP_SP_NSC_11hip_rocprim7__merge17predicate_wrapperIddNSC_4lessIdEEEEEE10hipError_tPvRmT0_T1_T2_T3_T4_T5_mmT6_P12ihipStream_tbEUlT_E0_NS1_11comp_targetILNS1_3genE2ELNS1_11target_archE906ELNS1_3gpuE6ELNS1_3repE0EEENS1_30default_config_static_selectorELNS0_4arch9wavefront6targetE0EEEvS10_
; %bb.0:
	.section	.rodata,"a",@progbits
	.p2align	6, 0x0
	.amdhsa_kernel _ZN7rocprim17ROCPRIM_400000_NS6detail17trampoline_kernelINS0_14default_configENS1_21merge_config_selectorINS0_5tupleIJddEEENS0_10empty_typeEEEZNS1_10merge_implIS3_NS0_12zip_iteratorINS5_IJN6thrust23THRUST_200600_302600_NS6detail15normal_iteratorINSC_10device_ptrIKdEEEESI_EEEEESK_NSA_INS5_IJNSE_INSF_IdEEEESM_EEEEEPS7_SP_SP_NSC_11hip_rocprim7__merge17predicate_wrapperIddNSC_4lessIdEEEEEE10hipError_tPvRmT0_T1_T2_T3_T4_T5_mmT6_P12ihipStream_tbEUlT_E0_NS1_11comp_targetILNS1_3genE2ELNS1_11target_archE906ELNS1_3gpuE6ELNS1_3repE0EEENS1_30default_config_static_selectorELNS0_4arch9wavefront6targetE0EEEvS10_
		.amdhsa_group_segment_fixed_size 0
		.amdhsa_private_segment_fixed_size 0
		.amdhsa_kernarg_size 112
		.amdhsa_user_sgpr_count 6
		.amdhsa_user_sgpr_private_segment_buffer 1
		.amdhsa_user_sgpr_dispatch_ptr 0
		.amdhsa_user_sgpr_queue_ptr 0
		.amdhsa_user_sgpr_kernarg_segment_ptr 1
		.amdhsa_user_sgpr_dispatch_id 0
		.amdhsa_user_sgpr_flat_scratch_init 0
		.amdhsa_user_sgpr_private_segment_size 0
		.amdhsa_wavefront_size32 1
		.amdhsa_uses_dynamic_stack 0
		.amdhsa_system_sgpr_private_segment_wavefront_offset 0
		.amdhsa_system_sgpr_workgroup_id_x 1
		.amdhsa_system_sgpr_workgroup_id_y 0
		.amdhsa_system_sgpr_workgroup_id_z 0
		.amdhsa_system_sgpr_workgroup_info 0
		.amdhsa_system_vgpr_workitem_id 0
		.amdhsa_next_free_vgpr 1
		.amdhsa_next_free_sgpr 1
		.amdhsa_reserve_vcc 0
		.amdhsa_reserve_flat_scratch 0
		.amdhsa_float_round_mode_32 0
		.amdhsa_float_round_mode_16_64 0
		.amdhsa_float_denorm_mode_32 3
		.amdhsa_float_denorm_mode_16_64 3
		.amdhsa_dx10_clamp 1
		.amdhsa_ieee_mode 1
		.amdhsa_fp16_overflow 0
		.amdhsa_workgroup_processor_mode 1
		.amdhsa_memory_ordered 1
		.amdhsa_forward_progress 1
		.amdhsa_shared_vgpr_count 0
		.amdhsa_exception_fp_ieee_invalid_op 0
		.amdhsa_exception_fp_denorm_src 0
		.amdhsa_exception_fp_ieee_div_zero 0
		.amdhsa_exception_fp_ieee_overflow 0
		.amdhsa_exception_fp_ieee_underflow 0
		.amdhsa_exception_fp_ieee_inexact 0
		.amdhsa_exception_int_div_zero 0
	.end_amdhsa_kernel
	.section	.text._ZN7rocprim17ROCPRIM_400000_NS6detail17trampoline_kernelINS0_14default_configENS1_21merge_config_selectorINS0_5tupleIJddEEENS0_10empty_typeEEEZNS1_10merge_implIS3_NS0_12zip_iteratorINS5_IJN6thrust23THRUST_200600_302600_NS6detail15normal_iteratorINSC_10device_ptrIKdEEEESI_EEEEESK_NSA_INS5_IJNSE_INSF_IdEEEESM_EEEEEPS7_SP_SP_NSC_11hip_rocprim7__merge17predicate_wrapperIddNSC_4lessIdEEEEEE10hipError_tPvRmT0_T1_T2_T3_T4_T5_mmT6_P12ihipStream_tbEUlT_E0_NS1_11comp_targetILNS1_3genE2ELNS1_11target_archE906ELNS1_3gpuE6ELNS1_3repE0EEENS1_30default_config_static_selectorELNS0_4arch9wavefront6targetE0EEEvS10_,"axG",@progbits,_ZN7rocprim17ROCPRIM_400000_NS6detail17trampoline_kernelINS0_14default_configENS1_21merge_config_selectorINS0_5tupleIJddEEENS0_10empty_typeEEEZNS1_10merge_implIS3_NS0_12zip_iteratorINS5_IJN6thrust23THRUST_200600_302600_NS6detail15normal_iteratorINSC_10device_ptrIKdEEEESI_EEEEESK_NSA_INS5_IJNSE_INSF_IdEEEESM_EEEEEPS7_SP_SP_NSC_11hip_rocprim7__merge17predicate_wrapperIddNSC_4lessIdEEEEEE10hipError_tPvRmT0_T1_T2_T3_T4_T5_mmT6_P12ihipStream_tbEUlT_E0_NS1_11comp_targetILNS1_3genE2ELNS1_11target_archE906ELNS1_3gpuE6ELNS1_3repE0EEENS1_30default_config_static_selectorELNS0_4arch9wavefront6targetE0EEEvS10_,comdat
.Lfunc_end14:
	.size	_ZN7rocprim17ROCPRIM_400000_NS6detail17trampoline_kernelINS0_14default_configENS1_21merge_config_selectorINS0_5tupleIJddEEENS0_10empty_typeEEEZNS1_10merge_implIS3_NS0_12zip_iteratorINS5_IJN6thrust23THRUST_200600_302600_NS6detail15normal_iteratorINSC_10device_ptrIKdEEEESI_EEEEESK_NSA_INS5_IJNSE_INSF_IdEEEESM_EEEEEPS7_SP_SP_NSC_11hip_rocprim7__merge17predicate_wrapperIddNSC_4lessIdEEEEEE10hipError_tPvRmT0_T1_T2_T3_T4_T5_mmT6_P12ihipStream_tbEUlT_E0_NS1_11comp_targetILNS1_3genE2ELNS1_11target_archE906ELNS1_3gpuE6ELNS1_3repE0EEENS1_30default_config_static_selectorELNS0_4arch9wavefront6targetE0EEEvS10_, .Lfunc_end14-_ZN7rocprim17ROCPRIM_400000_NS6detail17trampoline_kernelINS0_14default_configENS1_21merge_config_selectorINS0_5tupleIJddEEENS0_10empty_typeEEEZNS1_10merge_implIS3_NS0_12zip_iteratorINS5_IJN6thrust23THRUST_200600_302600_NS6detail15normal_iteratorINSC_10device_ptrIKdEEEESI_EEEEESK_NSA_INS5_IJNSE_INSF_IdEEEESM_EEEEEPS7_SP_SP_NSC_11hip_rocprim7__merge17predicate_wrapperIddNSC_4lessIdEEEEEE10hipError_tPvRmT0_T1_T2_T3_T4_T5_mmT6_P12ihipStream_tbEUlT_E0_NS1_11comp_targetILNS1_3genE2ELNS1_11target_archE906ELNS1_3gpuE6ELNS1_3repE0EEENS1_30default_config_static_selectorELNS0_4arch9wavefront6targetE0EEEvS10_
                                        ; -- End function
	.set _ZN7rocprim17ROCPRIM_400000_NS6detail17trampoline_kernelINS0_14default_configENS1_21merge_config_selectorINS0_5tupleIJddEEENS0_10empty_typeEEEZNS1_10merge_implIS3_NS0_12zip_iteratorINS5_IJN6thrust23THRUST_200600_302600_NS6detail15normal_iteratorINSC_10device_ptrIKdEEEESI_EEEEESK_NSA_INS5_IJNSE_INSF_IdEEEESM_EEEEEPS7_SP_SP_NSC_11hip_rocprim7__merge17predicate_wrapperIddNSC_4lessIdEEEEEE10hipError_tPvRmT0_T1_T2_T3_T4_T5_mmT6_P12ihipStream_tbEUlT_E0_NS1_11comp_targetILNS1_3genE2ELNS1_11target_archE906ELNS1_3gpuE6ELNS1_3repE0EEENS1_30default_config_static_selectorELNS0_4arch9wavefront6targetE0EEEvS10_.num_vgpr, 0
	.set _ZN7rocprim17ROCPRIM_400000_NS6detail17trampoline_kernelINS0_14default_configENS1_21merge_config_selectorINS0_5tupleIJddEEENS0_10empty_typeEEEZNS1_10merge_implIS3_NS0_12zip_iteratorINS5_IJN6thrust23THRUST_200600_302600_NS6detail15normal_iteratorINSC_10device_ptrIKdEEEESI_EEEEESK_NSA_INS5_IJNSE_INSF_IdEEEESM_EEEEEPS7_SP_SP_NSC_11hip_rocprim7__merge17predicate_wrapperIddNSC_4lessIdEEEEEE10hipError_tPvRmT0_T1_T2_T3_T4_T5_mmT6_P12ihipStream_tbEUlT_E0_NS1_11comp_targetILNS1_3genE2ELNS1_11target_archE906ELNS1_3gpuE6ELNS1_3repE0EEENS1_30default_config_static_selectorELNS0_4arch9wavefront6targetE0EEEvS10_.num_agpr, 0
	.set _ZN7rocprim17ROCPRIM_400000_NS6detail17trampoline_kernelINS0_14default_configENS1_21merge_config_selectorINS0_5tupleIJddEEENS0_10empty_typeEEEZNS1_10merge_implIS3_NS0_12zip_iteratorINS5_IJN6thrust23THRUST_200600_302600_NS6detail15normal_iteratorINSC_10device_ptrIKdEEEESI_EEEEESK_NSA_INS5_IJNSE_INSF_IdEEEESM_EEEEEPS7_SP_SP_NSC_11hip_rocprim7__merge17predicate_wrapperIddNSC_4lessIdEEEEEE10hipError_tPvRmT0_T1_T2_T3_T4_T5_mmT6_P12ihipStream_tbEUlT_E0_NS1_11comp_targetILNS1_3genE2ELNS1_11target_archE906ELNS1_3gpuE6ELNS1_3repE0EEENS1_30default_config_static_selectorELNS0_4arch9wavefront6targetE0EEEvS10_.numbered_sgpr, 0
	.set _ZN7rocprim17ROCPRIM_400000_NS6detail17trampoline_kernelINS0_14default_configENS1_21merge_config_selectorINS0_5tupleIJddEEENS0_10empty_typeEEEZNS1_10merge_implIS3_NS0_12zip_iteratorINS5_IJN6thrust23THRUST_200600_302600_NS6detail15normal_iteratorINSC_10device_ptrIKdEEEESI_EEEEESK_NSA_INS5_IJNSE_INSF_IdEEEESM_EEEEEPS7_SP_SP_NSC_11hip_rocprim7__merge17predicate_wrapperIddNSC_4lessIdEEEEEE10hipError_tPvRmT0_T1_T2_T3_T4_T5_mmT6_P12ihipStream_tbEUlT_E0_NS1_11comp_targetILNS1_3genE2ELNS1_11target_archE906ELNS1_3gpuE6ELNS1_3repE0EEENS1_30default_config_static_selectorELNS0_4arch9wavefront6targetE0EEEvS10_.num_named_barrier, 0
	.set _ZN7rocprim17ROCPRIM_400000_NS6detail17trampoline_kernelINS0_14default_configENS1_21merge_config_selectorINS0_5tupleIJddEEENS0_10empty_typeEEEZNS1_10merge_implIS3_NS0_12zip_iteratorINS5_IJN6thrust23THRUST_200600_302600_NS6detail15normal_iteratorINSC_10device_ptrIKdEEEESI_EEEEESK_NSA_INS5_IJNSE_INSF_IdEEEESM_EEEEEPS7_SP_SP_NSC_11hip_rocprim7__merge17predicate_wrapperIddNSC_4lessIdEEEEEE10hipError_tPvRmT0_T1_T2_T3_T4_T5_mmT6_P12ihipStream_tbEUlT_E0_NS1_11comp_targetILNS1_3genE2ELNS1_11target_archE906ELNS1_3gpuE6ELNS1_3repE0EEENS1_30default_config_static_selectorELNS0_4arch9wavefront6targetE0EEEvS10_.private_seg_size, 0
	.set _ZN7rocprim17ROCPRIM_400000_NS6detail17trampoline_kernelINS0_14default_configENS1_21merge_config_selectorINS0_5tupleIJddEEENS0_10empty_typeEEEZNS1_10merge_implIS3_NS0_12zip_iteratorINS5_IJN6thrust23THRUST_200600_302600_NS6detail15normal_iteratorINSC_10device_ptrIKdEEEESI_EEEEESK_NSA_INS5_IJNSE_INSF_IdEEEESM_EEEEEPS7_SP_SP_NSC_11hip_rocprim7__merge17predicate_wrapperIddNSC_4lessIdEEEEEE10hipError_tPvRmT0_T1_T2_T3_T4_T5_mmT6_P12ihipStream_tbEUlT_E0_NS1_11comp_targetILNS1_3genE2ELNS1_11target_archE906ELNS1_3gpuE6ELNS1_3repE0EEENS1_30default_config_static_selectorELNS0_4arch9wavefront6targetE0EEEvS10_.uses_vcc, 0
	.set _ZN7rocprim17ROCPRIM_400000_NS6detail17trampoline_kernelINS0_14default_configENS1_21merge_config_selectorINS0_5tupleIJddEEENS0_10empty_typeEEEZNS1_10merge_implIS3_NS0_12zip_iteratorINS5_IJN6thrust23THRUST_200600_302600_NS6detail15normal_iteratorINSC_10device_ptrIKdEEEESI_EEEEESK_NSA_INS5_IJNSE_INSF_IdEEEESM_EEEEEPS7_SP_SP_NSC_11hip_rocprim7__merge17predicate_wrapperIddNSC_4lessIdEEEEEE10hipError_tPvRmT0_T1_T2_T3_T4_T5_mmT6_P12ihipStream_tbEUlT_E0_NS1_11comp_targetILNS1_3genE2ELNS1_11target_archE906ELNS1_3gpuE6ELNS1_3repE0EEENS1_30default_config_static_selectorELNS0_4arch9wavefront6targetE0EEEvS10_.uses_flat_scratch, 0
	.set _ZN7rocprim17ROCPRIM_400000_NS6detail17trampoline_kernelINS0_14default_configENS1_21merge_config_selectorINS0_5tupleIJddEEENS0_10empty_typeEEEZNS1_10merge_implIS3_NS0_12zip_iteratorINS5_IJN6thrust23THRUST_200600_302600_NS6detail15normal_iteratorINSC_10device_ptrIKdEEEESI_EEEEESK_NSA_INS5_IJNSE_INSF_IdEEEESM_EEEEEPS7_SP_SP_NSC_11hip_rocprim7__merge17predicate_wrapperIddNSC_4lessIdEEEEEE10hipError_tPvRmT0_T1_T2_T3_T4_T5_mmT6_P12ihipStream_tbEUlT_E0_NS1_11comp_targetILNS1_3genE2ELNS1_11target_archE906ELNS1_3gpuE6ELNS1_3repE0EEENS1_30default_config_static_selectorELNS0_4arch9wavefront6targetE0EEEvS10_.has_dyn_sized_stack, 0
	.set _ZN7rocprim17ROCPRIM_400000_NS6detail17trampoline_kernelINS0_14default_configENS1_21merge_config_selectorINS0_5tupleIJddEEENS0_10empty_typeEEEZNS1_10merge_implIS3_NS0_12zip_iteratorINS5_IJN6thrust23THRUST_200600_302600_NS6detail15normal_iteratorINSC_10device_ptrIKdEEEESI_EEEEESK_NSA_INS5_IJNSE_INSF_IdEEEESM_EEEEEPS7_SP_SP_NSC_11hip_rocprim7__merge17predicate_wrapperIddNSC_4lessIdEEEEEE10hipError_tPvRmT0_T1_T2_T3_T4_T5_mmT6_P12ihipStream_tbEUlT_E0_NS1_11comp_targetILNS1_3genE2ELNS1_11target_archE906ELNS1_3gpuE6ELNS1_3repE0EEENS1_30default_config_static_selectorELNS0_4arch9wavefront6targetE0EEEvS10_.has_recursion, 0
	.set _ZN7rocprim17ROCPRIM_400000_NS6detail17trampoline_kernelINS0_14default_configENS1_21merge_config_selectorINS0_5tupleIJddEEENS0_10empty_typeEEEZNS1_10merge_implIS3_NS0_12zip_iteratorINS5_IJN6thrust23THRUST_200600_302600_NS6detail15normal_iteratorINSC_10device_ptrIKdEEEESI_EEEEESK_NSA_INS5_IJNSE_INSF_IdEEEESM_EEEEEPS7_SP_SP_NSC_11hip_rocprim7__merge17predicate_wrapperIddNSC_4lessIdEEEEEE10hipError_tPvRmT0_T1_T2_T3_T4_T5_mmT6_P12ihipStream_tbEUlT_E0_NS1_11comp_targetILNS1_3genE2ELNS1_11target_archE906ELNS1_3gpuE6ELNS1_3repE0EEENS1_30default_config_static_selectorELNS0_4arch9wavefront6targetE0EEEvS10_.has_indirect_call, 0
	.section	.AMDGPU.csdata,"",@progbits
; Kernel info:
; codeLenInByte = 0
; TotalNumSgprs: 0
; NumVgprs: 0
; ScratchSize: 0
; MemoryBound: 0
; FloatMode: 240
; IeeeMode: 1
; LDSByteSize: 0 bytes/workgroup (compile time only)
; SGPRBlocks: 0
; VGPRBlocks: 0
; NumSGPRsForWavesPerEU: 1
; NumVGPRsForWavesPerEU: 1
; Occupancy: 16
; WaveLimiterHint : 0
; COMPUTE_PGM_RSRC2:SCRATCH_EN: 0
; COMPUTE_PGM_RSRC2:USER_SGPR: 6
; COMPUTE_PGM_RSRC2:TRAP_HANDLER: 0
; COMPUTE_PGM_RSRC2:TGID_X_EN: 1
; COMPUTE_PGM_RSRC2:TGID_Y_EN: 0
; COMPUTE_PGM_RSRC2:TGID_Z_EN: 0
; COMPUTE_PGM_RSRC2:TIDIG_COMP_CNT: 0
	.section	.text._ZN7rocprim17ROCPRIM_400000_NS6detail17trampoline_kernelINS0_14default_configENS1_21merge_config_selectorINS0_5tupleIJddEEENS0_10empty_typeEEEZNS1_10merge_implIS3_NS0_12zip_iteratorINS5_IJN6thrust23THRUST_200600_302600_NS6detail15normal_iteratorINSC_10device_ptrIKdEEEESI_EEEEESK_NSA_INS5_IJNSE_INSF_IdEEEESM_EEEEEPS7_SP_SP_NSC_11hip_rocprim7__merge17predicate_wrapperIddNSC_4lessIdEEEEEE10hipError_tPvRmT0_T1_T2_T3_T4_T5_mmT6_P12ihipStream_tbEUlT_E0_NS1_11comp_targetILNS1_3genE10ELNS1_11target_archE1201ELNS1_3gpuE5ELNS1_3repE0EEENS1_30default_config_static_selectorELNS0_4arch9wavefront6targetE0EEEvS10_,"axG",@progbits,_ZN7rocprim17ROCPRIM_400000_NS6detail17trampoline_kernelINS0_14default_configENS1_21merge_config_selectorINS0_5tupleIJddEEENS0_10empty_typeEEEZNS1_10merge_implIS3_NS0_12zip_iteratorINS5_IJN6thrust23THRUST_200600_302600_NS6detail15normal_iteratorINSC_10device_ptrIKdEEEESI_EEEEESK_NSA_INS5_IJNSE_INSF_IdEEEESM_EEEEEPS7_SP_SP_NSC_11hip_rocprim7__merge17predicate_wrapperIddNSC_4lessIdEEEEEE10hipError_tPvRmT0_T1_T2_T3_T4_T5_mmT6_P12ihipStream_tbEUlT_E0_NS1_11comp_targetILNS1_3genE10ELNS1_11target_archE1201ELNS1_3gpuE5ELNS1_3repE0EEENS1_30default_config_static_selectorELNS0_4arch9wavefront6targetE0EEEvS10_,comdat
	.protected	_ZN7rocprim17ROCPRIM_400000_NS6detail17trampoline_kernelINS0_14default_configENS1_21merge_config_selectorINS0_5tupleIJddEEENS0_10empty_typeEEEZNS1_10merge_implIS3_NS0_12zip_iteratorINS5_IJN6thrust23THRUST_200600_302600_NS6detail15normal_iteratorINSC_10device_ptrIKdEEEESI_EEEEESK_NSA_INS5_IJNSE_INSF_IdEEEESM_EEEEEPS7_SP_SP_NSC_11hip_rocprim7__merge17predicate_wrapperIddNSC_4lessIdEEEEEE10hipError_tPvRmT0_T1_T2_T3_T4_T5_mmT6_P12ihipStream_tbEUlT_E0_NS1_11comp_targetILNS1_3genE10ELNS1_11target_archE1201ELNS1_3gpuE5ELNS1_3repE0EEENS1_30default_config_static_selectorELNS0_4arch9wavefront6targetE0EEEvS10_ ; -- Begin function _ZN7rocprim17ROCPRIM_400000_NS6detail17trampoline_kernelINS0_14default_configENS1_21merge_config_selectorINS0_5tupleIJddEEENS0_10empty_typeEEEZNS1_10merge_implIS3_NS0_12zip_iteratorINS5_IJN6thrust23THRUST_200600_302600_NS6detail15normal_iteratorINSC_10device_ptrIKdEEEESI_EEEEESK_NSA_INS5_IJNSE_INSF_IdEEEESM_EEEEEPS7_SP_SP_NSC_11hip_rocprim7__merge17predicate_wrapperIddNSC_4lessIdEEEEEE10hipError_tPvRmT0_T1_T2_T3_T4_T5_mmT6_P12ihipStream_tbEUlT_E0_NS1_11comp_targetILNS1_3genE10ELNS1_11target_archE1201ELNS1_3gpuE5ELNS1_3repE0EEENS1_30default_config_static_selectorELNS0_4arch9wavefront6targetE0EEEvS10_
	.globl	_ZN7rocprim17ROCPRIM_400000_NS6detail17trampoline_kernelINS0_14default_configENS1_21merge_config_selectorINS0_5tupleIJddEEENS0_10empty_typeEEEZNS1_10merge_implIS3_NS0_12zip_iteratorINS5_IJN6thrust23THRUST_200600_302600_NS6detail15normal_iteratorINSC_10device_ptrIKdEEEESI_EEEEESK_NSA_INS5_IJNSE_INSF_IdEEEESM_EEEEEPS7_SP_SP_NSC_11hip_rocprim7__merge17predicate_wrapperIddNSC_4lessIdEEEEEE10hipError_tPvRmT0_T1_T2_T3_T4_T5_mmT6_P12ihipStream_tbEUlT_E0_NS1_11comp_targetILNS1_3genE10ELNS1_11target_archE1201ELNS1_3gpuE5ELNS1_3repE0EEENS1_30default_config_static_selectorELNS0_4arch9wavefront6targetE0EEEvS10_
	.p2align	8
	.type	_ZN7rocprim17ROCPRIM_400000_NS6detail17trampoline_kernelINS0_14default_configENS1_21merge_config_selectorINS0_5tupleIJddEEENS0_10empty_typeEEEZNS1_10merge_implIS3_NS0_12zip_iteratorINS5_IJN6thrust23THRUST_200600_302600_NS6detail15normal_iteratorINSC_10device_ptrIKdEEEESI_EEEEESK_NSA_INS5_IJNSE_INSF_IdEEEESM_EEEEEPS7_SP_SP_NSC_11hip_rocprim7__merge17predicate_wrapperIddNSC_4lessIdEEEEEE10hipError_tPvRmT0_T1_T2_T3_T4_T5_mmT6_P12ihipStream_tbEUlT_E0_NS1_11comp_targetILNS1_3genE10ELNS1_11target_archE1201ELNS1_3gpuE5ELNS1_3repE0EEENS1_30default_config_static_selectorELNS0_4arch9wavefront6targetE0EEEvS10_,@function
_ZN7rocprim17ROCPRIM_400000_NS6detail17trampoline_kernelINS0_14default_configENS1_21merge_config_selectorINS0_5tupleIJddEEENS0_10empty_typeEEEZNS1_10merge_implIS3_NS0_12zip_iteratorINS5_IJN6thrust23THRUST_200600_302600_NS6detail15normal_iteratorINSC_10device_ptrIKdEEEESI_EEEEESK_NSA_INS5_IJNSE_INSF_IdEEEESM_EEEEEPS7_SP_SP_NSC_11hip_rocprim7__merge17predicate_wrapperIddNSC_4lessIdEEEEEE10hipError_tPvRmT0_T1_T2_T3_T4_T5_mmT6_P12ihipStream_tbEUlT_E0_NS1_11comp_targetILNS1_3genE10ELNS1_11target_archE1201ELNS1_3gpuE5ELNS1_3repE0EEENS1_30default_config_static_selectorELNS0_4arch9wavefront6targetE0EEEvS10_: ; @_ZN7rocprim17ROCPRIM_400000_NS6detail17trampoline_kernelINS0_14default_configENS1_21merge_config_selectorINS0_5tupleIJddEEENS0_10empty_typeEEEZNS1_10merge_implIS3_NS0_12zip_iteratorINS5_IJN6thrust23THRUST_200600_302600_NS6detail15normal_iteratorINSC_10device_ptrIKdEEEESI_EEEEESK_NSA_INS5_IJNSE_INSF_IdEEEESM_EEEEEPS7_SP_SP_NSC_11hip_rocprim7__merge17predicate_wrapperIddNSC_4lessIdEEEEEE10hipError_tPvRmT0_T1_T2_T3_T4_T5_mmT6_P12ihipStream_tbEUlT_E0_NS1_11comp_targetILNS1_3genE10ELNS1_11target_archE1201ELNS1_3gpuE5ELNS1_3repE0EEENS1_30default_config_static_selectorELNS0_4arch9wavefront6targetE0EEEvS10_
; %bb.0:
	.section	.rodata,"a",@progbits
	.p2align	6, 0x0
	.amdhsa_kernel _ZN7rocprim17ROCPRIM_400000_NS6detail17trampoline_kernelINS0_14default_configENS1_21merge_config_selectorINS0_5tupleIJddEEENS0_10empty_typeEEEZNS1_10merge_implIS3_NS0_12zip_iteratorINS5_IJN6thrust23THRUST_200600_302600_NS6detail15normal_iteratorINSC_10device_ptrIKdEEEESI_EEEEESK_NSA_INS5_IJNSE_INSF_IdEEEESM_EEEEEPS7_SP_SP_NSC_11hip_rocprim7__merge17predicate_wrapperIddNSC_4lessIdEEEEEE10hipError_tPvRmT0_T1_T2_T3_T4_T5_mmT6_P12ihipStream_tbEUlT_E0_NS1_11comp_targetILNS1_3genE10ELNS1_11target_archE1201ELNS1_3gpuE5ELNS1_3repE0EEENS1_30default_config_static_selectorELNS0_4arch9wavefront6targetE0EEEvS10_
		.amdhsa_group_segment_fixed_size 0
		.amdhsa_private_segment_fixed_size 0
		.amdhsa_kernarg_size 112
		.amdhsa_user_sgpr_count 6
		.amdhsa_user_sgpr_private_segment_buffer 1
		.amdhsa_user_sgpr_dispatch_ptr 0
		.amdhsa_user_sgpr_queue_ptr 0
		.amdhsa_user_sgpr_kernarg_segment_ptr 1
		.amdhsa_user_sgpr_dispatch_id 0
		.amdhsa_user_sgpr_flat_scratch_init 0
		.amdhsa_user_sgpr_private_segment_size 0
		.amdhsa_wavefront_size32 1
		.amdhsa_uses_dynamic_stack 0
		.amdhsa_system_sgpr_private_segment_wavefront_offset 0
		.amdhsa_system_sgpr_workgroup_id_x 1
		.amdhsa_system_sgpr_workgroup_id_y 0
		.amdhsa_system_sgpr_workgroup_id_z 0
		.amdhsa_system_sgpr_workgroup_info 0
		.amdhsa_system_vgpr_workitem_id 0
		.amdhsa_next_free_vgpr 1
		.amdhsa_next_free_sgpr 1
		.amdhsa_reserve_vcc 0
		.amdhsa_reserve_flat_scratch 0
		.amdhsa_float_round_mode_32 0
		.amdhsa_float_round_mode_16_64 0
		.amdhsa_float_denorm_mode_32 3
		.amdhsa_float_denorm_mode_16_64 3
		.amdhsa_dx10_clamp 1
		.amdhsa_ieee_mode 1
		.amdhsa_fp16_overflow 0
		.amdhsa_workgroup_processor_mode 1
		.amdhsa_memory_ordered 1
		.amdhsa_forward_progress 1
		.amdhsa_shared_vgpr_count 0
		.amdhsa_exception_fp_ieee_invalid_op 0
		.amdhsa_exception_fp_denorm_src 0
		.amdhsa_exception_fp_ieee_div_zero 0
		.amdhsa_exception_fp_ieee_overflow 0
		.amdhsa_exception_fp_ieee_underflow 0
		.amdhsa_exception_fp_ieee_inexact 0
		.amdhsa_exception_int_div_zero 0
	.end_amdhsa_kernel
	.section	.text._ZN7rocprim17ROCPRIM_400000_NS6detail17trampoline_kernelINS0_14default_configENS1_21merge_config_selectorINS0_5tupleIJddEEENS0_10empty_typeEEEZNS1_10merge_implIS3_NS0_12zip_iteratorINS5_IJN6thrust23THRUST_200600_302600_NS6detail15normal_iteratorINSC_10device_ptrIKdEEEESI_EEEEESK_NSA_INS5_IJNSE_INSF_IdEEEESM_EEEEEPS7_SP_SP_NSC_11hip_rocprim7__merge17predicate_wrapperIddNSC_4lessIdEEEEEE10hipError_tPvRmT0_T1_T2_T3_T4_T5_mmT6_P12ihipStream_tbEUlT_E0_NS1_11comp_targetILNS1_3genE10ELNS1_11target_archE1201ELNS1_3gpuE5ELNS1_3repE0EEENS1_30default_config_static_selectorELNS0_4arch9wavefront6targetE0EEEvS10_,"axG",@progbits,_ZN7rocprim17ROCPRIM_400000_NS6detail17trampoline_kernelINS0_14default_configENS1_21merge_config_selectorINS0_5tupleIJddEEENS0_10empty_typeEEEZNS1_10merge_implIS3_NS0_12zip_iteratorINS5_IJN6thrust23THRUST_200600_302600_NS6detail15normal_iteratorINSC_10device_ptrIKdEEEESI_EEEEESK_NSA_INS5_IJNSE_INSF_IdEEEESM_EEEEEPS7_SP_SP_NSC_11hip_rocprim7__merge17predicate_wrapperIddNSC_4lessIdEEEEEE10hipError_tPvRmT0_T1_T2_T3_T4_T5_mmT6_P12ihipStream_tbEUlT_E0_NS1_11comp_targetILNS1_3genE10ELNS1_11target_archE1201ELNS1_3gpuE5ELNS1_3repE0EEENS1_30default_config_static_selectorELNS0_4arch9wavefront6targetE0EEEvS10_,comdat
.Lfunc_end15:
	.size	_ZN7rocprim17ROCPRIM_400000_NS6detail17trampoline_kernelINS0_14default_configENS1_21merge_config_selectorINS0_5tupleIJddEEENS0_10empty_typeEEEZNS1_10merge_implIS3_NS0_12zip_iteratorINS5_IJN6thrust23THRUST_200600_302600_NS6detail15normal_iteratorINSC_10device_ptrIKdEEEESI_EEEEESK_NSA_INS5_IJNSE_INSF_IdEEEESM_EEEEEPS7_SP_SP_NSC_11hip_rocprim7__merge17predicate_wrapperIddNSC_4lessIdEEEEEE10hipError_tPvRmT0_T1_T2_T3_T4_T5_mmT6_P12ihipStream_tbEUlT_E0_NS1_11comp_targetILNS1_3genE10ELNS1_11target_archE1201ELNS1_3gpuE5ELNS1_3repE0EEENS1_30default_config_static_selectorELNS0_4arch9wavefront6targetE0EEEvS10_, .Lfunc_end15-_ZN7rocprim17ROCPRIM_400000_NS6detail17trampoline_kernelINS0_14default_configENS1_21merge_config_selectorINS0_5tupleIJddEEENS0_10empty_typeEEEZNS1_10merge_implIS3_NS0_12zip_iteratorINS5_IJN6thrust23THRUST_200600_302600_NS6detail15normal_iteratorINSC_10device_ptrIKdEEEESI_EEEEESK_NSA_INS5_IJNSE_INSF_IdEEEESM_EEEEEPS7_SP_SP_NSC_11hip_rocprim7__merge17predicate_wrapperIddNSC_4lessIdEEEEEE10hipError_tPvRmT0_T1_T2_T3_T4_T5_mmT6_P12ihipStream_tbEUlT_E0_NS1_11comp_targetILNS1_3genE10ELNS1_11target_archE1201ELNS1_3gpuE5ELNS1_3repE0EEENS1_30default_config_static_selectorELNS0_4arch9wavefront6targetE0EEEvS10_
                                        ; -- End function
	.set _ZN7rocprim17ROCPRIM_400000_NS6detail17trampoline_kernelINS0_14default_configENS1_21merge_config_selectorINS0_5tupleIJddEEENS0_10empty_typeEEEZNS1_10merge_implIS3_NS0_12zip_iteratorINS5_IJN6thrust23THRUST_200600_302600_NS6detail15normal_iteratorINSC_10device_ptrIKdEEEESI_EEEEESK_NSA_INS5_IJNSE_INSF_IdEEEESM_EEEEEPS7_SP_SP_NSC_11hip_rocprim7__merge17predicate_wrapperIddNSC_4lessIdEEEEEE10hipError_tPvRmT0_T1_T2_T3_T4_T5_mmT6_P12ihipStream_tbEUlT_E0_NS1_11comp_targetILNS1_3genE10ELNS1_11target_archE1201ELNS1_3gpuE5ELNS1_3repE0EEENS1_30default_config_static_selectorELNS0_4arch9wavefront6targetE0EEEvS10_.num_vgpr, 0
	.set _ZN7rocprim17ROCPRIM_400000_NS6detail17trampoline_kernelINS0_14default_configENS1_21merge_config_selectorINS0_5tupleIJddEEENS0_10empty_typeEEEZNS1_10merge_implIS3_NS0_12zip_iteratorINS5_IJN6thrust23THRUST_200600_302600_NS6detail15normal_iteratorINSC_10device_ptrIKdEEEESI_EEEEESK_NSA_INS5_IJNSE_INSF_IdEEEESM_EEEEEPS7_SP_SP_NSC_11hip_rocprim7__merge17predicate_wrapperIddNSC_4lessIdEEEEEE10hipError_tPvRmT0_T1_T2_T3_T4_T5_mmT6_P12ihipStream_tbEUlT_E0_NS1_11comp_targetILNS1_3genE10ELNS1_11target_archE1201ELNS1_3gpuE5ELNS1_3repE0EEENS1_30default_config_static_selectorELNS0_4arch9wavefront6targetE0EEEvS10_.num_agpr, 0
	.set _ZN7rocprim17ROCPRIM_400000_NS6detail17trampoline_kernelINS0_14default_configENS1_21merge_config_selectorINS0_5tupleIJddEEENS0_10empty_typeEEEZNS1_10merge_implIS3_NS0_12zip_iteratorINS5_IJN6thrust23THRUST_200600_302600_NS6detail15normal_iteratorINSC_10device_ptrIKdEEEESI_EEEEESK_NSA_INS5_IJNSE_INSF_IdEEEESM_EEEEEPS7_SP_SP_NSC_11hip_rocprim7__merge17predicate_wrapperIddNSC_4lessIdEEEEEE10hipError_tPvRmT0_T1_T2_T3_T4_T5_mmT6_P12ihipStream_tbEUlT_E0_NS1_11comp_targetILNS1_3genE10ELNS1_11target_archE1201ELNS1_3gpuE5ELNS1_3repE0EEENS1_30default_config_static_selectorELNS0_4arch9wavefront6targetE0EEEvS10_.numbered_sgpr, 0
	.set _ZN7rocprim17ROCPRIM_400000_NS6detail17trampoline_kernelINS0_14default_configENS1_21merge_config_selectorINS0_5tupleIJddEEENS0_10empty_typeEEEZNS1_10merge_implIS3_NS0_12zip_iteratorINS5_IJN6thrust23THRUST_200600_302600_NS6detail15normal_iteratorINSC_10device_ptrIKdEEEESI_EEEEESK_NSA_INS5_IJNSE_INSF_IdEEEESM_EEEEEPS7_SP_SP_NSC_11hip_rocprim7__merge17predicate_wrapperIddNSC_4lessIdEEEEEE10hipError_tPvRmT0_T1_T2_T3_T4_T5_mmT6_P12ihipStream_tbEUlT_E0_NS1_11comp_targetILNS1_3genE10ELNS1_11target_archE1201ELNS1_3gpuE5ELNS1_3repE0EEENS1_30default_config_static_selectorELNS0_4arch9wavefront6targetE0EEEvS10_.num_named_barrier, 0
	.set _ZN7rocprim17ROCPRIM_400000_NS6detail17trampoline_kernelINS0_14default_configENS1_21merge_config_selectorINS0_5tupleIJddEEENS0_10empty_typeEEEZNS1_10merge_implIS3_NS0_12zip_iteratorINS5_IJN6thrust23THRUST_200600_302600_NS6detail15normal_iteratorINSC_10device_ptrIKdEEEESI_EEEEESK_NSA_INS5_IJNSE_INSF_IdEEEESM_EEEEEPS7_SP_SP_NSC_11hip_rocprim7__merge17predicate_wrapperIddNSC_4lessIdEEEEEE10hipError_tPvRmT0_T1_T2_T3_T4_T5_mmT6_P12ihipStream_tbEUlT_E0_NS1_11comp_targetILNS1_3genE10ELNS1_11target_archE1201ELNS1_3gpuE5ELNS1_3repE0EEENS1_30default_config_static_selectorELNS0_4arch9wavefront6targetE0EEEvS10_.private_seg_size, 0
	.set _ZN7rocprim17ROCPRIM_400000_NS6detail17trampoline_kernelINS0_14default_configENS1_21merge_config_selectorINS0_5tupleIJddEEENS0_10empty_typeEEEZNS1_10merge_implIS3_NS0_12zip_iteratorINS5_IJN6thrust23THRUST_200600_302600_NS6detail15normal_iteratorINSC_10device_ptrIKdEEEESI_EEEEESK_NSA_INS5_IJNSE_INSF_IdEEEESM_EEEEEPS7_SP_SP_NSC_11hip_rocprim7__merge17predicate_wrapperIddNSC_4lessIdEEEEEE10hipError_tPvRmT0_T1_T2_T3_T4_T5_mmT6_P12ihipStream_tbEUlT_E0_NS1_11comp_targetILNS1_3genE10ELNS1_11target_archE1201ELNS1_3gpuE5ELNS1_3repE0EEENS1_30default_config_static_selectorELNS0_4arch9wavefront6targetE0EEEvS10_.uses_vcc, 0
	.set _ZN7rocprim17ROCPRIM_400000_NS6detail17trampoline_kernelINS0_14default_configENS1_21merge_config_selectorINS0_5tupleIJddEEENS0_10empty_typeEEEZNS1_10merge_implIS3_NS0_12zip_iteratorINS5_IJN6thrust23THRUST_200600_302600_NS6detail15normal_iteratorINSC_10device_ptrIKdEEEESI_EEEEESK_NSA_INS5_IJNSE_INSF_IdEEEESM_EEEEEPS7_SP_SP_NSC_11hip_rocprim7__merge17predicate_wrapperIddNSC_4lessIdEEEEEE10hipError_tPvRmT0_T1_T2_T3_T4_T5_mmT6_P12ihipStream_tbEUlT_E0_NS1_11comp_targetILNS1_3genE10ELNS1_11target_archE1201ELNS1_3gpuE5ELNS1_3repE0EEENS1_30default_config_static_selectorELNS0_4arch9wavefront6targetE0EEEvS10_.uses_flat_scratch, 0
	.set _ZN7rocprim17ROCPRIM_400000_NS6detail17trampoline_kernelINS0_14default_configENS1_21merge_config_selectorINS0_5tupleIJddEEENS0_10empty_typeEEEZNS1_10merge_implIS3_NS0_12zip_iteratorINS5_IJN6thrust23THRUST_200600_302600_NS6detail15normal_iteratorINSC_10device_ptrIKdEEEESI_EEEEESK_NSA_INS5_IJNSE_INSF_IdEEEESM_EEEEEPS7_SP_SP_NSC_11hip_rocprim7__merge17predicate_wrapperIddNSC_4lessIdEEEEEE10hipError_tPvRmT0_T1_T2_T3_T4_T5_mmT6_P12ihipStream_tbEUlT_E0_NS1_11comp_targetILNS1_3genE10ELNS1_11target_archE1201ELNS1_3gpuE5ELNS1_3repE0EEENS1_30default_config_static_selectorELNS0_4arch9wavefront6targetE0EEEvS10_.has_dyn_sized_stack, 0
	.set _ZN7rocprim17ROCPRIM_400000_NS6detail17trampoline_kernelINS0_14default_configENS1_21merge_config_selectorINS0_5tupleIJddEEENS0_10empty_typeEEEZNS1_10merge_implIS3_NS0_12zip_iteratorINS5_IJN6thrust23THRUST_200600_302600_NS6detail15normal_iteratorINSC_10device_ptrIKdEEEESI_EEEEESK_NSA_INS5_IJNSE_INSF_IdEEEESM_EEEEEPS7_SP_SP_NSC_11hip_rocprim7__merge17predicate_wrapperIddNSC_4lessIdEEEEEE10hipError_tPvRmT0_T1_T2_T3_T4_T5_mmT6_P12ihipStream_tbEUlT_E0_NS1_11comp_targetILNS1_3genE10ELNS1_11target_archE1201ELNS1_3gpuE5ELNS1_3repE0EEENS1_30default_config_static_selectorELNS0_4arch9wavefront6targetE0EEEvS10_.has_recursion, 0
	.set _ZN7rocprim17ROCPRIM_400000_NS6detail17trampoline_kernelINS0_14default_configENS1_21merge_config_selectorINS0_5tupleIJddEEENS0_10empty_typeEEEZNS1_10merge_implIS3_NS0_12zip_iteratorINS5_IJN6thrust23THRUST_200600_302600_NS6detail15normal_iteratorINSC_10device_ptrIKdEEEESI_EEEEESK_NSA_INS5_IJNSE_INSF_IdEEEESM_EEEEEPS7_SP_SP_NSC_11hip_rocprim7__merge17predicate_wrapperIddNSC_4lessIdEEEEEE10hipError_tPvRmT0_T1_T2_T3_T4_T5_mmT6_P12ihipStream_tbEUlT_E0_NS1_11comp_targetILNS1_3genE10ELNS1_11target_archE1201ELNS1_3gpuE5ELNS1_3repE0EEENS1_30default_config_static_selectorELNS0_4arch9wavefront6targetE0EEEvS10_.has_indirect_call, 0
	.section	.AMDGPU.csdata,"",@progbits
; Kernel info:
; codeLenInByte = 0
; TotalNumSgprs: 0
; NumVgprs: 0
; ScratchSize: 0
; MemoryBound: 0
; FloatMode: 240
; IeeeMode: 1
; LDSByteSize: 0 bytes/workgroup (compile time only)
; SGPRBlocks: 0
; VGPRBlocks: 0
; NumSGPRsForWavesPerEU: 1
; NumVGPRsForWavesPerEU: 1
; Occupancy: 16
; WaveLimiterHint : 0
; COMPUTE_PGM_RSRC2:SCRATCH_EN: 0
; COMPUTE_PGM_RSRC2:USER_SGPR: 6
; COMPUTE_PGM_RSRC2:TRAP_HANDLER: 0
; COMPUTE_PGM_RSRC2:TGID_X_EN: 1
; COMPUTE_PGM_RSRC2:TGID_Y_EN: 0
; COMPUTE_PGM_RSRC2:TGID_Z_EN: 0
; COMPUTE_PGM_RSRC2:TIDIG_COMP_CNT: 0
	.section	.text._ZN7rocprim17ROCPRIM_400000_NS6detail17trampoline_kernelINS0_14default_configENS1_21merge_config_selectorINS0_5tupleIJddEEENS0_10empty_typeEEEZNS1_10merge_implIS3_NS0_12zip_iteratorINS5_IJN6thrust23THRUST_200600_302600_NS6detail15normal_iteratorINSC_10device_ptrIKdEEEESI_EEEEESK_NSA_INS5_IJNSE_INSF_IdEEEESM_EEEEEPS7_SP_SP_NSC_11hip_rocprim7__merge17predicate_wrapperIddNSC_4lessIdEEEEEE10hipError_tPvRmT0_T1_T2_T3_T4_T5_mmT6_P12ihipStream_tbEUlT_E0_NS1_11comp_targetILNS1_3genE10ELNS1_11target_archE1200ELNS1_3gpuE4ELNS1_3repE0EEENS1_30default_config_static_selectorELNS0_4arch9wavefront6targetE0EEEvS10_,"axG",@progbits,_ZN7rocprim17ROCPRIM_400000_NS6detail17trampoline_kernelINS0_14default_configENS1_21merge_config_selectorINS0_5tupleIJddEEENS0_10empty_typeEEEZNS1_10merge_implIS3_NS0_12zip_iteratorINS5_IJN6thrust23THRUST_200600_302600_NS6detail15normal_iteratorINSC_10device_ptrIKdEEEESI_EEEEESK_NSA_INS5_IJNSE_INSF_IdEEEESM_EEEEEPS7_SP_SP_NSC_11hip_rocprim7__merge17predicate_wrapperIddNSC_4lessIdEEEEEE10hipError_tPvRmT0_T1_T2_T3_T4_T5_mmT6_P12ihipStream_tbEUlT_E0_NS1_11comp_targetILNS1_3genE10ELNS1_11target_archE1200ELNS1_3gpuE4ELNS1_3repE0EEENS1_30default_config_static_selectorELNS0_4arch9wavefront6targetE0EEEvS10_,comdat
	.protected	_ZN7rocprim17ROCPRIM_400000_NS6detail17trampoline_kernelINS0_14default_configENS1_21merge_config_selectorINS0_5tupleIJddEEENS0_10empty_typeEEEZNS1_10merge_implIS3_NS0_12zip_iteratorINS5_IJN6thrust23THRUST_200600_302600_NS6detail15normal_iteratorINSC_10device_ptrIKdEEEESI_EEEEESK_NSA_INS5_IJNSE_INSF_IdEEEESM_EEEEEPS7_SP_SP_NSC_11hip_rocprim7__merge17predicate_wrapperIddNSC_4lessIdEEEEEE10hipError_tPvRmT0_T1_T2_T3_T4_T5_mmT6_P12ihipStream_tbEUlT_E0_NS1_11comp_targetILNS1_3genE10ELNS1_11target_archE1200ELNS1_3gpuE4ELNS1_3repE0EEENS1_30default_config_static_selectorELNS0_4arch9wavefront6targetE0EEEvS10_ ; -- Begin function _ZN7rocprim17ROCPRIM_400000_NS6detail17trampoline_kernelINS0_14default_configENS1_21merge_config_selectorINS0_5tupleIJddEEENS0_10empty_typeEEEZNS1_10merge_implIS3_NS0_12zip_iteratorINS5_IJN6thrust23THRUST_200600_302600_NS6detail15normal_iteratorINSC_10device_ptrIKdEEEESI_EEEEESK_NSA_INS5_IJNSE_INSF_IdEEEESM_EEEEEPS7_SP_SP_NSC_11hip_rocprim7__merge17predicate_wrapperIddNSC_4lessIdEEEEEE10hipError_tPvRmT0_T1_T2_T3_T4_T5_mmT6_P12ihipStream_tbEUlT_E0_NS1_11comp_targetILNS1_3genE10ELNS1_11target_archE1200ELNS1_3gpuE4ELNS1_3repE0EEENS1_30default_config_static_selectorELNS0_4arch9wavefront6targetE0EEEvS10_
	.globl	_ZN7rocprim17ROCPRIM_400000_NS6detail17trampoline_kernelINS0_14default_configENS1_21merge_config_selectorINS0_5tupleIJddEEENS0_10empty_typeEEEZNS1_10merge_implIS3_NS0_12zip_iteratorINS5_IJN6thrust23THRUST_200600_302600_NS6detail15normal_iteratorINSC_10device_ptrIKdEEEESI_EEEEESK_NSA_INS5_IJNSE_INSF_IdEEEESM_EEEEEPS7_SP_SP_NSC_11hip_rocprim7__merge17predicate_wrapperIddNSC_4lessIdEEEEEE10hipError_tPvRmT0_T1_T2_T3_T4_T5_mmT6_P12ihipStream_tbEUlT_E0_NS1_11comp_targetILNS1_3genE10ELNS1_11target_archE1200ELNS1_3gpuE4ELNS1_3repE0EEENS1_30default_config_static_selectorELNS0_4arch9wavefront6targetE0EEEvS10_
	.p2align	8
	.type	_ZN7rocprim17ROCPRIM_400000_NS6detail17trampoline_kernelINS0_14default_configENS1_21merge_config_selectorINS0_5tupleIJddEEENS0_10empty_typeEEEZNS1_10merge_implIS3_NS0_12zip_iteratorINS5_IJN6thrust23THRUST_200600_302600_NS6detail15normal_iteratorINSC_10device_ptrIKdEEEESI_EEEEESK_NSA_INS5_IJNSE_INSF_IdEEEESM_EEEEEPS7_SP_SP_NSC_11hip_rocprim7__merge17predicate_wrapperIddNSC_4lessIdEEEEEE10hipError_tPvRmT0_T1_T2_T3_T4_T5_mmT6_P12ihipStream_tbEUlT_E0_NS1_11comp_targetILNS1_3genE10ELNS1_11target_archE1200ELNS1_3gpuE4ELNS1_3repE0EEENS1_30default_config_static_selectorELNS0_4arch9wavefront6targetE0EEEvS10_,@function
_ZN7rocprim17ROCPRIM_400000_NS6detail17trampoline_kernelINS0_14default_configENS1_21merge_config_selectorINS0_5tupleIJddEEENS0_10empty_typeEEEZNS1_10merge_implIS3_NS0_12zip_iteratorINS5_IJN6thrust23THRUST_200600_302600_NS6detail15normal_iteratorINSC_10device_ptrIKdEEEESI_EEEEESK_NSA_INS5_IJNSE_INSF_IdEEEESM_EEEEEPS7_SP_SP_NSC_11hip_rocprim7__merge17predicate_wrapperIddNSC_4lessIdEEEEEE10hipError_tPvRmT0_T1_T2_T3_T4_T5_mmT6_P12ihipStream_tbEUlT_E0_NS1_11comp_targetILNS1_3genE10ELNS1_11target_archE1200ELNS1_3gpuE4ELNS1_3repE0EEENS1_30default_config_static_selectorELNS0_4arch9wavefront6targetE0EEEvS10_: ; @_ZN7rocprim17ROCPRIM_400000_NS6detail17trampoline_kernelINS0_14default_configENS1_21merge_config_selectorINS0_5tupleIJddEEENS0_10empty_typeEEEZNS1_10merge_implIS3_NS0_12zip_iteratorINS5_IJN6thrust23THRUST_200600_302600_NS6detail15normal_iteratorINSC_10device_ptrIKdEEEESI_EEEEESK_NSA_INS5_IJNSE_INSF_IdEEEESM_EEEEEPS7_SP_SP_NSC_11hip_rocprim7__merge17predicate_wrapperIddNSC_4lessIdEEEEEE10hipError_tPvRmT0_T1_T2_T3_T4_T5_mmT6_P12ihipStream_tbEUlT_E0_NS1_11comp_targetILNS1_3genE10ELNS1_11target_archE1200ELNS1_3gpuE4ELNS1_3repE0EEENS1_30default_config_static_selectorELNS0_4arch9wavefront6targetE0EEEvS10_
; %bb.0:
	.section	.rodata,"a",@progbits
	.p2align	6, 0x0
	.amdhsa_kernel _ZN7rocprim17ROCPRIM_400000_NS6detail17trampoline_kernelINS0_14default_configENS1_21merge_config_selectorINS0_5tupleIJddEEENS0_10empty_typeEEEZNS1_10merge_implIS3_NS0_12zip_iteratorINS5_IJN6thrust23THRUST_200600_302600_NS6detail15normal_iteratorINSC_10device_ptrIKdEEEESI_EEEEESK_NSA_INS5_IJNSE_INSF_IdEEEESM_EEEEEPS7_SP_SP_NSC_11hip_rocprim7__merge17predicate_wrapperIddNSC_4lessIdEEEEEE10hipError_tPvRmT0_T1_T2_T3_T4_T5_mmT6_P12ihipStream_tbEUlT_E0_NS1_11comp_targetILNS1_3genE10ELNS1_11target_archE1200ELNS1_3gpuE4ELNS1_3repE0EEENS1_30default_config_static_selectorELNS0_4arch9wavefront6targetE0EEEvS10_
		.amdhsa_group_segment_fixed_size 0
		.amdhsa_private_segment_fixed_size 0
		.amdhsa_kernarg_size 112
		.amdhsa_user_sgpr_count 6
		.amdhsa_user_sgpr_private_segment_buffer 1
		.amdhsa_user_sgpr_dispatch_ptr 0
		.amdhsa_user_sgpr_queue_ptr 0
		.amdhsa_user_sgpr_kernarg_segment_ptr 1
		.amdhsa_user_sgpr_dispatch_id 0
		.amdhsa_user_sgpr_flat_scratch_init 0
		.amdhsa_user_sgpr_private_segment_size 0
		.amdhsa_wavefront_size32 1
		.amdhsa_uses_dynamic_stack 0
		.amdhsa_system_sgpr_private_segment_wavefront_offset 0
		.amdhsa_system_sgpr_workgroup_id_x 1
		.amdhsa_system_sgpr_workgroup_id_y 0
		.amdhsa_system_sgpr_workgroup_id_z 0
		.amdhsa_system_sgpr_workgroup_info 0
		.amdhsa_system_vgpr_workitem_id 0
		.amdhsa_next_free_vgpr 1
		.amdhsa_next_free_sgpr 1
		.amdhsa_reserve_vcc 0
		.amdhsa_reserve_flat_scratch 0
		.amdhsa_float_round_mode_32 0
		.amdhsa_float_round_mode_16_64 0
		.amdhsa_float_denorm_mode_32 3
		.amdhsa_float_denorm_mode_16_64 3
		.amdhsa_dx10_clamp 1
		.amdhsa_ieee_mode 1
		.amdhsa_fp16_overflow 0
		.amdhsa_workgroup_processor_mode 1
		.amdhsa_memory_ordered 1
		.amdhsa_forward_progress 1
		.amdhsa_shared_vgpr_count 0
		.amdhsa_exception_fp_ieee_invalid_op 0
		.amdhsa_exception_fp_denorm_src 0
		.amdhsa_exception_fp_ieee_div_zero 0
		.amdhsa_exception_fp_ieee_overflow 0
		.amdhsa_exception_fp_ieee_underflow 0
		.amdhsa_exception_fp_ieee_inexact 0
		.amdhsa_exception_int_div_zero 0
	.end_amdhsa_kernel
	.section	.text._ZN7rocprim17ROCPRIM_400000_NS6detail17trampoline_kernelINS0_14default_configENS1_21merge_config_selectorINS0_5tupleIJddEEENS0_10empty_typeEEEZNS1_10merge_implIS3_NS0_12zip_iteratorINS5_IJN6thrust23THRUST_200600_302600_NS6detail15normal_iteratorINSC_10device_ptrIKdEEEESI_EEEEESK_NSA_INS5_IJNSE_INSF_IdEEEESM_EEEEEPS7_SP_SP_NSC_11hip_rocprim7__merge17predicate_wrapperIddNSC_4lessIdEEEEEE10hipError_tPvRmT0_T1_T2_T3_T4_T5_mmT6_P12ihipStream_tbEUlT_E0_NS1_11comp_targetILNS1_3genE10ELNS1_11target_archE1200ELNS1_3gpuE4ELNS1_3repE0EEENS1_30default_config_static_selectorELNS0_4arch9wavefront6targetE0EEEvS10_,"axG",@progbits,_ZN7rocprim17ROCPRIM_400000_NS6detail17trampoline_kernelINS0_14default_configENS1_21merge_config_selectorINS0_5tupleIJddEEENS0_10empty_typeEEEZNS1_10merge_implIS3_NS0_12zip_iteratorINS5_IJN6thrust23THRUST_200600_302600_NS6detail15normal_iteratorINSC_10device_ptrIKdEEEESI_EEEEESK_NSA_INS5_IJNSE_INSF_IdEEEESM_EEEEEPS7_SP_SP_NSC_11hip_rocprim7__merge17predicate_wrapperIddNSC_4lessIdEEEEEE10hipError_tPvRmT0_T1_T2_T3_T4_T5_mmT6_P12ihipStream_tbEUlT_E0_NS1_11comp_targetILNS1_3genE10ELNS1_11target_archE1200ELNS1_3gpuE4ELNS1_3repE0EEENS1_30default_config_static_selectorELNS0_4arch9wavefront6targetE0EEEvS10_,comdat
.Lfunc_end16:
	.size	_ZN7rocprim17ROCPRIM_400000_NS6detail17trampoline_kernelINS0_14default_configENS1_21merge_config_selectorINS0_5tupleIJddEEENS0_10empty_typeEEEZNS1_10merge_implIS3_NS0_12zip_iteratorINS5_IJN6thrust23THRUST_200600_302600_NS6detail15normal_iteratorINSC_10device_ptrIKdEEEESI_EEEEESK_NSA_INS5_IJNSE_INSF_IdEEEESM_EEEEEPS7_SP_SP_NSC_11hip_rocprim7__merge17predicate_wrapperIddNSC_4lessIdEEEEEE10hipError_tPvRmT0_T1_T2_T3_T4_T5_mmT6_P12ihipStream_tbEUlT_E0_NS1_11comp_targetILNS1_3genE10ELNS1_11target_archE1200ELNS1_3gpuE4ELNS1_3repE0EEENS1_30default_config_static_selectorELNS0_4arch9wavefront6targetE0EEEvS10_, .Lfunc_end16-_ZN7rocprim17ROCPRIM_400000_NS6detail17trampoline_kernelINS0_14default_configENS1_21merge_config_selectorINS0_5tupleIJddEEENS0_10empty_typeEEEZNS1_10merge_implIS3_NS0_12zip_iteratorINS5_IJN6thrust23THRUST_200600_302600_NS6detail15normal_iteratorINSC_10device_ptrIKdEEEESI_EEEEESK_NSA_INS5_IJNSE_INSF_IdEEEESM_EEEEEPS7_SP_SP_NSC_11hip_rocprim7__merge17predicate_wrapperIddNSC_4lessIdEEEEEE10hipError_tPvRmT0_T1_T2_T3_T4_T5_mmT6_P12ihipStream_tbEUlT_E0_NS1_11comp_targetILNS1_3genE10ELNS1_11target_archE1200ELNS1_3gpuE4ELNS1_3repE0EEENS1_30default_config_static_selectorELNS0_4arch9wavefront6targetE0EEEvS10_
                                        ; -- End function
	.set _ZN7rocprim17ROCPRIM_400000_NS6detail17trampoline_kernelINS0_14default_configENS1_21merge_config_selectorINS0_5tupleIJddEEENS0_10empty_typeEEEZNS1_10merge_implIS3_NS0_12zip_iteratorINS5_IJN6thrust23THRUST_200600_302600_NS6detail15normal_iteratorINSC_10device_ptrIKdEEEESI_EEEEESK_NSA_INS5_IJNSE_INSF_IdEEEESM_EEEEEPS7_SP_SP_NSC_11hip_rocprim7__merge17predicate_wrapperIddNSC_4lessIdEEEEEE10hipError_tPvRmT0_T1_T2_T3_T4_T5_mmT6_P12ihipStream_tbEUlT_E0_NS1_11comp_targetILNS1_3genE10ELNS1_11target_archE1200ELNS1_3gpuE4ELNS1_3repE0EEENS1_30default_config_static_selectorELNS0_4arch9wavefront6targetE0EEEvS10_.num_vgpr, 0
	.set _ZN7rocprim17ROCPRIM_400000_NS6detail17trampoline_kernelINS0_14default_configENS1_21merge_config_selectorINS0_5tupleIJddEEENS0_10empty_typeEEEZNS1_10merge_implIS3_NS0_12zip_iteratorINS5_IJN6thrust23THRUST_200600_302600_NS6detail15normal_iteratorINSC_10device_ptrIKdEEEESI_EEEEESK_NSA_INS5_IJNSE_INSF_IdEEEESM_EEEEEPS7_SP_SP_NSC_11hip_rocprim7__merge17predicate_wrapperIddNSC_4lessIdEEEEEE10hipError_tPvRmT0_T1_T2_T3_T4_T5_mmT6_P12ihipStream_tbEUlT_E0_NS1_11comp_targetILNS1_3genE10ELNS1_11target_archE1200ELNS1_3gpuE4ELNS1_3repE0EEENS1_30default_config_static_selectorELNS0_4arch9wavefront6targetE0EEEvS10_.num_agpr, 0
	.set _ZN7rocprim17ROCPRIM_400000_NS6detail17trampoline_kernelINS0_14default_configENS1_21merge_config_selectorINS0_5tupleIJddEEENS0_10empty_typeEEEZNS1_10merge_implIS3_NS0_12zip_iteratorINS5_IJN6thrust23THRUST_200600_302600_NS6detail15normal_iteratorINSC_10device_ptrIKdEEEESI_EEEEESK_NSA_INS5_IJNSE_INSF_IdEEEESM_EEEEEPS7_SP_SP_NSC_11hip_rocprim7__merge17predicate_wrapperIddNSC_4lessIdEEEEEE10hipError_tPvRmT0_T1_T2_T3_T4_T5_mmT6_P12ihipStream_tbEUlT_E0_NS1_11comp_targetILNS1_3genE10ELNS1_11target_archE1200ELNS1_3gpuE4ELNS1_3repE0EEENS1_30default_config_static_selectorELNS0_4arch9wavefront6targetE0EEEvS10_.numbered_sgpr, 0
	.set _ZN7rocprim17ROCPRIM_400000_NS6detail17trampoline_kernelINS0_14default_configENS1_21merge_config_selectorINS0_5tupleIJddEEENS0_10empty_typeEEEZNS1_10merge_implIS3_NS0_12zip_iteratorINS5_IJN6thrust23THRUST_200600_302600_NS6detail15normal_iteratorINSC_10device_ptrIKdEEEESI_EEEEESK_NSA_INS5_IJNSE_INSF_IdEEEESM_EEEEEPS7_SP_SP_NSC_11hip_rocprim7__merge17predicate_wrapperIddNSC_4lessIdEEEEEE10hipError_tPvRmT0_T1_T2_T3_T4_T5_mmT6_P12ihipStream_tbEUlT_E0_NS1_11comp_targetILNS1_3genE10ELNS1_11target_archE1200ELNS1_3gpuE4ELNS1_3repE0EEENS1_30default_config_static_selectorELNS0_4arch9wavefront6targetE0EEEvS10_.num_named_barrier, 0
	.set _ZN7rocprim17ROCPRIM_400000_NS6detail17trampoline_kernelINS0_14default_configENS1_21merge_config_selectorINS0_5tupleIJddEEENS0_10empty_typeEEEZNS1_10merge_implIS3_NS0_12zip_iteratorINS5_IJN6thrust23THRUST_200600_302600_NS6detail15normal_iteratorINSC_10device_ptrIKdEEEESI_EEEEESK_NSA_INS5_IJNSE_INSF_IdEEEESM_EEEEEPS7_SP_SP_NSC_11hip_rocprim7__merge17predicate_wrapperIddNSC_4lessIdEEEEEE10hipError_tPvRmT0_T1_T2_T3_T4_T5_mmT6_P12ihipStream_tbEUlT_E0_NS1_11comp_targetILNS1_3genE10ELNS1_11target_archE1200ELNS1_3gpuE4ELNS1_3repE0EEENS1_30default_config_static_selectorELNS0_4arch9wavefront6targetE0EEEvS10_.private_seg_size, 0
	.set _ZN7rocprim17ROCPRIM_400000_NS6detail17trampoline_kernelINS0_14default_configENS1_21merge_config_selectorINS0_5tupleIJddEEENS0_10empty_typeEEEZNS1_10merge_implIS3_NS0_12zip_iteratorINS5_IJN6thrust23THRUST_200600_302600_NS6detail15normal_iteratorINSC_10device_ptrIKdEEEESI_EEEEESK_NSA_INS5_IJNSE_INSF_IdEEEESM_EEEEEPS7_SP_SP_NSC_11hip_rocprim7__merge17predicate_wrapperIddNSC_4lessIdEEEEEE10hipError_tPvRmT0_T1_T2_T3_T4_T5_mmT6_P12ihipStream_tbEUlT_E0_NS1_11comp_targetILNS1_3genE10ELNS1_11target_archE1200ELNS1_3gpuE4ELNS1_3repE0EEENS1_30default_config_static_selectorELNS0_4arch9wavefront6targetE0EEEvS10_.uses_vcc, 0
	.set _ZN7rocprim17ROCPRIM_400000_NS6detail17trampoline_kernelINS0_14default_configENS1_21merge_config_selectorINS0_5tupleIJddEEENS0_10empty_typeEEEZNS1_10merge_implIS3_NS0_12zip_iteratorINS5_IJN6thrust23THRUST_200600_302600_NS6detail15normal_iteratorINSC_10device_ptrIKdEEEESI_EEEEESK_NSA_INS5_IJNSE_INSF_IdEEEESM_EEEEEPS7_SP_SP_NSC_11hip_rocprim7__merge17predicate_wrapperIddNSC_4lessIdEEEEEE10hipError_tPvRmT0_T1_T2_T3_T4_T5_mmT6_P12ihipStream_tbEUlT_E0_NS1_11comp_targetILNS1_3genE10ELNS1_11target_archE1200ELNS1_3gpuE4ELNS1_3repE0EEENS1_30default_config_static_selectorELNS0_4arch9wavefront6targetE0EEEvS10_.uses_flat_scratch, 0
	.set _ZN7rocprim17ROCPRIM_400000_NS6detail17trampoline_kernelINS0_14default_configENS1_21merge_config_selectorINS0_5tupleIJddEEENS0_10empty_typeEEEZNS1_10merge_implIS3_NS0_12zip_iteratorINS5_IJN6thrust23THRUST_200600_302600_NS6detail15normal_iteratorINSC_10device_ptrIKdEEEESI_EEEEESK_NSA_INS5_IJNSE_INSF_IdEEEESM_EEEEEPS7_SP_SP_NSC_11hip_rocprim7__merge17predicate_wrapperIddNSC_4lessIdEEEEEE10hipError_tPvRmT0_T1_T2_T3_T4_T5_mmT6_P12ihipStream_tbEUlT_E0_NS1_11comp_targetILNS1_3genE10ELNS1_11target_archE1200ELNS1_3gpuE4ELNS1_3repE0EEENS1_30default_config_static_selectorELNS0_4arch9wavefront6targetE0EEEvS10_.has_dyn_sized_stack, 0
	.set _ZN7rocprim17ROCPRIM_400000_NS6detail17trampoline_kernelINS0_14default_configENS1_21merge_config_selectorINS0_5tupleIJddEEENS0_10empty_typeEEEZNS1_10merge_implIS3_NS0_12zip_iteratorINS5_IJN6thrust23THRUST_200600_302600_NS6detail15normal_iteratorINSC_10device_ptrIKdEEEESI_EEEEESK_NSA_INS5_IJNSE_INSF_IdEEEESM_EEEEEPS7_SP_SP_NSC_11hip_rocprim7__merge17predicate_wrapperIddNSC_4lessIdEEEEEE10hipError_tPvRmT0_T1_T2_T3_T4_T5_mmT6_P12ihipStream_tbEUlT_E0_NS1_11comp_targetILNS1_3genE10ELNS1_11target_archE1200ELNS1_3gpuE4ELNS1_3repE0EEENS1_30default_config_static_selectorELNS0_4arch9wavefront6targetE0EEEvS10_.has_recursion, 0
	.set _ZN7rocprim17ROCPRIM_400000_NS6detail17trampoline_kernelINS0_14default_configENS1_21merge_config_selectorINS0_5tupleIJddEEENS0_10empty_typeEEEZNS1_10merge_implIS3_NS0_12zip_iteratorINS5_IJN6thrust23THRUST_200600_302600_NS6detail15normal_iteratorINSC_10device_ptrIKdEEEESI_EEEEESK_NSA_INS5_IJNSE_INSF_IdEEEESM_EEEEEPS7_SP_SP_NSC_11hip_rocprim7__merge17predicate_wrapperIddNSC_4lessIdEEEEEE10hipError_tPvRmT0_T1_T2_T3_T4_T5_mmT6_P12ihipStream_tbEUlT_E0_NS1_11comp_targetILNS1_3genE10ELNS1_11target_archE1200ELNS1_3gpuE4ELNS1_3repE0EEENS1_30default_config_static_selectorELNS0_4arch9wavefront6targetE0EEEvS10_.has_indirect_call, 0
	.section	.AMDGPU.csdata,"",@progbits
; Kernel info:
; codeLenInByte = 0
; TotalNumSgprs: 0
; NumVgprs: 0
; ScratchSize: 0
; MemoryBound: 0
; FloatMode: 240
; IeeeMode: 1
; LDSByteSize: 0 bytes/workgroup (compile time only)
; SGPRBlocks: 0
; VGPRBlocks: 0
; NumSGPRsForWavesPerEU: 1
; NumVGPRsForWavesPerEU: 1
; Occupancy: 16
; WaveLimiterHint : 0
; COMPUTE_PGM_RSRC2:SCRATCH_EN: 0
; COMPUTE_PGM_RSRC2:USER_SGPR: 6
; COMPUTE_PGM_RSRC2:TRAP_HANDLER: 0
; COMPUTE_PGM_RSRC2:TGID_X_EN: 1
; COMPUTE_PGM_RSRC2:TGID_Y_EN: 0
; COMPUTE_PGM_RSRC2:TGID_Z_EN: 0
; COMPUTE_PGM_RSRC2:TIDIG_COMP_CNT: 0
	.section	.text._ZN7rocprim17ROCPRIM_400000_NS6detail17trampoline_kernelINS0_14default_configENS1_21merge_config_selectorINS0_5tupleIJddEEENS0_10empty_typeEEEZNS1_10merge_implIS3_NS0_12zip_iteratorINS5_IJN6thrust23THRUST_200600_302600_NS6detail15normal_iteratorINSC_10device_ptrIKdEEEESI_EEEEESK_NSA_INS5_IJNSE_INSF_IdEEEESM_EEEEEPS7_SP_SP_NSC_11hip_rocprim7__merge17predicate_wrapperIddNSC_4lessIdEEEEEE10hipError_tPvRmT0_T1_T2_T3_T4_T5_mmT6_P12ihipStream_tbEUlT_E0_NS1_11comp_targetILNS1_3genE9ELNS1_11target_archE1100ELNS1_3gpuE3ELNS1_3repE0EEENS1_30default_config_static_selectorELNS0_4arch9wavefront6targetE0EEEvS10_,"axG",@progbits,_ZN7rocprim17ROCPRIM_400000_NS6detail17trampoline_kernelINS0_14default_configENS1_21merge_config_selectorINS0_5tupleIJddEEENS0_10empty_typeEEEZNS1_10merge_implIS3_NS0_12zip_iteratorINS5_IJN6thrust23THRUST_200600_302600_NS6detail15normal_iteratorINSC_10device_ptrIKdEEEESI_EEEEESK_NSA_INS5_IJNSE_INSF_IdEEEESM_EEEEEPS7_SP_SP_NSC_11hip_rocprim7__merge17predicate_wrapperIddNSC_4lessIdEEEEEE10hipError_tPvRmT0_T1_T2_T3_T4_T5_mmT6_P12ihipStream_tbEUlT_E0_NS1_11comp_targetILNS1_3genE9ELNS1_11target_archE1100ELNS1_3gpuE3ELNS1_3repE0EEENS1_30default_config_static_selectorELNS0_4arch9wavefront6targetE0EEEvS10_,comdat
	.protected	_ZN7rocprim17ROCPRIM_400000_NS6detail17trampoline_kernelINS0_14default_configENS1_21merge_config_selectorINS0_5tupleIJddEEENS0_10empty_typeEEEZNS1_10merge_implIS3_NS0_12zip_iteratorINS5_IJN6thrust23THRUST_200600_302600_NS6detail15normal_iteratorINSC_10device_ptrIKdEEEESI_EEEEESK_NSA_INS5_IJNSE_INSF_IdEEEESM_EEEEEPS7_SP_SP_NSC_11hip_rocprim7__merge17predicate_wrapperIddNSC_4lessIdEEEEEE10hipError_tPvRmT0_T1_T2_T3_T4_T5_mmT6_P12ihipStream_tbEUlT_E0_NS1_11comp_targetILNS1_3genE9ELNS1_11target_archE1100ELNS1_3gpuE3ELNS1_3repE0EEENS1_30default_config_static_selectorELNS0_4arch9wavefront6targetE0EEEvS10_ ; -- Begin function _ZN7rocprim17ROCPRIM_400000_NS6detail17trampoline_kernelINS0_14default_configENS1_21merge_config_selectorINS0_5tupleIJddEEENS0_10empty_typeEEEZNS1_10merge_implIS3_NS0_12zip_iteratorINS5_IJN6thrust23THRUST_200600_302600_NS6detail15normal_iteratorINSC_10device_ptrIKdEEEESI_EEEEESK_NSA_INS5_IJNSE_INSF_IdEEEESM_EEEEEPS7_SP_SP_NSC_11hip_rocprim7__merge17predicate_wrapperIddNSC_4lessIdEEEEEE10hipError_tPvRmT0_T1_T2_T3_T4_T5_mmT6_P12ihipStream_tbEUlT_E0_NS1_11comp_targetILNS1_3genE9ELNS1_11target_archE1100ELNS1_3gpuE3ELNS1_3repE0EEENS1_30default_config_static_selectorELNS0_4arch9wavefront6targetE0EEEvS10_
	.globl	_ZN7rocprim17ROCPRIM_400000_NS6detail17trampoline_kernelINS0_14default_configENS1_21merge_config_selectorINS0_5tupleIJddEEENS0_10empty_typeEEEZNS1_10merge_implIS3_NS0_12zip_iteratorINS5_IJN6thrust23THRUST_200600_302600_NS6detail15normal_iteratorINSC_10device_ptrIKdEEEESI_EEEEESK_NSA_INS5_IJNSE_INSF_IdEEEESM_EEEEEPS7_SP_SP_NSC_11hip_rocprim7__merge17predicate_wrapperIddNSC_4lessIdEEEEEE10hipError_tPvRmT0_T1_T2_T3_T4_T5_mmT6_P12ihipStream_tbEUlT_E0_NS1_11comp_targetILNS1_3genE9ELNS1_11target_archE1100ELNS1_3gpuE3ELNS1_3repE0EEENS1_30default_config_static_selectorELNS0_4arch9wavefront6targetE0EEEvS10_
	.p2align	8
	.type	_ZN7rocprim17ROCPRIM_400000_NS6detail17trampoline_kernelINS0_14default_configENS1_21merge_config_selectorINS0_5tupleIJddEEENS0_10empty_typeEEEZNS1_10merge_implIS3_NS0_12zip_iteratorINS5_IJN6thrust23THRUST_200600_302600_NS6detail15normal_iteratorINSC_10device_ptrIKdEEEESI_EEEEESK_NSA_INS5_IJNSE_INSF_IdEEEESM_EEEEEPS7_SP_SP_NSC_11hip_rocprim7__merge17predicate_wrapperIddNSC_4lessIdEEEEEE10hipError_tPvRmT0_T1_T2_T3_T4_T5_mmT6_P12ihipStream_tbEUlT_E0_NS1_11comp_targetILNS1_3genE9ELNS1_11target_archE1100ELNS1_3gpuE3ELNS1_3repE0EEENS1_30default_config_static_selectorELNS0_4arch9wavefront6targetE0EEEvS10_,@function
_ZN7rocprim17ROCPRIM_400000_NS6detail17trampoline_kernelINS0_14default_configENS1_21merge_config_selectorINS0_5tupleIJddEEENS0_10empty_typeEEEZNS1_10merge_implIS3_NS0_12zip_iteratorINS5_IJN6thrust23THRUST_200600_302600_NS6detail15normal_iteratorINSC_10device_ptrIKdEEEESI_EEEEESK_NSA_INS5_IJNSE_INSF_IdEEEESM_EEEEEPS7_SP_SP_NSC_11hip_rocprim7__merge17predicate_wrapperIddNSC_4lessIdEEEEEE10hipError_tPvRmT0_T1_T2_T3_T4_T5_mmT6_P12ihipStream_tbEUlT_E0_NS1_11comp_targetILNS1_3genE9ELNS1_11target_archE1100ELNS1_3gpuE3ELNS1_3repE0EEENS1_30default_config_static_selectorELNS0_4arch9wavefront6targetE0EEEvS10_: ; @_ZN7rocprim17ROCPRIM_400000_NS6detail17trampoline_kernelINS0_14default_configENS1_21merge_config_selectorINS0_5tupleIJddEEENS0_10empty_typeEEEZNS1_10merge_implIS3_NS0_12zip_iteratorINS5_IJN6thrust23THRUST_200600_302600_NS6detail15normal_iteratorINSC_10device_ptrIKdEEEESI_EEEEESK_NSA_INS5_IJNSE_INSF_IdEEEESM_EEEEEPS7_SP_SP_NSC_11hip_rocprim7__merge17predicate_wrapperIddNSC_4lessIdEEEEEE10hipError_tPvRmT0_T1_T2_T3_T4_T5_mmT6_P12ihipStream_tbEUlT_E0_NS1_11comp_targetILNS1_3genE9ELNS1_11target_archE1100ELNS1_3gpuE3ELNS1_3repE0EEENS1_30default_config_static_selectorELNS0_4arch9wavefront6targetE0EEEvS10_
; %bb.0:
	.section	.rodata,"a",@progbits
	.p2align	6, 0x0
	.amdhsa_kernel _ZN7rocprim17ROCPRIM_400000_NS6detail17trampoline_kernelINS0_14default_configENS1_21merge_config_selectorINS0_5tupleIJddEEENS0_10empty_typeEEEZNS1_10merge_implIS3_NS0_12zip_iteratorINS5_IJN6thrust23THRUST_200600_302600_NS6detail15normal_iteratorINSC_10device_ptrIKdEEEESI_EEEEESK_NSA_INS5_IJNSE_INSF_IdEEEESM_EEEEEPS7_SP_SP_NSC_11hip_rocprim7__merge17predicate_wrapperIddNSC_4lessIdEEEEEE10hipError_tPvRmT0_T1_T2_T3_T4_T5_mmT6_P12ihipStream_tbEUlT_E0_NS1_11comp_targetILNS1_3genE9ELNS1_11target_archE1100ELNS1_3gpuE3ELNS1_3repE0EEENS1_30default_config_static_selectorELNS0_4arch9wavefront6targetE0EEEvS10_
		.amdhsa_group_segment_fixed_size 0
		.amdhsa_private_segment_fixed_size 0
		.amdhsa_kernarg_size 112
		.amdhsa_user_sgpr_count 6
		.amdhsa_user_sgpr_private_segment_buffer 1
		.amdhsa_user_sgpr_dispatch_ptr 0
		.amdhsa_user_sgpr_queue_ptr 0
		.amdhsa_user_sgpr_kernarg_segment_ptr 1
		.amdhsa_user_sgpr_dispatch_id 0
		.amdhsa_user_sgpr_flat_scratch_init 0
		.amdhsa_user_sgpr_private_segment_size 0
		.amdhsa_wavefront_size32 1
		.amdhsa_uses_dynamic_stack 0
		.amdhsa_system_sgpr_private_segment_wavefront_offset 0
		.amdhsa_system_sgpr_workgroup_id_x 1
		.amdhsa_system_sgpr_workgroup_id_y 0
		.amdhsa_system_sgpr_workgroup_id_z 0
		.amdhsa_system_sgpr_workgroup_info 0
		.amdhsa_system_vgpr_workitem_id 0
		.amdhsa_next_free_vgpr 1
		.amdhsa_next_free_sgpr 1
		.amdhsa_reserve_vcc 0
		.amdhsa_reserve_flat_scratch 0
		.amdhsa_float_round_mode_32 0
		.amdhsa_float_round_mode_16_64 0
		.amdhsa_float_denorm_mode_32 3
		.amdhsa_float_denorm_mode_16_64 3
		.amdhsa_dx10_clamp 1
		.amdhsa_ieee_mode 1
		.amdhsa_fp16_overflow 0
		.amdhsa_workgroup_processor_mode 1
		.amdhsa_memory_ordered 1
		.amdhsa_forward_progress 1
		.amdhsa_shared_vgpr_count 0
		.amdhsa_exception_fp_ieee_invalid_op 0
		.amdhsa_exception_fp_denorm_src 0
		.amdhsa_exception_fp_ieee_div_zero 0
		.amdhsa_exception_fp_ieee_overflow 0
		.amdhsa_exception_fp_ieee_underflow 0
		.amdhsa_exception_fp_ieee_inexact 0
		.amdhsa_exception_int_div_zero 0
	.end_amdhsa_kernel
	.section	.text._ZN7rocprim17ROCPRIM_400000_NS6detail17trampoline_kernelINS0_14default_configENS1_21merge_config_selectorINS0_5tupleIJddEEENS0_10empty_typeEEEZNS1_10merge_implIS3_NS0_12zip_iteratorINS5_IJN6thrust23THRUST_200600_302600_NS6detail15normal_iteratorINSC_10device_ptrIKdEEEESI_EEEEESK_NSA_INS5_IJNSE_INSF_IdEEEESM_EEEEEPS7_SP_SP_NSC_11hip_rocprim7__merge17predicate_wrapperIddNSC_4lessIdEEEEEE10hipError_tPvRmT0_T1_T2_T3_T4_T5_mmT6_P12ihipStream_tbEUlT_E0_NS1_11comp_targetILNS1_3genE9ELNS1_11target_archE1100ELNS1_3gpuE3ELNS1_3repE0EEENS1_30default_config_static_selectorELNS0_4arch9wavefront6targetE0EEEvS10_,"axG",@progbits,_ZN7rocprim17ROCPRIM_400000_NS6detail17trampoline_kernelINS0_14default_configENS1_21merge_config_selectorINS0_5tupleIJddEEENS0_10empty_typeEEEZNS1_10merge_implIS3_NS0_12zip_iteratorINS5_IJN6thrust23THRUST_200600_302600_NS6detail15normal_iteratorINSC_10device_ptrIKdEEEESI_EEEEESK_NSA_INS5_IJNSE_INSF_IdEEEESM_EEEEEPS7_SP_SP_NSC_11hip_rocprim7__merge17predicate_wrapperIddNSC_4lessIdEEEEEE10hipError_tPvRmT0_T1_T2_T3_T4_T5_mmT6_P12ihipStream_tbEUlT_E0_NS1_11comp_targetILNS1_3genE9ELNS1_11target_archE1100ELNS1_3gpuE3ELNS1_3repE0EEENS1_30default_config_static_selectorELNS0_4arch9wavefront6targetE0EEEvS10_,comdat
.Lfunc_end17:
	.size	_ZN7rocprim17ROCPRIM_400000_NS6detail17trampoline_kernelINS0_14default_configENS1_21merge_config_selectorINS0_5tupleIJddEEENS0_10empty_typeEEEZNS1_10merge_implIS3_NS0_12zip_iteratorINS5_IJN6thrust23THRUST_200600_302600_NS6detail15normal_iteratorINSC_10device_ptrIKdEEEESI_EEEEESK_NSA_INS5_IJNSE_INSF_IdEEEESM_EEEEEPS7_SP_SP_NSC_11hip_rocprim7__merge17predicate_wrapperIddNSC_4lessIdEEEEEE10hipError_tPvRmT0_T1_T2_T3_T4_T5_mmT6_P12ihipStream_tbEUlT_E0_NS1_11comp_targetILNS1_3genE9ELNS1_11target_archE1100ELNS1_3gpuE3ELNS1_3repE0EEENS1_30default_config_static_selectorELNS0_4arch9wavefront6targetE0EEEvS10_, .Lfunc_end17-_ZN7rocprim17ROCPRIM_400000_NS6detail17trampoline_kernelINS0_14default_configENS1_21merge_config_selectorINS0_5tupleIJddEEENS0_10empty_typeEEEZNS1_10merge_implIS3_NS0_12zip_iteratorINS5_IJN6thrust23THRUST_200600_302600_NS6detail15normal_iteratorINSC_10device_ptrIKdEEEESI_EEEEESK_NSA_INS5_IJNSE_INSF_IdEEEESM_EEEEEPS7_SP_SP_NSC_11hip_rocprim7__merge17predicate_wrapperIddNSC_4lessIdEEEEEE10hipError_tPvRmT0_T1_T2_T3_T4_T5_mmT6_P12ihipStream_tbEUlT_E0_NS1_11comp_targetILNS1_3genE9ELNS1_11target_archE1100ELNS1_3gpuE3ELNS1_3repE0EEENS1_30default_config_static_selectorELNS0_4arch9wavefront6targetE0EEEvS10_
                                        ; -- End function
	.set _ZN7rocprim17ROCPRIM_400000_NS6detail17trampoline_kernelINS0_14default_configENS1_21merge_config_selectorINS0_5tupleIJddEEENS0_10empty_typeEEEZNS1_10merge_implIS3_NS0_12zip_iteratorINS5_IJN6thrust23THRUST_200600_302600_NS6detail15normal_iteratorINSC_10device_ptrIKdEEEESI_EEEEESK_NSA_INS5_IJNSE_INSF_IdEEEESM_EEEEEPS7_SP_SP_NSC_11hip_rocprim7__merge17predicate_wrapperIddNSC_4lessIdEEEEEE10hipError_tPvRmT0_T1_T2_T3_T4_T5_mmT6_P12ihipStream_tbEUlT_E0_NS1_11comp_targetILNS1_3genE9ELNS1_11target_archE1100ELNS1_3gpuE3ELNS1_3repE0EEENS1_30default_config_static_selectorELNS0_4arch9wavefront6targetE0EEEvS10_.num_vgpr, 0
	.set _ZN7rocprim17ROCPRIM_400000_NS6detail17trampoline_kernelINS0_14default_configENS1_21merge_config_selectorINS0_5tupleIJddEEENS0_10empty_typeEEEZNS1_10merge_implIS3_NS0_12zip_iteratorINS5_IJN6thrust23THRUST_200600_302600_NS6detail15normal_iteratorINSC_10device_ptrIKdEEEESI_EEEEESK_NSA_INS5_IJNSE_INSF_IdEEEESM_EEEEEPS7_SP_SP_NSC_11hip_rocprim7__merge17predicate_wrapperIddNSC_4lessIdEEEEEE10hipError_tPvRmT0_T1_T2_T3_T4_T5_mmT6_P12ihipStream_tbEUlT_E0_NS1_11comp_targetILNS1_3genE9ELNS1_11target_archE1100ELNS1_3gpuE3ELNS1_3repE0EEENS1_30default_config_static_selectorELNS0_4arch9wavefront6targetE0EEEvS10_.num_agpr, 0
	.set _ZN7rocprim17ROCPRIM_400000_NS6detail17trampoline_kernelINS0_14default_configENS1_21merge_config_selectorINS0_5tupleIJddEEENS0_10empty_typeEEEZNS1_10merge_implIS3_NS0_12zip_iteratorINS5_IJN6thrust23THRUST_200600_302600_NS6detail15normal_iteratorINSC_10device_ptrIKdEEEESI_EEEEESK_NSA_INS5_IJNSE_INSF_IdEEEESM_EEEEEPS7_SP_SP_NSC_11hip_rocprim7__merge17predicate_wrapperIddNSC_4lessIdEEEEEE10hipError_tPvRmT0_T1_T2_T3_T4_T5_mmT6_P12ihipStream_tbEUlT_E0_NS1_11comp_targetILNS1_3genE9ELNS1_11target_archE1100ELNS1_3gpuE3ELNS1_3repE0EEENS1_30default_config_static_selectorELNS0_4arch9wavefront6targetE0EEEvS10_.numbered_sgpr, 0
	.set _ZN7rocprim17ROCPRIM_400000_NS6detail17trampoline_kernelINS0_14default_configENS1_21merge_config_selectorINS0_5tupleIJddEEENS0_10empty_typeEEEZNS1_10merge_implIS3_NS0_12zip_iteratorINS5_IJN6thrust23THRUST_200600_302600_NS6detail15normal_iteratorINSC_10device_ptrIKdEEEESI_EEEEESK_NSA_INS5_IJNSE_INSF_IdEEEESM_EEEEEPS7_SP_SP_NSC_11hip_rocprim7__merge17predicate_wrapperIddNSC_4lessIdEEEEEE10hipError_tPvRmT0_T1_T2_T3_T4_T5_mmT6_P12ihipStream_tbEUlT_E0_NS1_11comp_targetILNS1_3genE9ELNS1_11target_archE1100ELNS1_3gpuE3ELNS1_3repE0EEENS1_30default_config_static_selectorELNS0_4arch9wavefront6targetE0EEEvS10_.num_named_barrier, 0
	.set _ZN7rocprim17ROCPRIM_400000_NS6detail17trampoline_kernelINS0_14default_configENS1_21merge_config_selectorINS0_5tupleIJddEEENS0_10empty_typeEEEZNS1_10merge_implIS3_NS0_12zip_iteratorINS5_IJN6thrust23THRUST_200600_302600_NS6detail15normal_iteratorINSC_10device_ptrIKdEEEESI_EEEEESK_NSA_INS5_IJNSE_INSF_IdEEEESM_EEEEEPS7_SP_SP_NSC_11hip_rocprim7__merge17predicate_wrapperIddNSC_4lessIdEEEEEE10hipError_tPvRmT0_T1_T2_T3_T4_T5_mmT6_P12ihipStream_tbEUlT_E0_NS1_11comp_targetILNS1_3genE9ELNS1_11target_archE1100ELNS1_3gpuE3ELNS1_3repE0EEENS1_30default_config_static_selectorELNS0_4arch9wavefront6targetE0EEEvS10_.private_seg_size, 0
	.set _ZN7rocprim17ROCPRIM_400000_NS6detail17trampoline_kernelINS0_14default_configENS1_21merge_config_selectorINS0_5tupleIJddEEENS0_10empty_typeEEEZNS1_10merge_implIS3_NS0_12zip_iteratorINS5_IJN6thrust23THRUST_200600_302600_NS6detail15normal_iteratorINSC_10device_ptrIKdEEEESI_EEEEESK_NSA_INS5_IJNSE_INSF_IdEEEESM_EEEEEPS7_SP_SP_NSC_11hip_rocprim7__merge17predicate_wrapperIddNSC_4lessIdEEEEEE10hipError_tPvRmT0_T1_T2_T3_T4_T5_mmT6_P12ihipStream_tbEUlT_E0_NS1_11comp_targetILNS1_3genE9ELNS1_11target_archE1100ELNS1_3gpuE3ELNS1_3repE0EEENS1_30default_config_static_selectorELNS0_4arch9wavefront6targetE0EEEvS10_.uses_vcc, 0
	.set _ZN7rocprim17ROCPRIM_400000_NS6detail17trampoline_kernelINS0_14default_configENS1_21merge_config_selectorINS0_5tupleIJddEEENS0_10empty_typeEEEZNS1_10merge_implIS3_NS0_12zip_iteratorINS5_IJN6thrust23THRUST_200600_302600_NS6detail15normal_iteratorINSC_10device_ptrIKdEEEESI_EEEEESK_NSA_INS5_IJNSE_INSF_IdEEEESM_EEEEEPS7_SP_SP_NSC_11hip_rocprim7__merge17predicate_wrapperIddNSC_4lessIdEEEEEE10hipError_tPvRmT0_T1_T2_T3_T4_T5_mmT6_P12ihipStream_tbEUlT_E0_NS1_11comp_targetILNS1_3genE9ELNS1_11target_archE1100ELNS1_3gpuE3ELNS1_3repE0EEENS1_30default_config_static_selectorELNS0_4arch9wavefront6targetE0EEEvS10_.uses_flat_scratch, 0
	.set _ZN7rocprim17ROCPRIM_400000_NS6detail17trampoline_kernelINS0_14default_configENS1_21merge_config_selectorINS0_5tupleIJddEEENS0_10empty_typeEEEZNS1_10merge_implIS3_NS0_12zip_iteratorINS5_IJN6thrust23THRUST_200600_302600_NS6detail15normal_iteratorINSC_10device_ptrIKdEEEESI_EEEEESK_NSA_INS5_IJNSE_INSF_IdEEEESM_EEEEEPS7_SP_SP_NSC_11hip_rocprim7__merge17predicate_wrapperIddNSC_4lessIdEEEEEE10hipError_tPvRmT0_T1_T2_T3_T4_T5_mmT6_P12ihipStream_tbEUlT_E0_NS1_11comp_targetILNS1_3genE9ELNS1_11target_archE1100ELNS1_3gpuE3ELNS1_3repE0EEENS1_30default_config_static_selectorELNS0_4arch9wavefront6targetE0EEEvS10_.has_dyn_sized_stack, 0
	.set _ZN7rocprim17ROCPRIM_400000_NS6detail17trampoline_kernelINS0_14default_configENS1_21merge_config_selectorINS0_5tupleIJddEEENS0_10empty_typeEEEZNS1_10merge_implIS3_NS0_12zip_iteratorINS5_IJN6thrust23THRUST_200600_302600_NS6detail15normal_iteratorINSC_10device_ptrIKdEEEESI_EEEEESK_NSA_INS5_IJNSE_INSF_IdEEEESM_EEEEEPS7_SP_SP_NSC_11hip_rocprim7__merge17predicate_wrapperIddNSC_4lessIdEEEEEE10hipError_tPvRmT0_T1_T2_T3_T4_T5_mmT6_P12ihipStream_tbEUlT_E0_NS1_11comp_targetILNS1_3genE9ELNS1_11target_archE1100ELNS1_3gpuE3ELNS1_3repE0EEENS1_30default_config_static_selectorELNS0_4arch9wavefront6targetE0EEEvS10_.has_recursion, 0
	.set _ZN7rocprim17ROCPRIM_400000_NS6detail17trampoline_kernelINS0_14default_configENS1_21merge_config_selectorINS0_5tupleIJddEEENS0_10empty_typeEEEZNS1_10merge_implIS3_NS0_12zip_iteratorINS5_IJN6thrust23THRUST_200600_302600_NS6detail15normal_iteratorINSC_10device_ptrIKdEEEESI_EEEEESK_NSA_INS5_IJNSE_INSF_IdEEEESM_EEEEEPS7_SP_SP_NSC_11hip_rocprim7__merge17predicate_wrapperIddNSC_4lessIdEEEEEE10hipError_tPvRmT0_T1_T2_T3_T4_T5_mmT6_P12ihipStream_tbEUlT_E0_NS1_11comp_targetILNS1_3genE9ELNS1_11target_archE1100ELNS1_3gpuE3ELNS1_3repE0EEENS1_30default_config_static_selectorELNS0_4arch9wavefront6targetE0EEEvS10_.has_indirect_call, 0
	.section	.AMDGPU.csdata,"",@progbits
; Kernel info:
; codeLenInByte = 0
; TotalNumSgprs: 0
; NumVgprs: 0
; ScratchSize: 0
; MemoryBound: 0
; FloatMode: 240
; IeeeMode: 1
; LDSByteSize: 0 bytes/workgroup (compile time only)
; SGPRBlocks: 0
; VGPRBlocks: 0
; NumSGPRsForWavesPerEU: 1
; NumVGPRsForWavesPerEU: 1
; Occupancy: 16
; WaveLimiterHint : 0
; COMPUTE_PGM_RSRC2:SCRATCH_EN: 0
; COMPUTE_PGM_RSRC2:USER_SGPR: 6
; COMPUTE_PGM_RSRC2:TRAP_HANDLER: 0
; COMPUTE_PGM_RSRC2:TGID_X_EN: 1
; COMPUTE_PGM_RSRC2:TGID_Y_EN: 0
; COMPUTE_PGM_RSRC2:TGID_Z_EN: 0
; COMPUTE_PGM_RSRC2:TIDIG_COMP_CNT: 0
	.section	.text._ZN7rocprim17ROCPRIM_400000_NS6detail17trampoline_kernelINS0_14default_configENS1_21merge_config_selectorINS0_5tupleIJddEEENS0_10empty_typeEEEZNS1_10merge_implIS3_NS0_12zip_iteratorINS5_IJN6thrust23THRUST_200600_302600_NS6detail15normal_iteratorINSC_10device_ptrIKdEEEESI_EEEEESK_NSA_INS5_IJNSE_INSF_IdEEEESM_EEEEEPS7_SP_SP_NSC_11hip_rocprim7__merge17predicate_wrapperIddNSC_4lessIdEEEEEE10hipError_tPvRmT0_T1_T2_T3_T4_T5_mmT6_P12ihipStream_tbEUlT_E0_NS1_11comp_targetILNS1_3genE8ELNS1_11target_archE1030ELNS1_3gpuE2ELNS1_3repE0EEENS1_30default_config_static_selectorELNS0_4arch9wavefront6targetE0EEEvS10_,"axG",@progbits,_ZN7rocprim17ROCPRIM_400000_NS6detail17trampoline_kernelINS0_14default_configENS1_21merge_config_selectorINS0_5tupleIJddEEENS0_10empty_typeEEEZNS1_10merge_implIS3_NS0_12zip_iteratorINS5_IJN6thrust23THRUST_200600_302600_NS6detail15normal_iteratorINSC_10device_ptrIKdEEEESI_EEEEESK_NSA_INS5_IJNSE_INSF_IdEEEESM_EEEEEPS7_SP_SP_NSC_11hip_rocprim7__merge17predicate_wrapperIddNSC_4lessIdEEEEEE10hipError_tPvRmT0_T1_T2_T3_T4_T5_mmT6_P12ihipStream_tbEUlT_E0_NS1_11comp_targetILNS1_3genE8ELNS1_11target_archE1030ELNS1_3gpuE2ELNS1_3repE0EEENS1_30default_config_static_selectorELNS0_4arch9wavefront6targetE0EEEvS10_,comdat
	.protected	_ZN7rocprim17ROCPRIM_400000_NS6detail17trampoline_kernelINS0_14default_configENS1_21merge_config_selectorINS0_5tupleIJddEEENS0_10empty_typeEEEZNS1_10merge_implIS3_NS0_12zip_iteratorINS5_IJN6thrust23THRUST_200600_302600_NS6detail15normal_iteratorINSC_10device_ptrIKdEEEESI_EEEEESK_NSA_INS5_IJNSE_INSF_IdEEEESM_EEEEEPS7_SP_SP_NSC_11hip_rocprim7__merge17predicate_wrapperIddNSC_4lessIdEEEEEE10hipError_tPvRmT0_T1_T2_T3_T4_T5_mmT6_P12ihipStream_tbEUlT_E0_NS1_11comp_targetILNS1_3genE8ELNS1_11target_archE1030ELNS1_3gpuE2ELNS1_3repE0EEENS1_30default_config_static_selectorELNS0_4arch9wavefront6targetE0EEEvS10_ ; -- Begin function _ZN7rocprim17ROCPRIM_400000_NS6detail17trampoline_kernelINS0_14default_configENS1_21merge_config_selectorINS0_5tupleIJddEEENS0_10empty_typeEEEZNS1_10merge_implIS3_NS0_12zip_iteratorINS5_IJN6thrust23THRUST_200600_302600_NS6detail15normal_iteratorINSC_10device_ptrIKdEEEESI_EEEEESK_NSA_INS5_IJNSE_INSF_IdEEEESM_EEEEEPS7_SP_SP_NSC_11hip_rocprim7__merge17predicate_wrapperIddNSC_4lessIdEEEEEE10hipError_tPvRmT0_T1_T2_T3_T4_T5_mmT6_P12ihipStream_tbEUlT_E0_NS1_11comp_targetILNS1_3genE8ELNS1_11target_archE1030ELNS1_3gpuE2ELNS1_3repE0EEENS1_30default_config_static_selectorELNS0_4arch9wavefront6targetE0EEEvS10_
	.globl	_ZN7rocprim17ROCPRIM_400000_NS6detail17trampoline_kernelINS0_14default_configENS1_21merge_config_selectorINS0_5tupleIJddEEENS0_10empty_typeEEEZNS1_10merge_implIS3_NS0_12zip_iteratorINS5_IJN6thrust23THRUST_200600_302600_NS6detail15normal_iteratorINSC_10device_ptrIKdEEEESI_EEEEESK_NSA_INS5_IJNSE_INSF_IdEEEESM_EEEEEPS7_SP_SP_NSC_11hip_rocprim7__merge17predicate_wrapperIddNSC_4lessIdEEEEEE10hipError_tPvRmT0_T1_T2_T3_T4_T5_mmT6_P12ihipStream_tbEUlT_E0_NS1_11comp_targetILNS1_3genE8ELNS1_11target_archE1030ELNS1_3gpuE2ELNS1_3repE0EEENS1_30default_config_static_selectorELNS0_4arch9wavefront6targetE0EEEvS10_
	.p2align	8
	.type	_ZN7rocprim17ROCPRIM_400000_NS6detail17trampoline_kernelINS0_14default_configENS1_21merge_config_selectorINS0_5tupleIJddEEENS0_10empty_typeEEEZNS1_10merge_implIS3_NS0_12zip_iteratorINS5_IJN6thrust23THRUST_200600_302600_NS6detail15normal_iteratorINSC_10device_ptrIKdEEEESI_EEEEESK_NSA_INS5_IJNSE_INSF_IdEEEESM_EEEEEPS7_SP_SP_NSC_11hip_rocprim7__merge17predicate_wrapperIddNSC_4lessIdEEEEEE10hipError_tPvRmT0_T1_T2_T3_T4_T5_mmT6_P12ihipStream_tbEUlT_E0_NS1_11comp_targetILNS1_3genE8ELNS1_11target_archE1030ELNS1_3gpuE2ELNS1_3repE0EEENS1_30default_config_static_selectorELNS0_4arch9wavefront6targetE0EEEvS10_,@function
_ZN7rocprim17ROCPRIM_400000_NS6detail17trampoline_kernelINS0_14default_configENS1_21merge_config_selectorINS0_5tupleIJddEEENS0_10empty_typeEEEZNS1_10merge_implIS3_NS0_12zip_iteratorINS5_IJN6thrust23THRUST_200600_302600_NS6detail15normal_iteratorINSC_10device_ptrIKdEEEESI_EEEEESK_NSA_INS5_IJNSE_INSF_IdEEEESM_EEEEEPS7_SP_SP_NSC_11hip_rocprim7__merge17predicate_wrapperIddNSC_4lessIdEEEEEE10hipError_tPvRmT0_T1_T2_T3_T4_T5_mmT6_P12ihipStream_tbEUlT_E0_NS1_11comp_targetILNS1_3genE8ELNS1_11target_archE1030ELNS1_3gpuE2ELNS1_3repE0EEENS1_30default_config_static_selectorELNS0_4arch9wavefront6targetE0EEEvS10_: ; @_ZN7rocprim17ROCPRIM_400000_NS6detail17trampoline_kernelINS0_14default_configENS1_21merge_config_selectorINS0_5tupleIJddEEENS0_10empty_typeEEEZNS1_10merge_implIS3_NS0_12zip_iteratorINS5_IJN6thrust23THRUST_200600_302600_NS6detail15normal_iteratorINSC_10device_ptrIKdEEEESI_EEEEESK_NSA_INS5_IJNSE_INSF_IdEEEESM_EEEEEPS7_SP_SP_NSC_11hip_rocprim7__merge17predicate_wrapperIddNSC_4lessIdEEEEEE10hipError_tPvRmT0_T1_T2_T3_T4_T5_mmT6_P12ihipStream_tbEUlT_E0_NS1_11comp_targetILNS1_3genE8ELNS1_11target_archE1030ELNS1_3gpuE2ELNS1_3repE0EEENS1_30default_config_static_selectorELNS0_4arch9wavefront6targetE0EEEvS10_
; %bb.0:
	s_clause 0x2
	s_load_dwordx4 s[0:3], s[4:5], 0x58
	s_load_dwordx8 s[8:15], s[4:5], 0x8
	s_load_dwordx4 s[16:19], s[4:5], 0x28
	s_mov_b32 s23, 0
	v_mov_b32_e32 v1, 0
	s_mov_b32 s25, s23
	s_waitcnt lgkmcnt(0)
	s_add_i32 s20, s2, s0
	s_add_i32 s0, s20, 0x7ff
	s_lshr_b32 s0, s0, 11
	s_min_u32 s1, s6, s0
	s_lshl_b32 s1, s1, 2
	s_load_dword s22, s[8:9], s1 offset:0x0
	s_add_i32 s1, s6, 1
	s_min_u32 s0, s1, s0
	s_lshl_b32 s0, s0, 2
	s_load_dword s9, s[8:9], s0 offset:0x0
	s_lshl_b32 s8, s6, 11
	s_add_i32 s0, s8, 0x800
	s_min_u32 s21, s20, s0
	s_waitcnt lgkmcnt(0)
	s_lshl_b64 s[2:3], s[22:23], 3
	s_sub_i32 s24, s8, s22
	s_add_u32 s0, s10, s2
	s_addc_u32 s1, s11, s3
	s_add_u32 s2, s12, s2
	s_addc_u32 s3, s13, s3
	s_lshl_b64 s[10:11], s[24:25], 3
	s_add_u32 s6, s14, s10
	s_addc_u32 s7, s15, s11
	s_add_u32 s10, s16, s10
	s_addc_u32 s11, s17, s11
	s_add_i32 s12, s24, s9
	s_sub_i32 s9, s9, s22
	s_sub_i32 s14, s21, s12
	s_mov_b32 s15, exec_lo
	s_add_u32 s12, s14, s9
	s_addc_u32 s13, 0, 0
	v_cmpx_le_u32_e64 s9, v0
	s_xor_b32 s15, exec_lo, s15
	s_cbranch_execz .LBB18_4
; %bb.1:
	s_mov_b32 s16, exec_lo
	v_cmpx_gt_u64_e64 s[12:13], v[0:1]
	s_cbranch_execz .LBB18_3
; %bb.2:
	v_subrev_nc_u32_e32 v1, s9, v0
	v_lshlrev_b32_e32 v5, 4, v0
	v_lshlrev_b32_e32 v3, 3, v1
	s_clause 0x1
	global_load_dwordx2 v[1:2], v3, s[6:7]
	global_load_dwordx2 v[3:4], v3, s[10:11]
	s_waitcnt vmcnt(0)
	ds_write_b128 v5, v[1:4]
.LBB18_3:
	s_or_b32 exec_lo, exec_lo, s16
.LBB18_4:
	s_or_saveexec_b32 s15, s15
	v_lshlrev_b32_e32 v41, 3, v0
	v_lshlrev_b32_e32 v42, 4, v0
	s_xor_b32 exec_lo, exec_lo, s15
	s_cbranch_execz .LBB18_6
; %bb.5:
	s_clause 0x1
	global_load_dwordx2 v[1:2], v41, s[0:1]
	global_load_dwordx2 v[3:4], v41, s[2:3]
	s_waitcnt vmcnt(0)
	ds_write_b128 v42, v[1:4]
.LBB18_6:
	s_or_b32 exec_lo, exec_lo, s15
	v_or_b32_e32 v33, 0x100, v0
	v_mov_b32_e32 v34, 0
	s_mov_b32 s15, exec_lo
	v_cmpx_le_u32_e64 s9, v33
	s_xor_b32 s15, exec_lo, s15
	s_cbranch_execz .LBB18_10
; %bb.7:
	s_mov_b32 s16, exec_lo
	v_cmpx_gt_u64_e64 s[12:13], v[33:34]
	s_cbranch_execz .LBB18_9
; %bb.8:
	v_subrev_nc_u32_e32 v1, s9, v33
	v_lshlrev_b32_e32 v3, 3, v1
	s_clause 0x1
	global_load_dwordx2 v[1:2], v3, s[6:7]
	global_load_dwordx2 v[3:4], v3, s[10:11]
	s_waitcnt vmcnt(0)
	ds_write_b128 v42, v[1:4] offset:4096
.LBB18_9:
	s_or_b32 exec_lo, exec_lo, s16
.LBB18_10:
	s_andn2_saveexec_b32 s15, s15
	s_cbranch_execz .LBB18_12
; %bb.11:
	v_lshlrev_b32_e32 v3, 3, v33
	s_clause 0x1
	global_load_dwordx2 v[1:2], v3, s[0:1]
	global_load_dwordx2 v[3:4], v3, s[2:3]
	s_waitcnt vmcnt(0)
	ds_write_b128 v42, v[1:4] offset:4096
.LBB18_12:
	s_or_b32 exec_lo, exec_lo, s15
	v_or_b32_e32 v34, 0x200, v0
	v_mov_b32_e32 v35, 0
	s_mov_b32 s15, exec_lo
	v_cmpx_le_u32_e64 s9, v34
	s_xor_b32 s15, exec_lo, s15
	s_cbranch_execz .LBB18_16
; %bb.13:
	s_mov_b32 s16, exec_lo
	v_cmpx_gt_u64_e64 s[12:13], v[34:35]
	s_cbranch_execz .LBB18_15
; %bb.14:
	v_subrev_nc_u32_e32 v1, s9, v34
	v_lshlrev_b32_e32 v3, 3, v1
	s_clause 0x1
	global_load_dwordx2 v[1:2], v3, s[6:7]
	global_load_dwordx2 v[3:4], v3, s[10:11]
	s_waitcnt vmcnt(0)
	ds_write_b128 v42, v[1:4] offset:8192
.LBB18_15:
	s_or_b32 exec_lo, exec_lo, s16
.LBB18_16:
	s_andn2_saveexec_b32 s15, s15
	s_cbranch_execz .LBB18_18
; %bb.17:
	v_lshlrev_b32_e32 v3, 3, v34
	s_clause 0x1
	global_load_dwordx2 v[1:2], v3, s[0:1]
	global_load_dwordx2 v[3:4], v3, s[2:3]
	s_waitcnt vmcnt(0)
	ds_write_b128 v42, v[1:4] offset:8192
.LBB18_18:
	;; [unrolled: 32-line block ×6, first 2 shown]
	s_or_b32 exec_lo, exec_lo, s15
	v_or_b32_e32 v39, 0x700, v0
	v_mov_b32_e32 v40, 0
	s_mov_b32 s15, exec_lo
	v_cmpx_le_u32_e64 s9, v39
	s_xor_b32 s15, exec_lo, s15
	s_cbranch_execz .LBB18_46
; %bb.43:
	v_cmp_gt_u64_e32 vcc_lo, s[12:13], v[39:40]
	s_and_saveexec_b32 s12, vcc_lo
	s_cbranch_execz .LBB18_45
; %bb.44:
	v_subrev_nc_u32_e32 v1, s9, v39
	v_lshlrev_b32_e32 v3, 3, v1
	s_clause 0x1
	global_load_dwordx2 v[1:2], v3, s[6:7]
	global_load_dwordx2 v[3:4], v3, s[10:11]
	s_waitcnt vmcnt(0)
	ds_write_b128 v42, v[1:4] offset:28672
.LBB18_45:
	s_or_b32 exec_lo, exec_lo, s12
.LBB18_46:
	s_or_saveexec_b32 s6, s15
	s_load_dwordx2 s[10:11], s[4:5], 0x38
	s_xor_b32 exec_lo, exec_lo, s6
	s_cbranch_execz .LBB18_48
; %bb.47:
	v_lshlrev_b32_e32 v3, 3, v39
	s_clause 0x1
	global_load_dwordx2 v[1:2], v3, s[0:1]
	global_load_dwordx2 v[3:4], v3, s[2:3]
	s_waitcnt vmcnt(0)
	ds_write_b128 v42, v[1:4] offset:28672
.LBB18_48:
	s_or_b32 exec_lo, exec_lo, s6
	v_sub_nc_u32_e64 v40, v41, s14 clamp
	v_min_u32_e32 v1, s9, v41
	s_mov_b32 s0, exec_lo
	s_waitcnt lgkmcnt(0)
	s_barrier
	buffer_gl0_inv
	v_cmpx_lt_u32_e64 v40, v1
	s_cbranch_execz .LBB18_52
; %bb.49:
	v_lshlrev_b32_e32 v2, 4, v41
	s_mov_b32 s1, 0
	v_lshl_add_u32 v2, s9, 4, v2
	.p2align	6
.LBB18_50:                              ; =>This Inner Loop Header: Depth=1
	v_add_nc_u32_e32 v3, v1, v40
	v_lshrrev_b32_e32 v7, 1, v3
	v_not_b32_e32 v3, v7
	v_lshlrev_b32_e32 v4, 4, v7
	v_lshl_add_u32 v5, v3, 4, v2
	ds_read_b64 v[3:4], v4
	ds_read_b64 v[5:6], v5
	s_waitcnt lgkmcnt(0)
	v_cmp_lt_f64_e32 vcc_lo, v[5:6], v[3:4]
	v_add_nc_u32_e32 v3, 1, v7
	v_cndmask_b32_e32 v1, v1, v7, vcc_lo
	v_cndmask_b32_e32 v40, v3, v40, vcc_lo
	v_cmp_ge_u32_e32 vcc_lo, v40, v1
	s_or_b32 s1, vcc_lo, s1
	s_andn2_b32 exec_lo, exec_lo, s1
	s_cbranch_execnz .LBB18_50
; %bb.51:
	s_or_b32 exec_lo, exec_lo, s1
.LBB18_52:
	s_or_b32 exec_lo, exec_lo, s0
	v_add_nc_u32_e32 v1, s9, v41
	s_add_i32 s14, s14, s9
	v_cmp_ge_u32_e32 vcc_lo, s9, v40
	v_mov_b32_e32 v11, 0
	v_mov_b32_e32 v3, 0
	v_sub_nc_u32_e32 v43, v1, v40
	v_mov_b32_e32 v7, 0
	v_mov_b32_e32 v15, 0
	;; [unrolled: 1-line block ×4, first 2 shown]
	v_cmp_ge_u32_e64 s0, s14, v43
	v_mov_b32_e32 v27, 0
	v_mov_b32_e32 v31, 0
	;; [unrolled: 1-line block ×26, first 2 shown]
	s_or_b32 s0, vcc_lo, s0
	s_and_saveexec_b32 s12, s0
	s_cbranch_execz .LBB18_58
; %bb.53:
	v_mov_b32_e32 v7, 0
	v_mov_b32_e32 v3, 0
	;; [unrolled: 1-line block ×6, first 2 shown]
	v_cmp_gt_u32_e32 vcc_lo, s9, v40
	s_and_saveexec_b32 s0, vcc_lo
; %bb.54:
	v_lshlrev_b32_e32 v1, 4, v40
	ds_read_b128 v[1:4], v1
; %bb.55:
	s_or_b32 exec_lo, exec_lo, s0
	v_mov_b32_e32 v5, 0
	v_cmp_le_u32_e64 s0, s14, v43
	v_mov_b32_e32 v6, 0
	s_mov_b32 s2, exec_lo
	v_cmpx_gt_u32_e64 s14, v43
; %bb.56:
	v_lshlrev_b32_e32 v5, 4, v43
	ds_read_b128 v[5:8], v5
; %bb.57:
	s_or_b32 exec_lo, exec_lo, s2
	s_waitcnt lgkmcnt(0)
	v_cmp_nlt_f64_e64 s1, v[5:6], v[1:2]
	v_mov_b32_e32 v9, s9
	s_and_b32 s1, vcc_lo, s1
	s_or_b32 vcc_lo, s0, s1
	v_cndmask_b32_e32 v10, v43, v40, vcc_lo
	v_cndmask_b32_e32 v11, s14, v9, vcc_lo
	v_add_nc_u32_e32 v10, 1, v10
	v_add_nc_u32_e32 v11, -1, v11
	v_min_u32_e32 v11, v10, v11
	v_lshlrev_b32_e32 v11, 4, v11
	ds_read_b128 v[11:14], v11
	s_waitcnt lgkmcnt(0)
	v_cndmask_b32_e32 v32, v12, v6, vcc_lo
	v_cndmask_b32_e32 v31, v11, v5, vcc_lo
	;; [unrolled: 1-line block ×6, first 2 shown]
	v_cmp_nlt_f64_e64 s0, v[31:32], v[47:48]
	v_cmp_gt_u32_e64 s1, s9, v11
	v_cmp_le_u32_e64 s2, s14, v10
	s_and_b32 s0, s1, s0
	s_or_b32 s0, s2, s0
	v_cndmask_b32_e64 v12, v10, v11, s0
	v_cndmask_b32_e64 v15, s14, v9, s0
	v_add_nc_u32_e32 v12, 1, v12
	v_add_nc_u32_e32 v15, -1, v15
	v_cndmask_b32_e64 v11, v11, v12, s0
	v_min_u32_e32 v15, v12, v15
	v_cndmask_b32_e64 v10, v12, v10, s0
	v_cmp_gt_u32_e64 s2, s9, v11
	v_lshlrev_b32_e32 v15, 4, v15
	v_cmp_le_u32_e64 s3, s14, v10
	ds_read_b128 v[15:18], v15
	s_waitcnt lgkmcnt(0)
	v_cndmask_b32_e64 v52, v16, v32, s0
	v_cndmask_b32_e64 v51, v15, v31, s0
	v_cndmask_b32_e64 v16, v48, v16, s0
	v_cndmask_b32_e64 v15, v47, v15, s0
	v_cmp_nlt_f64_e64 s1, v[51:52], v[15:16]
	s_and_b32 s1, s2, s1
	s_or_b32 s1, s3, s1
	v_cndmask_b32_e64 v12, v10, v11, s1
	v_cndmask_b32_e64 v19, s14, v9, s1
	v_add_nc_u32_e32 v12, 1, v12
	v_add_nc_u32_e32 v19, -1, v19
	v_cndmask_b32_e64 v11, v11, v12, s1
	v_min_u32_e32 v19, v12, v19
	v_cndmask_b32_e64 v10, v12, v10, s1
	v_cmp_gt_u32_e64 s3, s9, v11
	v_lshlrev_b32_e32 v19, 4, v19
	v_cmp_le_u32_e64 s4, s14, v10
	ds_read_b128 v[19:22], v19
	s_waitcnt lgkmcnt(0)
	v_cndmask_b32_e64 v54, v20, v52, s1
	v_cndmask_b32_e64 v53, v19, v51, s1
	v_cndmask_b32_e64 v20, v16, v20, s1
	v_cndmask_b32_e64 v19, v15, v19, s1
	v_cmp_nlt_f64_e64 s2, v[53:54], v[19:20]
	;; [unrolled: 19-line block ×4, first 2 shown]
	s_and_b32 s4, s5, s4
	s_or_b32 s4, s6, s4
	v_cndmask_b32_e64 v12, v10, v11, s4
	v_cndmask_b32_e64 v40, s14, v9, s4
	v_add_nc_u32_e32 v12, 1, v12
	v_add_nc_u32_e32 v40, -1, v40
	v_cndmask_b32_e64 v61, v12, v10, s4
	v_min_u32_e32 v40, v12, v40
	v_cndmask_b32_e32 v10, v6, v2, vcc_lo
	v_cndmask_b32_e32 v6, v14, v8, vcc_lo
	v_cndmask_b32_e64 v2, v32, v48, s0
	v_cmp_le_u32_e64 s7, s14, v61
	v_lshlrev_b32_e32 v40, 4, v40
	ds_read_b128 v[43:46], v40
	v_cndmask_b32_e64 v40, v11, v12, s4
	v_cndmask_b32_e32 v12, v8, v4, vcc_lo
	v_cmp_gt_u32_e64 s6, s9, v40
	s_waitcnt lgkmcnt(0)
	v_cndmask_b32_e64 v60, v44, v58, s4
	v_cndmask_b32_e64 v59, v43, v57, s4
	;; [unrolled: 1-line block ×4, first 2 shown]
	v_cmp_nlt_f64_e64 s5, v[59:60], v[43:44]
	s_and_b32 s5, s6, s5
	s_or_b32 s5, s7, s5
	v_cndmask_b32_e64 v11, v61, v40, s5
	v_cndmask_b32_e64 v49, s14, v9, s5
	v_cndmask_b32_e32 v9, v5, v1, vcc_lo
	v_cndmask_b32_e32 v5, v13, v7, vcc_lo
	;; [unrolled: 1-line block ×3, first 2 shown]
	v_add_nc_u32_e32 v62, 1, v11
	v_add_nc_u32_e32 v1, -1, v49
	v_cndmask_b32_e32 v11, v7, v3, vcc_lo
	v_cndmask_b32_e32 v7, v4, v14, vcc_lo
	v_cndmask_b32_e64 v3, v5, v13, s0
	v_cndmask_b32_e64 v14, v17, v5, s0
	v_min_u32_e32 v8, v62, v1
	v_cndmask_b32_e64 v1, v31, v47, s0
	v_cndmask_b32_e64 v4, v6, v7, s0
	;; [unrolled: 1-line block ×4, first 2 shown]
	v_lshlrev_b32_e32 v8, 4, v8
	v_cndmask_b32_e64 v13, v13, v17, s0
	v_cndmask_b32_e64 v17, v21, v14, s1
	;; [unrolled: 1-line block ×4, first 2 shown]
	ds_read_b128 v[47:50], v8
	v_cndmask_b32_e64 v8, v31, v7, s1
	v_cndmask_b32_e64 v21, v13, v21, s1
	v_cndmask_b32_e64 v6, v52, v16, s1
	v_cndmask_b32_e64 v5, v51, v15, s1
	v_cndmask_b32_e64 v16, v18, v22, s2
	v_cndmask_b32_e64 v51, v26, v18, s2
	v_cndmask_b32_e64 v22, v22, v26, s2
	v_cndmask_b32_e64 v7, v14, v13, s1
	v_cndmask_b32_e64 v13, v53, v19, s2
	v_cndmask_b32_e64 v15, v17, v21, s2
	v_cndmask_b32_e64 v19, v25, v17, s2
	v_cndmask_b32_e64 v21, v21, v25, s2
	v_cndmask_b32_e64 v26, v30, v51, s3
	v_cndmask_b32_e64 v30, v22, v30, s3
	v_cndmask_b32_e64 v40, v40, v62, s5
	v_cndmask_b32_e64 v25, v29, v19, s3
	v_cndmask_b32_e64 v29, v21, v29, s3
	v_cndmask_b32_e64 v18, v56, v24, s3
	v_cndmask_b32_e64 v24, v26, v30, s4
	s_waitcnt lgkmcnt(0)
	v_cndmask_b32_e64 v32, v48, v60, s5
	v_cndmask_b32_e64 v31, v47, v59, s5
	;; [unrolled: 1-line block ×8, first 2 shown]
	v_cmp_nlt_f64_e32 vcc_lo, v[31:32], v[47:48]
	v_cndmask_b32_e64 v17, v55, v23, s3
	v_cndmask_b32_e64 v20, v51, v22, s3
	v_cndmask_b32_e64 v23, v25, v29, s4
	v_cndmask_b32_e64 v51, v45, v25, s4
	v_cndmask_b32_e64 v29, v29, v45, s4
	v_cndmask_b32_e64 v30, v30, v46, s4
	v_cmp_gt_u32_e64 s0, s9, v40
	v_cmp_le_u32_e64 s1, s14, v44
	v_cndmask_b32_e64 v25, v59, v43, s5
	v_cndmask_b32_e64 v40, v49, v51, s5
	;; [unrolled: 1-line block ×10, first 2 shown]
	s_and_b32 s0, s0, vcc_lo
	s_or_b32 vcc_lo, s1, s0
	v_cndmask_b32_e32 v30, v32, v48, vcc_lo
	v_cndmask_b32_e32 v29, v31, v47, vcc_lo
	;; [unrolled: 1-line block ×4, first 2 shown]
.LBB18_58:
	s_or_b32 exec_lo, exec_lo, s12
	v_lshlrev_b32_e32 v40, 2, v0
	s_mov_b32 s9, 0
	s_sub_i32 s4, s20, s8
	s_lshl_b64 s[2:3], s[8:9], 3
	v_and_b32_e32 v40, 0x3f0, v40
	s_add_u32 s0, s18, s2
	s_barrier
	buffer_gl0_inv
	s_addc_u32 s1, s19, s3
	v_lshl_add_u32 v40, v41, 4, v40
	s_add_u32 s2, s10, s2
	s_addc_u32 s3, s11, s3
	s_cmpk_gt_u32 s4, 0x7ff
	ds_write_b128 v40, v[9:12]
	ds_write_b128 v40, v[1:4] offset:16
	ds_write_b128 v40, v[5:8] offset:32
	;; [unrolled: 1-line block ×4, first 2 shown]
	v_lshrrev_b32_e32 v11, 1, v33
	v_lshrrev_b32_e32 v10, 1, v34
	;; [unrolled: 1-line block ×7, first 2 shown]
	ds_write_b128 v40, v[21:24] offset:80
	ds_write_b128 v40, v[25:28] offset:96
	;; [unrolled: 1-line block ×3, first 2 shown]
	s_waitcnt lgkmcnt(0)
	s_cbranch_scc0 .LBB18_60
; %bb.59:
	v_lshrrev_b32_e32 v1, 1, v0
	s_barrier
	buffer_gl0_inv
	v_and_b32_e32 v2, 0xf0, v11
	v_and_b32_e32 v3, 0x1f0, v10
	;; [unrolled: 1-line block ×7, first 2 shown]
	v_add_nc_u32_e32 v1, v1, v42
	v_and_b32_e32 v19, 0x3f0, v5
	v_add_co_u32 v32, s5, s0, v41
	v_add_nc_u32_e32 v43, v17, v42
	ds_read_b128 v[12:15], v1
	v_add_nc_u32_e32 v1, v2, v42
	v_add_nc_u32_e32 v2, v3, v42
	;; [unrolled: 1-line block ×6, first 2 shown]
	ds_read_b128 v[16:19], v2 offset:8192
	ds_read_b128 v[20:23], v3 offset:12288
	;; [unrolled: 1-line block ×7, first 2 shown]
	v_add_co_ci_u32_e64 v40, null, s1, 0, s5
	v_add_co_u32 v53, s5, s2, v41
	v_add_co_ci_u32_e64 v54, null, s3, 0, s5
	s_mov_b32 s9, -1
	s_waitcnt lgkmcnt(7)
	global_store_dwordx2 v41, v[12:13], s[0:1]
	global_store_dwordx2 v41, v[14:15], s[2:3]
	v_add_co_u32 v12, vcc_lo, v32, 0x1000
	v_add_co_ci_u32_e64 v13, null, 0, v40, vcc_lo
	v_add_co_u32 v14, vcc_lo, v53, 0x1000
	v_add_co_ci_u32_e64 v15, null, 0, v54, vcc_lo
	;; [unrolled: 2-line block ×3, first 2 shown]
	s_waitcnt lgkmcnt(4)
	global_store_dwordx2 v[12:13], v[24:25], off offset:-2048
	global_store_dwordx2 v[14:15], v[26:27], off offset:-2048
	global_store_dwordx2 v[12:13], v[16:17], off
	global_store_dwordx2 v[14:15], v[18:19], off
	global_store_dwordx2 v[51:52], v[20:21], off offset:-2048
	v_add_co_u32 v12, vcc_lo, v53, 0x2000
	v_add_co_ci_u32_e64 v13, null, 0, v54, vcc_lo
	v_add_co_u32 v14, vcc_lo, v32, 0x3000
	v_add_co_ci_u32_e64 v15, null, 0, v40, vcc_lo
	;; [unrolled: 2-line block ×3, first 2 shown]
	global_store_dwordx2 v[12:13], v[22:23], off offset:-2048
	s_waitcnt lgkmcnt(3)
	global_store_dwordx2 v[51:52], v[28:29], off
	global_store_dwordx2 v[12:13], v[30:31], off
	s_waitcnt lgkmcnt(2)
	global_store_dwordx2 v[14:15], v[43:44], off offset:-2048
	global_store_dwordx2 v[16:17], v[45:46], off offset:-2048
	s_waitcnt lgkmcnt(1)
	global_store_dwordx2 v[14:15], v[47:48], off
	global_store_dwordx2 v[16:17], v[49:50], off
	s_cbranch_execz .LBB18_61
	s_branch .LBB18_70
.LBB18_60:
                                        ; implicit-def: $vgpr3_vgpr4
.LBB18_61:
	s_waitcnt lgkmcnt(0)
	v_and_b32_e32 v1, 0xf0, v11
	v_and_b32_e32 v2, 0x1f0, v10
	;; [unrolled: 1-line block ×5, first 2 shown]
	v_add_nc_u32_e32 v1, v1, v42
	v_add_nc_u32_e32 v2, v2, v42
	s_barrier
	s_waitcnt_vscnt null, 0x0
	buffer_gl0_inv
	v_add_nc_u32_e32 v3, v3, v42
	ds_read_b128 v[25:28], v1 offset:4096
	ds_read_b128 v[21:24], v2 offset:8192
	v_and_b32_e32 v1, 0x3f0, v6
	v_and_b32_e32 v2, 0x3f0, v5
	v_add_nc_u32_e32 v4, v4, v42
	v_add_nc_u32_e32 v5, v7, v42
	v_add_co_u32 v31, s5, s0, v41
	v_add_nc_u32_e32 v1, v1, v42
	v_add_nc_u32_e32 v2, v2, v42
	ds_read_b128 v[17:20], v3 offset:12288
	ds_read_b128 v[13:16], v4 offset:16384
	;; [unrolled: 1-line block ×5, first 2 shown]
	v_add_co_ci_u32_e64 v32, null, s1, 0, s5
	v_add_co_u32 v29, s5, s2, v41
	v_add_co_ci_u32_e64 v30, null, s3, 0, s5
	s_mov_b32 s5, exec_lo
	v_cmpx_gt_u32_e64 s4, v0
	s_cbranch_execnz .LBB18_73
; %bb.62:
	s_or_b32 exec_lo, exec_lo, s5
	s_mov_b32 s5, exec_lo
	v_cmpx_gt_u32_e64 s4, v33
	s_cbranch_execnz .LBB18_74
.LBB18_63:
	s_or_b32 exec_lo, exec_lo, s5
	s_mov_b32 s5, exec_lo
	v_cmpx_gt_u32_e64 s4, v34
	s_cbranch_execnz .LBB18_75
.LBB18_64:
	s_or_b32 exec_lo, exec_lo, s5
	s_mov_b32 s5, exec_lo
	v_cmpx_gt_u32_e64 s4, v35
	s_cbranch_execnz .LBB18_76
.LBB18_65:
	s_or_b32 exec_lo, exec_lo, s5
	s_mov_b32 s5, exec_lo
	v_cmpx_gt_u32_e64 s4, v36
	s_cbranch_execnz .LBB18_77
.LBB18_66:
	s_or_b32 exec_lo, exec_lo, s5
	s_mov_b32 s5, exec_lo
	v_cmpx_gt_u32_e64 s4, v37
	s_cbranch_execnz .LBB18_78
.LBB18_67:
	s_or_b32 exec_lo, exec_lo, s5
	s_mov_b32 s5, exec_lo
	v_cmpx_gt_u32_e64 s4, v38
	s_cbranch_execz .LBB18_69
.LBB18_68:
	s_waitcnt lgkmcnt(2)
	v_add_co_u32 v9, vcc_lo, 0x3000, v31
	v_add_co_ci_u32_e64 v10, null, 0, v32, vcc_lo
	v_add_co_u32 v11, vcc_lo, 0x3000, v29
	v_add_co_ci_u32_e64 v12, null, 0, v30, vcc_lo
	s_waitcnt lgkmcnt(1)
	global_store_dwordx2 v[9:10], v[5:6], off
	global_store_dwordx2 v[11:12], v[7:8], off
.LBB18_69:
	s_or_b32 exec_lo, exec_lo, s5
	v_cmp_gt_u32_e64 s9, s4, v39
.LBB18_70:
	s_and_saveexec_b32 s4, s9
	s_cbranch_execnz .LBB18_72
; %bb.71:
	s_endpgm
.LBB18_72:
	v_add_co_u32 v0, s0, s0, v41
	s_waitcnt lgkmcnt(1)
	v_add_co_ci_u32_e64 v6, null, s1, 0, s0
	v_add_co_u32 v7, s0, s2, v41
	v_add_co_ci_u32_e64 v8, null, s3, 0, s0
	v_add_co_u32 v5, vcc_lo, 0x3800, v0
	v_add_co_ci_u32_e64 v6, null, 0, v6, vcc_lo
	v_add_co_u32 v7, vcc_lo, 0x3800, v7
	v_add_co_ci_u32_e64 v8, null, 0, v8, vcc_lo
	s_waitcnt lgkmcnt(0)
	global_store_dwordx2 v[5:6], v[1:2], off
	global_store_dwordx2 v[7:8], v[3:4], off
	s_endpgm
.LBB18_73:
	v_lshrrev_b32_e32 v40, 1, v0
	v_and_b32_e32 v40, 0x70, v40
	v_lshl_add_u32 v0, v0, 4, v40
	ds_read_b128 v[42:45], v0
	s_waitcnt lgkmcnt(0)
	global_store_dwordx2 v[31:32], v[42:43], off
	global_store_dwordx2 v[29:30], v[44:45], off
	s_or_b32 exec_lo, exec_lo, s5
	s_mov_b32 s5, exec_lo
	v_cmpx_gt_u32_e64 s4, v33
	s_cbranch_execz .LBB18_63
.LBB18_74:
	v_add_co_u32 v42, vcc_lo, 0x800, v31
	v_add_co_ci_u32_e64 v43, null, 0, v32, vcc_lo
	v_add_co_u32 v44, vcc_lo, 0x800, v29
	v_add_co_ci_u32_e64 v45, null, 0, v30, vcc_lo
	s_waitcnt lgkmcnt(6)
	global_store_dwordx2 v[42:43], v[25:26], off
	global_store_dwordx2 v[44:45], v[27:28], off
	s_or_b32 exec_lo, exec_lo, s5
	s_mov_b32 s5, exec_lo
	v_cmpx_gt_u32_e64 s4, v34
	s_cbranch_execz .LBB18_64
.LBB18_75:
	s_waitcnt lgkmcnt(6)
	v_add_co_u32 v25, vcc_lo, 0x1000, v31
	v_add_co_ci_u32_e64 v26, null, 0, v32, vcc_lo
	v_add_co_u32 v27, vcc_lo, 0x1000, v29
	v_add_co_ci_u32_e64 v28, null, 0, v30, vcc_lo
	s_waitcnt lgkmcnt(5)
	global_store_dwordx2 v[25:26], v[21:22], off
	global_store_dwordx2 v[27:28], v[23:24], off
	s_or_b32 exec_lo, exec_lo, s5
	s_mov_b32 s5, exec_lo
	v_cmpx_gt_u32_e64 s4, v35
	s_cbranch_execz .LBB18_65
.LBB18_76:
	s_waitcnt lgkmcnt(5)
	v_add_co_u32 v21, vcc_lo, 0x1800, v31
	v_add_co_ci_u32_e64 v22, null, 0, v32, vcc_lo
	v_add_co_u32 v23, vcc_lo, 0x1800, v29
	v_add_co_ci_u32_e64 v24, null, 0, v30, vcc_lo
	s_waitcnt lgkmcnt(4)
	global_store_dwordx2 v[21:22], v[17:18], off
	global_store_dwordx2 v[23:24], v[19:20], off
	s_or_b32 exec_lo, exec_lo, s5
	s_mov_b32 s5, exec_lo
	v_cmpx_gt_u32_e64 s4, v36
	s_cbranch_execz .LBB18_66
.LBB18_77:
	s_waitcnt lgkmcnt(4)
	v_add_co_u32 v17, vcc_lo, 0x2000, v31
	v_add_co_ci_u32_e64 v18, null, 0, v32, vcc_lo
	v_add_co_u32 v19, vcc_lo, 0x2000, v29
	v_add_co_ci_u32_e64 v20, null, 0, v30, vcc_lo
	s_waitcnt lgkmcnt(3)
	global_store_dwordx2 v[17:18], v[13:14], off
	global_store_dwordx2 v[19:20], v[15:16], off
	s_or_b32 exec_lo, exec_lo, s5
	s_mov_b32 s5, exec_lo
	v_cmpx_gt_u32_e64 s4, v37
	s_cbranch_execz .LBB18_67
.LBB18_78:
	s_waitcnt lgkmcnt(3)
	v_add_co_u32 v13, vcc_lo, 0x2800, v31
	v_add_co_ci_u32_e64 v14, null, 0, v32, vcc_lo
	v_add_co_u32 v15, vcc_lo, 0x2800, v29
	v_add_co_ci_u32_e64 v16, null, 0, v30, vcc_lo
	s_waitcnt lgkmcnt(2)
	global_store_dwordx2 v[13:14], v[9:10], off
	global_store_dwordx2 v[15:16], v[11:12], off
	s_or_b32 exec_lo, exec_lo, s5
	s_mov_b32 s5, exec_lo
	v_cmpx_gt_u32_e64 s4, v38
	s_cbranch_execnz .LBB18_68
	s_branch .LBB18_69
	.section	.rodata,"a",@progbits
	.p2align	6, 0x0
	.amdhsa_kernel _ZN7rocprim17ROCPRIM_400000_NS6detail17trampoline_kernelINS0_14default_configENS1_21merge_config_selectorINS0_5tupleIJddEEENS0_10empty_typeEEEZNS1_10merge_implIS3_NS0_12zip_iteratorINS5_IJN6thrust23THRUST_200600_302600_NS6detail15normal_iteratorINSC_10device_ptrIKdEEEESI_EEEEESK_NSA_INS5_IJNSE_INSF_IdEEEESM_EEEEEPS7_SP_SP_NSC_11hip_rocprim7__merge17predicate_wrapperIddNSC_4lessIdEEEEEE10hipError_tPvRmT0_T1_T2_T3_T4_T5_mmT6_P12ihipStream_tbEUlT_E0_NS1_11comp_targetILNS1_3genE8ELNS1_11target_archE1030ELNS1_3gpuE2ELNS1_3repE0EEENS1_30default_config_static_selectorELNS0_4arch9wavefront6targetE0EEEvS10_
		.amdhsa_group_segment_fixed_size 33792
		.amdhsa_private_segment_fixed_size 0
		.amdhsa_kernarg_size 112
		.amdhsa_user_sgpr_count 6
		.amdhsa_user_sgpr_private_segment_buffer 1
		.amdhsa_user_sgpr_dispatch_ptr 0
		.amdhsa_user_sgpr_queue_ptr 0
		.amdhsa_user_sgpr_kernarg_segment_ptr 1
		.amdhsa_user_sgpr_dispatch_id 0
		.amdhsa_user_sgpr_flat_scratch_init 0
		.amdhsa_user_sgpr_private_segment_size 0
		.amdhsa_wavefront_size32 1
		.amdhsa_uses_dynamic_stack 0
		.amdhsa_system_sgpr_private_segment_wavefront_offset 0
		.amdhsa_system_sgpr_workgroup_id_x 1
		.amdhsa_system_sgpr_workgroup_id_y 0
		.amdhsa_system_sgpr_workgroup_id_z 0
		.amdhsa_system_sgpr_workgroup_info 0
		.amdhsa_system_vgpr_workitem_id 0
		.amdhsa_next_free_vgpr 145
		.amdhsa_next_free_sgpr 26
		.amdhsa_reserve_vcc 1
		.amdhsa_reserve_flat_scratch 0
		.amdhsa_float_round_mode_32 0
		.amdhsa_float_round_mode_16_64 0
		.amdhsa_float_denorm_mode_32 3
		.amdhsa_float_denorm_mode_16_64 3
		.amdhsa_dx10_clamp 1
		.amdhsa_ieee_mode 1
		.amdhsa_fp16_overflow 0
		.amdhsa_workgroup_processor_mode 1
		.amdhsa_memory_ordered 1
		.amdhsa_forward_progress 1
		.amdhsa_shared_vgpr_count 0
		.amdhsa_exception_fp_ieee_invalid_op 0
		.amdhsa_exception_fp_denorm_src 0
		.amdhsa_exception_fp_ieee_div_zero 0
		.amdhsa_exception_fp_ieee_overflow 0
		.amdhsa_exception_fp_ieee_underflow 0
		.amdhsa_exception_fp_ieee_inexact 0
		.amdhsa_exception_int_div_zero 0
	.end_amdhsa_kernel
	.section	.text._ZN7rocprim17ROCPRIM_400000_NS6detail17trampoline_kernelINS0_14default_configENS1_21merge_config_selectorINS0_5tupleIJddEEENS0_10empty_typeEEEZNS1_10merge_implIS3_NS0_12zip_iteratorINS5_IJN6thrust23THRUST_200600_302600_NS6detail15normal_iteratorINSC_10device_ptrIKdEEEESI_EEEEESK_NSA_INS5_IJNSE_INSF_IdEEEESM_EEEEEPS7_SP_SP_NSC_11hip_rocprim7__merge17predicate_wrapperIddNSC_4lessIdEEEEEE10hipError_tPvRmT0_T1_T2_T3_T4_T5_mmT6_P12ihipStream_tbEUlT_E0_NS1_11comp_targetILNS1_3genE8ELNS1_11target_archE1030ELNS1_3gpuE2ELNS1_3repE0EEENS1_30default_config_static_selectorELNS0_4arch9wavefront6targetE0EEEvS10_,"axG",@progbits,_ZN7rocprim17ROCPRIM_400000_NS6detail17trampoline_kernelINS0_14default_configENS1_21merge_config_selectorINS0_5tupleIJddEEENS0_10empty_typeEEEZNS1_10merge_implIS3_NS0_12zip_iteratorINS5_IJN6thrust23THRUST_200600_302600_NS6detail15normal_iteratorINSC_10device_ptrIKdEEEESI_EEEEESK_NSA_INS5_IJNSE_INSF_IdEEEESM_EEEEEPS7_SP_SP_NSC_11hip_rocprim7__merge17predicate_wrapperIddNSC_4lessIdEEEEEE10hipError_tPvRmT0_T1_T2_T3_T4_T5_mmT6_P12ihipStream_tbEUlT_E0_NS1_11comp_targetILNS1_3genE8ELNS1_11target_archE1030ELNS1_3gpuE2ELNS1_3repE0EEENS1_30default_config_static_selectorELNS0_4arch9wavefront6targetE0EEEvS10_,comdat
.Lfunc_end18:
	.size	_ZN7rocprim17ROCPRIM_400000_NS6detail17trampoline_kernelINS0_14default_configENS1_21merge_config_selectorINS0_5tupleIJddEEENS0_10empty_typeEEEZNS1_10merge_implIS3_NS0_12zip_iteratorINS5_IJN6thrust23THRUST_200600_302600_NS6detail15normal_iteratorINSC_10device_ptrIKdEEEESI_EEEEESK_NSA_INS5_IJNSE_INSF_IdEEEESM_EEEEEPS7_SP_SP_NSC_11hip_rocprim7__merge17predicate_wrapperIddNSC_4lessIdEEEEEE10hipError_tPvRmT0_T1_T2_T3_T4_T5_mmT6_P12ihipStream_tbEUlT_E0_NS1_11comp_targetILNS1_3genE8ELNS1_11target_archE1030ELNS1_3gpuE2ELNS1_3repE0EEENS1_30default_config_static_selectorELNS0_4arch9wavefront6targetE0EEEvS10_, .Lfunc_end18-_ZN7rocprim17ROCPRIM_400000_NS6detail17trampoline_kernelINS0_14default_configENS1_21merge_config_selectorINS0_5tupleIJddEEENS0_10empty_typeEEEZNS1_10merge_implIS3_NS0_12zip_iteratorINS5_IJN6thrust23THRUST_200600_302600_NS6detail15normal_iteratorINSC_10device_ptrIKdEEEESI_EEEEESK_NSA_INS5_IJNSE_INSF_IdEEEESM_EEEEEPS7_SP_SP_NSC_11hip_rocprim7__merge17predicate_wrapperIddNSC_4lessIdEEEEEE10hipError_tPvRmT0_T1_T2_T3_T4_T5_mmT6_P12ihipStream_tbEUlT_E0_NS1_11comp_targetILNS1_3genE8ELNS1_11target_archE1030ELNS1_3gpuE2ELNS1_3repE0EEENS1_30default_config_static_selectorELNS0_4arch9wavefront6targetE0EEEvS10_
                                        ; -- End function
	.set _ZN7rocprim17ROCPRIM_400000_NS6detail17trampoline_kernelINS0_14default_configENS1_21merge_config_selectorINS0_5tupleIJddEEENS0_10empty_typeEEEZNS1_10merge_implIS3_NS0_12zip_iteratorINS5_IJN6thrust23THRUST_200600_302600_NS6detail15normal_iteratorINSC_10device_ptrIKdEEEESI_EEEEESK_NSA_INS5_IJNSE_INSF_IdEEEESM_EEEEEPS7_SP_SP_NSC_11hip_rocprim7__merge17predicate_wrapperIddNSC_4lessIdEEEEEE10hipError_tPvRmT0_T1_T2_T3_T4_T5_mmT6_P12ihipStream_tbEUlT_E0_NS1_11comp_targetILNS1_3genE8ELNS1_11target_archE1030ELNS1_3gpuE2ELNS1_3repE0EEENS1_30default_config_static_selectorELNS0_4arch9wavefront6targetE0EEEvS10_.num_vgpr, 63
	.set _ZN7rocprim17ROCPRIM_400000_NS6detail17trampoline_kernelINS0_14default_configENS1_21merge_config_selectorINS0_5tupleIJddEEENS0_10empty_typeEEEZNS1_10merge_implIS3_NS0_12zip_iteratorINS5_IJN6thrust23THRUST_200600_302600_NS6detail15normal_iteratorINSC_10device_ptrIKdEEEESI_EEEEESK_NSA_INS5_IJNSE_INSF_IdEEEESM_EEEEEPS7_SP_SP_NSC_11hip_rocprim7__merge17predicate_wrapperIddNSC_4lessIdEEEEEE10hipError_tPvRmT0_T1_T2_T3_T4_T5_mmT6_P12ihipStream_tbEUlT_E0_NS1_11comp_targetILNS1_3genE8ELNS1_11target_archE1030ELNS1_3gpuE2ELNS1_3repE0EEENS1_30default_config_static_selectorELNS0_4arch9wavefront6targetE0EEEvS10_.num_agpr, 0
	.set _ZN7rocprim17ROCPRIM_400000_NS6detail17trampoline_kernelINS0_14default_configENS1_21merge_config_selectorINS0_5tupleIJddEEENS0_10empty_typeEEEZNS1_10merge_implIS3_NS0_12zip_iteratorINS5_IJN6thrust23THRUST_200600_302600_NS6detail15normal_iteratorINSC_10device_ptrIKdEEEESI_EEEEESK_NSA_INS5_IJNSE_INSF_IdEEEESM_EEEEEPS7_SP_SP_NSC_11hip_rocprim7__merge17predicate_wrapperIddNSC_4lessIdEEEEEE10hipError_tPvRmT0_T1_T2_T3_T4_T5_mmT6_P12ihipStream_tbEUlT_E0_NS1_11comp_targetILNS1_3genE8ELNS1_11target_archE1030ELNS1_3gpuE2ELNS1_3repE0EEENS1_30default_config_static_selectorELNS0_4arch9wavefront6targetE0EEEvS10_.numbered_sgpr, 26
	.set _ZN7rocprim17ROCPRIM_400000_NS6detail17trampoline_kernelINS0_14default_configENS1_21merge_config_selectorINS0_5tupleIJddEEENS0_10empty_typeEEEZNS1_10merge_implIS3_NS0_12zip_iteratorINS5_IJN6thrust23THRUST_200600_302600_NS6detail15normal_iteratorINSC_10device_ptrIKdEEEESI_EEEEESK_NSA_INS5_IJNSE_INSF_IdEEEESM_EEEEEPS7_SP_SP_NSC_11hip_rocprim7__merge17predicate_wrapperIddNSC_4lessIdEEEEEE10hipError_tPvRmT0_T1_T2_T3_T4_T5_mmT6_P12ihipStream_tbEUlT_E0_NS1_11comp_targetILNS1_3genE8ELNS1_11target_archE1030ELNS1_3gpuE2ELNS1_3repE0EEENS1_30default_config_static_selectorELNS0_4arch9wavefront6targetE0EEEvS10_.num_named_barrier, 0
	.set _ZN7rocprim17ROCPRIM_400000_NS6detail17trampoline_kernelINS0_14default_configENS1_21merge_config_selectorINS0_5tupleIJddEEENS0_10empty_typeEEEZNS1_10merge_implIS3_NS0_12zip_iteratorINS5_IJN6thrust23THRUST_200600_302600_NS6detail15normal_iteratorINSC_10device_ptrIKdEEEESI_EEEEESK_NSA_INS5_IJNSE_INSF_IdEEEESM_EEEEEPS7_SP_SP_NSC_11hip_rocprim7__merge17predicate_wrapperIddNSC_4lessIdEEEEEE10hipError_tPvRmT0_T1_T2_T3_T4_T5_mmT6_P12ihipStream_tbEUlT_E0_NS1_11comp_targetILNS1_3genE8ELNS1_11target_archE1030ELNS1_3gpuE2ELNS1_3repE0EEENS1_30default_config_static_selectorELNS0_4arch9wavefront6targetE0EEEvS10_.private_seg_size, 0
	.set _ZN7rocprim17ROCPRIM_400000_NS6detail17trampoline_kernelINS0_14default_configENS1_21merge_config_selectorINS0_5tupleIJddEEENS0_10empty_typeEEEZNS1_10merge_implIS3_NS0_12zip_iteratorINS5_IJN6thrust23THRUST_200600_302600_NS6detail15normal_iteratorINSC_10device_ptrIKdEEEESI_EEEEESK_NSA_INS5_IJNSE_INSF_IdEEEESM_EEEEEPS7_SP_SP_NSC_11hip_rocprim7__merge17predicate_wrapperIddNSC_4lessIdEEEEEE10hipError_tPvRmT0_T1_T2_T3_T4_T5_mmT6_P12ihipStream_tbEUlT_E0_NS1_11comp_targetILNS1_3genE8ELNS1_11target_archE1030ELNS1_3gpuE2ELNS1_3repE0EEENS1_30default_config_static_selectorELNS0_4arch9wavefront6targetE0EEEvS10_.uses_vcc, 1
	.set _ZN7rocprim17ROCPRIM_400000_NS6detail17trampoline_kernelINS0_14default_configENS1_21merge_config_selectorINS0_5tupleIJddEEENS0_10empty_typeEEEZNS1_10merge_implIS3_NS0_12zip_iteratorINS5_IJN6thrust23THRUST_200600_302600_NS6detail15normal_iteratorINSC_10device_ptrIKdEEEESI_EEEEESK_NSA_INS5_IJNSE_INSF_IdEEEESM_EEEEEPS7_SP_SP_NSC_11hip_rocprim7__merge17predicate_wrapperIddNSC_4lessIdEEEEEE10hipError_tPvRmT0_T1_T2_T3_T4_T5_mmT6_P12ihipStream_tbEUlT_E0_NS1_11comp_targetILNS1_3genE8ELNS1_11target_archE1030ELNS1_3gpuE2ELNS1_3repE0EEENS1_30default_config_static_selectorELNS0_4arch9wavefront6targetE0EEEvS10_.uses_flat_scratch, 0
	.set _ZN7rocprim17ROCPRIM_400000_NS6detail17trampoline_kernelINS0_14default_configENS1_21merge_config_selectorINS0_5tupleIJddEEENS0_10empty_typeEEEZNS1_10merge_implIS3_NS0_12zip_iteratorINS5_IJN6thrust23THRUST_200600_302600_NS6detail15normal_iteratorINSC_10device_ptrIKdEEEESI_EEEEESK_NSA_INS5_IJNSE_INSF_IdEEEESM_EEEEEPS7_SP_SP_NSC_11hip_rocprim7__merge17predicate_wrapperIddNSC_4lessIdEEEEEE10hipError_tPvRmT0_T1_T2_T3_T4_T5_mmT6_P12ihipStream_tbEUlT_E0_NS1_11comp_targetILNS1_3genE8ELNS1_11target_archE1030ELNS1_3gpuE2ELNS1_3repE0EEENS1_30default_config_static_selectorELNS0_4arch9wavefront6targetE0EEEvS10_.has_dyn_sized_stack, 0
	.set _ZN7rocprim17ROCPRIM_400000_NS6detail17trampoline_kernelINS0_14default_configENS1_21merge_config_selectorINS0_5tupleIJddEEENS0_10empty_typeEEEZNS1_10merge_implIS3_NS0_12zip_iteratorINS5_IJN6thrust23THRUST_200600_302600_NS6detail15normal_iteratorINSC_10device_ptrIKdEEEESI_EEEEESK_NSA_INS5_IJNSE_INSF_IdEEEESM_EEEEEPS7_SP_SP_NSC_11hip_rocprim7__merge17predicate_wrapperIddNSC_4lessIdEEEEEE10hipError_tPvRmT0_T1_T2_T3_T4_T5_mmT6_P12ihipStream_tbEUlT_E0_NS1_11comp_targetILNS1_3genE8ELNS1_11target_archE1030ELNS1_3gpuE2ELNS1_3repE0EEENS1_30default_config_static_selectorELNS0_4arch9wavefront6targetE0EEEvS10_.has_recursion, 0
	.set _ZN7rocprim17ROCPRIM_400000_NS6detail17trampoline_kernelINS0_14default_configENS1_21merge_config_selectorINS0_5tupleIJddEEENS0_10empty_typeEEEZNS1_10merge_implIS3_NS0_12zip_iteratorINS5_IJN6thrust23THRUST_200600_302600_NS6detail15normal_iteratorINSC_10device_ptrIKdEEEESI_EEEEESK_NSA_INS5_IJNSE_INSF_IdEEEESM_EEEEEPS7_SP_SP_NSC_11hip_rocprim7__merge17predicate_wrapperIddNSC_4lessIdEEEEEE10hipError_tPvRmT0_T1_T2_T3_T4_T5_mmT6_P12ihipStream_tbEUlT_E0_NS1_11comp_targetILNS1_3genE8ELNS1_11target_archE1030ELNS1_3gpuE2ELNS1_3repE0EEENS1_30default_config_static_selectorELNS0_4arch9wavefront6targetE0EEEvS10_.has_indirect_call, 0
	.section	.AMDGPU.csdata,"",@progbits
; Kernel info:
; codeLenInByte = 4680
; TotalNumSgprs: 28
; NumVgprs: 63
; ScratchSize: 0
; MemoryBound: 0
; FloatMode: 240
; IeeeMode: 1
; LDSByteSize: 33792 bytes/workgroup (compile time only)
; SGPRBlocks: 0
; VGPRBlocks: 18
; NumSGPRsForWavesPerEU: 28
; NumVGPRsForWavesPerEU: 145
; Occupancy: 6
; WaveLimiterHint : 1
; COMPUTE_PGM_RSRC2:SCRATCH_EN: 0
; COMPUTE_PGM_RSRC2:USER_SGPR: 6
; COMPUTE_PGM_RSRC2:TRAP_HANDLER: 0
; COMPUTE_PGM_RSRC2:TGID_X_EN: 1
; COMPUTE_PGM_RSRC2:TGID_Y_EN: 0
; COMPUTE_PGM_RSRC2:TGID_Z_EN: 0
; COMPUTE_PGM_RSRC2:TIDIG_COMP_CNT: 0
	.section	.text._ZN7rocprim17ROCPRIM_400000_NS6detail17trampoline_kernelINS0_14default_configENS1_22reduce_config_selectorIN6thrust23THRUST_200600_302600_NS5tupleIblNS6_9null_typeES8_S8_S8_S8_S8_S8_S8_EEEEZNS1_11reduce_implILb1ES3_PS9_SC_S9_NS6_11hip_rocprim9__find_if7functorIS9_EEEE10hipError_tPvRmT1_T2_T3_mT4_P12ihipStream_tbEUlT_E0_NS1_11comp_targetILNS1_3genE0ELNS1_11target_archE4294967295ELNS1_3gpuE0ELNS1_3repE0EEENS1_30default_config_static_selectorELNS0_4arch9wavefront6targetE0EEEvSK_,"axG",@progbits,_ZN7rocprim17ROCPRIM_400000_NS6detail17trampoline_kernelINS0_14default_configENS1_22reduce_config_selectorIN6thrust23THRUST_200600_302600_NS5tupleIblNS6_9null_typeES8_S8_S8_S8_S8_S8_S8_EEEEZNS1_11reduce_implILb1ES3_PS9_SC_S9_NS6_11hip_rocprim9__find_if7functorIS9_EEEE10hipError_tPvRmT1_T2_T3_mT4_P12ihipStream_tbEUlT_E0_NS1_11comp_targetILNS1_3genE0ELNS1_11target_archE4294967295ELNS1_3gpuE0ELNS1_3repE0EEENS1_30default_config_static_selectorELNS0_4arch9wavefront6targetE0EEEvSK_,comdat
	.protected	_ZN7rocprim17ROCPRIM_400000_NS6detail17trampoline_kernelINS0_14default_configENS1_22reduce_config_selectorIN6thrust23THRUST_200600_302600_NS5tupleIblNS6_9null_typeES8_S8_S8_S8_S8_S8_S8_EEEEZNS1_11reduce_implILb1ES3_PS9_SC_S9_NS6_11hip_rocprim9__find_if7functorIS9_EEEE10hipError_tPvRmT1_T2_T3_mT4_P12ihipStream_tbEUlT_E0_NS1_11comp_targetILNS1_3genE0ELNS1_11target_archE4294967295ELNS1_3gpuE0ELNS1_3repE0EEENS1_30default_config_static_selectorELNS0_4arch9wavefront6targetE0EEEvSK_ ; -- Begin function _ZN7rocprim17ROCPRIM_400000_NS6detail17trampoline_kernelINS0_14default_configENS1_22reduce_config_selectorIN6thrust23THRUST_200600_302600_NS5tupleIblNS6_9null_typeES8_S8_S8_S8_S8_S8_S8_EEEEZNS1_11reduce_implILb1ES3_PS9_SC_S9_NS6_11hip_rocprim9__find_if7functorIS9_EEEE10hipError_tPvRmT1_T2_T3_mT4_P12ihipStream_tbEUlT_E0_NS1_11comp_targetILNS1_3genE0ELNS1_11target_archE4294967295ELNS1_3gpuE0ELNS1_3repE0EEENS1_30default_config_static_selectorELNS0_4arch9wavefront6targetE0EEEvSK_
	.globl	_ZN7rocprim17ROCPRIM_400000_NS6detail17trampoline_kernelINS0_14default_configENS1_22reduce_config_selectorIN6thrust23THRUST_200600_302600_NS5tupleIblNS6_9null_typeES8_S8_S8_S8_S8_S8_S8_EEEEZNS1_11reduce_implILb1ES3_PS9_SC_S9_NS6_11hip_rocprim9__find_if7functorIS9_EEEE10hipError_tPvRmT1_T2_T3_mT4_P12ihipStream_tbEUlT_E0_NS1_11comp_targetILNS1_3genE0ELNS1_11target_archE4294967295ELNS1_3gpuE0ELNS1_3repE0EEENS1_30default_config_static_selectorELNS0_4arch9wavefront6targetE0EEEvSK_
	.p2align	8
	.type	_ZN7rocprim17ROCPRIM_400000_NS6detail17trampoline_kernelINS0_14default_configENS1_22reduce_config_selectorIN6thrust23THRUST_200600_302600_NS5tupleIblNS6_9null_typeES8_S8_S8_S8_S8_S8_S8_EEEEZNS1_11reduce_implILb1ES3_PS9_SC_S9_NS6_11hip_rocprim9__find_if7functorIS9_EEEE10hipError_tPvRmT1_T2_T3_mT4_P12ihipStream_tbEUlT_E0_NS1_11comp_targetILNS1_3genE0ELNS1_11target_archE4294967295ELNS1_3gpuE0ELNS1_3repE0EEENS1_30default_config_static_selectorELNS0_4arch9wavefront6targetE0EEEvSK_,@function
_ZN7rocprim17ROCPRIM_400000_NS6detail17trampoline_kernelINS0_14default_configENS1_22reduce_config_selectorIN6thrust23THRUST_200600_302600_NS5tupleIblNS6_9null_typeES8_S8_S8_S8_S8_S8_S8_EEEEZNS1_11reduce_implILb1ES3_PS9_SC_S9_NS6_11hip_rocprim9__find_if7functorIS9_EEEE10hipError_tPvRmT1_T2_T3_mT4_P12ihipStream_tbEUlT_E0_NS1_11comp_targetILNS1_3genE0ELNS1_11target_archE4294967295ELNS1_3gpuE0ELNS1_3repE0EEENS1_30default_config_static_selectorELNS0_4arch9wavefront6targetE0EEEvSK_: ; @_ZN7rocprim17ROCPRIM_400000_NS6detail17trampoline_kernelINS0_14default_configENS1_22reduce_config_selectorIN6thrust23THRUST_200600_302600_NS5tupleIblNS6_9null_typeES8_S8_S8_S8_S8_S8_S8_EEEEZNS1_11reduce_implILb1ES3_PS9_SC_S9_NS6_11hip_rocprim9__find_if7functorIS9_EEEE10hipError_tPvRmT1_T2_T3_mT4_P12ihipStream_tbEUlT_E0_NS1_11comp_targetILNS1_3genE0ELNS1_11target_archE4294967295ELNS1_3gpuE0ELNS1_3repE0EEENS1_30default_config_static_selectorELNS0_4arch9wavefront6targetE0EEEvSK_
; %bb.0:
	.section	.rodata,"a",@progbits
	.p2align	6, 0x0
	.amdhsa_kernel _ZN7rocprim17ROCPRIM_400000_NS6detail17trampoline_kernelINS0_14default_configENS1_22reduce_config_selectorIN6thrust23THRUST_200600_302600_NS5tupleIblNS6_9null_typeES8_S8_S8_S8_S8_S8_S8_EEEEZNS1_11reduce_implILb1ES3_PS9_SC_S9_NS6_11hip_rocprim9__find_if7functorIS9_EEEE10hipError_tPvRmT1_T2_T3_mT4_P12ihipStream_tbEUlT_E0_NS1_11comp_targetILNS1_3genE0ELNS1_11target_archE4294967295ELNS1_3gpuE0ELNS1_3repE0EEENS1_30default_config_static_selectorELNS0_4arch9wavefront6targetE0EEEvSK_
		.amdhsa_group_segment_fixed_size 0
		.amdhsa_private_segment_fixed_size 0
		.amdhsa_kernarg_size 72
		.amdhsa_user_sgpr_count 6
		.amdhsa_user_sgpr_private_segment_buffer 1
		.amdhsa_user_sgpr_dispatch_ptr 0
		.amdhsa_user_sgpr_queue_ptr 0
		.amdhsa_user_sgpr_kernarg_segment_ptr 1
		.amdhsa_user_sgpr_dispatch_id 0
		.amdhsa_user_sgpr_flat_scratch_init 0
		.amdhsa_user_sgpr_private_segment_size 0
		.amdhsa_wavefront_size32 1
		.amdhsa_uses_dynamic_stack 0
		.amdhsa_system_sgpr_private_segment_wavefront_offset 0
		.amdhsa_system_sgpr_workgroup_id_x 1
		.amdhsa_system_sgpr_workgroup_id_y 0
		.amdhsa_system_sgpr_workgroup_id_z 0
		.amdhsa_system_sgpr_workgroup_info 0
		.amdhsa_system_vgpr_workitem_id 0
		.amdhsa_next_free_vgpr 1
		.amdhsa_next_free_sgpr 1
		.amdhsa_reserve_vcc 0
		.amdhsa_reserve_flat_scratch 0
		.amdhsa_float_round_mode_32 0
		.amdhsa_float_round_mode_16_64 0
		.amdhsa_float_denorm_mode_32 3
		.amdhsa_float_denorm_mode_16_64 3
		.amdhsa_dx10_clamp 1
		.amdhsa_ieee_mode 1
		.amdhsa_fp16_overflow 0
		.amdhsa_workgroup_processor_mode 1
		.amdhsa_memory_ordered 1
		.amdhsa_forward_progress 1
		.amdhsa_shared_vgpr_count 0
		.amdhsa_exception_fp_ieee_invalid_op 0
		.amdhsa_exception_fp_denorm_src 0
		.amdhsa_exception_fp_ieee_div_zero 0
		.amdhsa_exception_fp_ieee_overflow 0
		.amdhsa_exception_fp_ieee_underflow 0
		.amdhsa_exception_fp_ieee_inexact 0
		.amdhsa_exception_int_div_zero 0
	.end_amdhsa_kernel
	.section	.text._ZN7rocprim17ROCPRIM_400000_NS6detail17trampoline_kernelINS0_14default_configENS1_22reduce_config_selectorIN6thrust23THRUST_200600_302600_NS5tupleIblNS6_9null_typeES8_S8_S8_S8_S8_S8_S8_EEEEZNS1_11reduce_implILb1ES3_PS9_SC_S9_NS6_11hip_rocprim9__find_if7functorIS9_EEEE10hipError_tPvRmT1_T2_T3_mT4_P12ihipStream_tbEUlT_E0_NS1_11comp_targetILNS1_3genE0ELNS1_11target_archE4294967295ELNS1_3gpuE0ELNS1_3repE0EEENS1_30default_config_static_selectorELNS0_4arch9wavefront6targetE0EEEvSK_,"axG",@progbits,_ZN7rocprim17ROCPRIM_400000_NS6detail17trampoline_kernelINS0_14default_configENS1_22reduce_config_selectorIN6thrust23THRUST_200600_302600_NS5tupleIblNS6_9null_typeES8_S8_S8_S8_S8_S8_S8_EEEEZNS1_11reduce_implILb1ES3_PS9_SC_S9_NS6_11hip_rocprim9__find_if7functorIS9_EEEE10hipError_tPvRmT1_T2_T3_mT4_P12ihipStream_tbEUlT_E0_NS1_11comp_targetILNS1_3genE0ELNS1_11target_archE4294967295ELNS1_3gpuE0ELNS1_3repE0EEENS1_30default_config_static_selectorELNS0_4arch9wavefront6targetE0EEEvSK_,comdat
.Lfunc_end19:
	.size	_ZN7rocprim17ROCPRIM_400000_NS6detail17trampoline_kernelINS0_14default_configENS1_22reduce_config_selectorIN6thrust23THRUST_200600_302600_NS5tupleIblNS6_9null_typeES8_S8_S8_S8_S8_S8_S8_EEEEZNS1_11reduce_implILb1ES3_PS9_SC_S9_NS6_11hip_rocprim9__find_if7functorIS9_EEEE10hipError_tPvRmT1_T2_T3_mT4_P12ihipStream_tbEUlT_E0_NS1_11comp_targetILNS1_3genE0ELNS1_11target_archE4294967295ELNS1_3gpuE0ELNS1_3repE0EEENS1_30default_config_static_selectorELNS0_4arch9wavefront6targetE0EEEvSK_, .Lfunc_end19-_ZN7rocprim17ROCPRIM_400000_NS6detail17trampoline_kernelINS0_14default_configENS1_22reduce_config_selectorIN6thrust23THRUST_200600_302600_NS5tupleIblNS6_9null_typeES8_S8_S8_S8_S8_S8_S8_EEEEZNS1_11reduce_implILb1ES3_PS9_SC_S9_NS6_11hip_rocprim9__find_if7functorIS9_EEEE10hipError_tPvRmT1_T2_T3_mT4_P12ihipStream_tbEUlT_E0_NS1_11comp_targetILNS1_3genE0ELNS1_11target_archE4294967295ELNS1_3gpuE0ELNS1_3repE0EEENS1_30default_config_static_selectorELNS0_4arch9wavefront6targetE0EEEvSK_
                                        ; -- End function
	.set _ZN7rocprim17ROCPRIM_400000_NS6detail17trampoline_kernelINS0_14default_configENS1_22reduce_config_selectorIN6thrust23THRUST_200600_302600_NS5tupleIblNS6_9null_typeES8_S8_S8_S8_S8_S8_S8_EEEEZNS1_11reduce_implILb1ES3_PS9_SC_S9_NS6_11hip_rocprim9__find_if7functorIS9_EEEE10hipError_tPvRmT1_T2_T3_mT4_P12ihipStream_tbEUlT_E0_NS1_11comp_targetILNS1_3genE0ELNS1_11target_archE4294967295ELNS1_3gpuE0ELNS1_3repE0EEENS1_30default_config_static_selectorELNS0_4arch9wavefront6targetE0EEEvSK_.num_vgpr, 0
	.set _ZN7rocprim17ROCPRIM_400000_NS6detail17trampoline_kernelINS0_14default_configENS1_22reduce_config_selectorIN6thrust23THRUST_200600_302600_NS5tupleIblNS6_9null_typeES8_S8_S8_S8_S8_S8_S8_EEEEZNS1_11reduce_implILb1ES3_PS9_SC_S9_NS6_11hip_rocprim9__find_if7functorIS9_EEEE10hipError_tPvRmT1_T2_T3_mT4_P12ihipStream_tbEUlT_E0_NS1_11comp_targetILNS1_3genE0ELNS1_11target_archE4294967295ELNS1_3gpuE0ELNS1_3repE0EEENS1_30default_config_static_selectorELNS0_4arch9wavefront6targetE0EEEvSK_.num_agpr, 0
	.set _ZN7rocprim17ROCPRIM_400000_NS6detail17trampoline_kernelINS0_14default_configENS1_22reduce_config_selectorIN6thrust23THRUST_200600_302600_NS5tupleIblNS6_9null_typeES8_S8_S8_S8_S8_S8_S8_EEEEZNS1_11reduce_implILb1ES3_PS9_SC_S9_NS6_11hip_rocprim9__find_if7functorIS9_EEEE10hipError_tPvRmT1_T2_T3_mT4_P12ihipStream_tbEUlT_E0_NS1_11comp_targetILNS1_3genE0ELNS1_11target_archE4294967295ELNS1_3gpuE0ELNS1_3repE0EEENS1_30default_config_static_selectorELNS0_4arch9wavefront6targetE0EEEvSK_.numbered_sgpr, 0
	.set _ZN7rocprim17ROCPRIM_400000_NS6detail17trampoline_kernelINS0_14default_configENS1_22reduce_config_selectorIN6thrust23THRUST_200600_302600_NS5tupleIblNS6_9null_typeES8_S8_S8_S8_S8_S8_S8_EEEEZNS1_11reduce_implILb1ES3_PS9_SC_S9_NS6_11hip_rocprim9__find_if7functorIS9_EEEE10hipError_tPvRmT1_T2_T3_mT4_P12ihipStream_tbEUlT_E0_NS1_11comp_targetILNS1_3genE0ELNS1_11target_archE4294967295ELNS1_3gpuE0ELNS1_3repE0EEENS1_30default_config_static_selectorELNS0_4arch9wavefront6targetE0EEEvSK_.num_named_barrier, 0
	.set _ZN7rocprim17ROCPRIM_400000_NS6detail17trampoline_kernelINS0_14default_configENS1_22reduce_config_selectorIN6thrust23THRUST_200600_302600_NS5tupleIblNS6_9null_typeES8_S8_S8_S8_S8_S8_S8_EEEEZNS1_11reduce_implILb1ES3_PS9_SC_S9_NS6_11hip_rocprim9__find_if7functorIS9_EEEE10hipError_tPvRmT1_T2_T3_mT4_P12ihipStream_tbEUlT_E0_NS1_11comp_targetILNS1_3genE0ELNS1_11target_archE4294967295ELNS1_3gpuE0ELNS1_3repE0EEENS1_30default_config_static_selectorELNS0_4arch9wavefront6targetE0EEEvSK_.private_seg_size, 0
	.set _ZN7rocprim17ROCPRIM_400000_NS6detail17trampoline_kernelINS0_14default_configENS1_22reduce_config_selectorIN6thrust23THRUST_200600_302600_NS5tupleIblNS6_9null_typeES8_S8_S8_S8_S8_S8_S8_EEEEZNS1_11reduce_implILb1ES3_PS9_SC_S9_NS6_11hip_rocprim9__find_if7functorIS9_EEEE10hipError_tPvRmT1_T2_T3_mT4_P12ihipStream_tbEUlT_E0_NS1_11comp_targetILNS1_3genE0ELNS1_11target_archE4294967295ELNS1_3gpuE0ELNS1_3repE0EEENS1_30default_config_static_selectorELNS0_4arch9wavefront6targetE0EEEvSK_.uses_vcc, 0
	.set _ZN7rocprim17ROCPRIM_400000_NS6detail17trampoline_kernelINS0_14default_configENS1_22reduce_config_selectorIN6thrust23THRUST_200600_302600_NS5tupleIblNS6_9null_typeES8_S8_S8_S8_S8_S8_S8_EEEEZNS1_11reduce_implILb1ES3_PS9_SC_S9_NS6_11hip_rocprim9__find_if7functorIS9_EEEE10hipError_tPvRmT1_T2_T3_mT4_P12ihipStream_tbEUlT_E0_NS1_11comp_targetILNS1_3genE0ELNS1_11target_archE4294967295ELNS1_3gpuE0ELNS1_3repE0EEENS1_30default_config_static_selectorELNS0_4arch9wavefront6targetE0EEEvSK_.uses_flat_scratch, 0
	.set _ZN7rocprim17ROCPRIM_400000_NS6detail17trampoline_kernelINS0_14default_configENS1_22reduce_config_selectorIN6thrust23THRUST_200600_302600_NS5tupleIblNS6_9null_typeES8_S8_S8_S8_S8_S8_S8_EEEEZNS1_11reduce_implILb1ES3_PS9_SC_S9_NS6_11hip_rocprim9__find_if7functorIS9_EEEE10hipError_tPvRmT1_T2_T3_mT4_P12ihipStream_tbEUlT_E0_NS1_11comp_targetILNS1_3genE0ELNS1_11target_archE4294967295ELNS1_3gpuE0ELNS1_3repE0EEENS1_30default_config_static_selectorELNS0_4arch9wavefront6targetE0EEEvSK_.has_dyn_sized_stack, 0
	.set _ZN7rocprim17ROCPRIM_400000_NS6detail17trampoline_kernelINS0_14default_configENS1_22reduce_config_selectorIN6thrust23THRUST_200600_302600_NS5tupleIblNS6_9null_typeES8_S8_S8_S8_S8_S8_S8_EEEEZNS1_11reduce_implILb1ES3_PS9_SC_S9_NS6_11hip_rocprim9__find_if7functorIS9_EEEE10hipError_tPvRmT1_T2_T3_mT4_P12ihipStream_tbEUlT_E0_NS1_11comp_targetILNS1_3genE0ELNS1_11target_archE4294967295ELNS1_3gpuE0ELNS1_3repE0EEENS1_30default_config_static_selectorELNS0_4arch9wavefront6targetE0EEEvSK_.has_recursion, 0
	.set _ZN7rocprim17ROCPRIM_400000_NS6detail17trampoline_kernelINS0_14default_configENS1_22reduce_config_selectorIN6thrust23THRUST_200600_302600_NS5tupleIblNS6_9null_typeES8_S8_S8_S8_S8_S8_S8_EEEEZNS1_11reduce_implILb1ES3_PS9_SC_S9_NS6_11hip_rocprim9__find_if7functorIS9_EEEE10hipError_tPvRmT1_T2_T3_mT4_P12ihipStream_tbEUlT_E0_NS1_11comp_targetILNS1_3genE0ELNS1_11target_archE4294967295ELNS1_3gpuE0ELNS1_3repE0EEENS1_30default_config_static_selectorELNS0_4arch9wavefront6targetE0EEEvSK_.has_indirect_call, 0
	.section	.AMDGPU.csdata,"",@progbits
; Kernel info:
; codeLenInByte = 0
; TotalNumSgprs: 0
; NumVgprs: 0
; ScratchSize: 0
; MemoryBound: 0
; FloatMode: 240
; IeeeMode: 1
; LDSByteSize: 0 bytes/workgroup (compile time only)
; SGPRBlocks: 0
; VGPRBlocks: 0
; NumSGPRsForWavesPerEU: 1
; NumVGPRsForWavesPerEU: 1
; Occupancy: 16
; WaveLimiterHint : 0
; COMPUTE_PGM_RSRC2:SCRATCH_EN: 0
; COMPUTE_PGM_RSRC2:USER_SGPR: 6
; COMPUTE_PGM_RSRC2:TRAP_HANDLER: 0
; COMPUTE_PGM_RSRC2:TGID_X_EN: 1
; COMPUTE_PGM_RSRC2:TGID_Y_EN: 0
; COMPUTE_PGM_RSRC2:TGID_Z_EN: 0
; COMPUTE_PGM_RSRC2:TIDIG_COMP_CNT: 0
	.section	.text._ZN7rocprim17ROCPRIM_400000_NS6detail17trampoline_kernelINS0_14default_configENS1_22reduce_config_selectorIN6thrust23THRUST_200600_302600_NS5tupleIblNS6_9null_typeES8_S8_S8_S8_S8_S8_S8_EEEEZNS1_11reduce_implILb1ES3_PS9_SC_S9_NS6_11hip_rocprim9__find_if7functorIS9_EEEE10hipError_tPvRmT1_T2_T3_mT4_P12ihipStream_tbEUlT_E0_NS1_11comp_targetILNS1_3genE5ELNS1_11target_archE942ELNS1_3gpuE9ELNS1_3repE0EEENS1_30default_config_static_selectorELNS0_4arch9wavefront6targetE0EEEvSK_,"axG",@progbits,_ZN7rocprim17ROCPRIM_400000_NS6detail17trampoline_kernelINS0_14default_configENS1_22reduce_config_selectorIN6thrust23THRUST_200600_302600_NS5tupleIblNS6_9null_typeES8_S8_S8_S8_S8_S8_S8_EEEEZNS1_11reduce_implILb1ES3_PS9_SC_S9_NS6_11hip_rocprim9__find_if7functorIS9_EEEE10hipError_tPvRmT1_T2_T3_mT4_P12ihipStream_tbEUlT_E0_NS1_11comp_targetILNS1_3genE5ELNS1_11target_archE942ELNS1_3gpuE9ELNS1_3repE0EEENS1_30default_config_static_selectorELNS0_4arch9wavefront6targetE0EEEvSK_,comdat
	.protected	_ZN7rocprim17ROCPRIM_400000_NS6detail17trampoline_kernelINS0_14default_configENS1_22reduce_config_selectorIN6thrust23THRUST_200600_302600_NS5tupleIblNS6_9null_typeES8_S8_S8_S8_S8_S8_S8_EEEEZNS1_11reduce_implILb1ES3_PS9_SC_S9_NS6_11hip_rocprim9__find_if7functorIS9_EEEE10hipError_tPvRmT1_T2_T3_mT4_P12ihipStream_tbEUlT_E0_NS1_11comp_targetILNS1_3genE5ELNS1_11target_archE942ELNS1_3gpuE9ELNS1_3repE0EEENS1_30default_config_static_selectorELNS0_4arch9wavefront6targetE0EEEvSK_ ; -- Begin function _ZN7rocprim17ROCPRIM_400000_NS6detail17trampoline_kernelINS0_14default_configENS1_22reduce_config_selectorIN6thrust23THRUST_200600_302600_NS5tupleIblNS6_9null_typeES8_S8_S8_S8_S8_S8_S8_EEEEZNS1_11reduce_implILb1ES3_PS9_SC_S9_NS6_11hip_rocprim9__find_if7functorIS9_EEEE10hipError_tPvRmT1_T2_T3_mT4_P12ihipStream_tbEUlT_E0_NS1_11comp_targetILNS1_3genE5ELNS1_11target_archE942ELNS1_3gpuE9ELNS1_3repE0EEENS1_30default_config_static_selectorELNS0_4arch9wavefront6targetE0EEEvSK_
	.globl	_ZN7rocprim17ROCPRIM_400000_NS6detail17trampoline_kernelINS0_14default_configENS1_22reduce_config_selectorIN6thrust23THRUST_200600_302600_NS5tupleIblNS6_9null_typeES8_S8_S8_S8_S8_S8_S8_EEEEZNS1_11reduce_implILb1ES3_PS9_SC_S9_NS6_11hip_rocprim9__find_if7functorIS9_EEEE10hipError_tPvRmT1_T2_T3_mT4_P12ihipStream_tbEUlT_E0_NS1_11comp_targetILNS1_3genE5ELNS1_11target_archE942ELNS1_3gpuE9ELNS1_3repE0EEENS1_30default_config_static_selectorELNS0_4arch9wavefront6targetE0EEEvSK_
	.p2align	8
	.type	_ZN7rocprim17ROCPRIM_400000_NS6detail17trampoline_kernelINS0_14default_configENS1_22reduce_config_selectorIN6thrust23THRUST_200600_302600_NS5tupleIblNS6_9null_typeES8_S8_S8_S8_S8_S8_S8_EEEEZNS1_11reduce_implILb1ES3_PS9_SC_S9_NS6_11hip_rocprim9__find_if7functorIS9_EEEE10hipError_tPvRmT1_T2_T3_mT4_P12ihipStream_tbEUlT_E0_NS1_11comp_targetILNS1_3genE5ELNS1_11target_archE942ELNS1_3gpuE9ELNS1_3repE0EEENS1_30default_config_static_selectorELNS0_4arch9wavefront6targetE0EEEvSK_,@function
_ZN7rocprim17ROCPRIM_400000_NS6detail17trampoline_kernelINS0_14default_configENS1_22reduce_config_selectorIN6thrust23THRUST_200600_302600_NS5tupleIblNS6_9null_typeES8_S8_S8_S8_S8_S8_S8_EEEEZNS1_11reduce_implILb1ES3_PS9_SC_S9_NS6_11hip_rocprim9__find_if7functorIS9_EEEE10hipError_tPvRmT1_T2_T3_mT4_P12ihipStream_tbEUlT_E0_NS1_11comp_targetILNS1_3genE5ELNS1_11target_archE942ELNS1_3gpuE9ELNS1_3repE0EEENS1_30default_config_static_selectorELNS0_4arch9wavefront6targetE0EEEvSK_: ; @_ZN7rocprim17ROCPRIM_400000_NS6detail17trampoline_kernelINS0_14default_configENS1_22reduce_config_selectorIN6thrust23THRUST_200600_302600_NS5tupleIblNS6_9null_typeES8_S8_S8_S8_S8_S8_S8_EEEEZNS1_11reduce_implILb1ES3_PS9_SC_S9_NS6_11hip_rocprim9__find_if7functorIS9_EEEE10hipError_tPvRmT1_T2_T3_mT4_P12ihipStream_tbEUlT_E0_NS1_11comp_targetILNS1_3genE5ELNS1_11target_archE942ELNS1_3gpuE9ELNS1_3repE0EEENS1_30default_config_static_selectorELNS0_4arch9wavefront6targetE0EEEvSK_
; %bb.0:
	.section	.rodata,"a",@progbits
	.p2align	6, 0x0
	.amdhsa_kernel _ZN7rocprim17ROCPRIM_400000_NS6detail17trampoline_kernelINS0_14default_configENS1_22reduce_config_selectorIN6thrust23THRUST_200600_302600_NS5tupleIblNS6_9null_typeES8_S8_S8_S8_S8_S8_S8_EEEEZNS1_11reduce_implILb1ES3_PS9_SC_S9_NS6_11hip_rocprim9__find_if7functorIS9_EEEE10hipError_tPvRmT1_T2_T3_mT4_P12ihipStream_tbEUlT_E0_NS1_11comp_targetILNS1_3genE5ELNS1_11target_archE942ELNS1_3gpuE9ELNS1_3repE0EEENS1_30default_config_static_selectorELNS0_4arch9wavefront6targetE0EEEvSK_
		.amdhsa_group_segment_fixed_size 0
		.amdhsa_private_segment_fixed_size 0
		.amdhsa_kernarg_size 72
		.amdhsa_user_sgpr_count 6
		.amdhsa_user_sgpr_private_segment_buffer 1
		.amdhsa_user_sgpr_dispatch_ptr 0
		.amdhsa_user_sgpr_queue_ptr 0
		.amdhsa_user_sgpr_kernarg_segment_ptr 1
		.amdhsa_user_sgpr_dispatch_id 0
		.amdhsa_user_sgpr_flat_scratch_init 0
		.amdhsa_user_sgpr_private_segment_size 0
		.amdhsa_wavefront_size32 1
		.amdhsa_uses_dynamic_stack 0
		.amdhsa_system_sgpr_private_segment_wavefront_offset 0
		.amdhsa_system_sgpr_workgroup_id_x 1
		.amdhsa_system_sgpr_workgroup_id_y 0
		.amdhsa_system_sgpr_workgroup_id_z 0
		.amdhsa_system_sgpr_workgroup_info 0
		.amdhsa_system_vgpr_workitem_id 0
		.amdhsa_next_free_vgpr 1
		.amdhsa_next_free_sgpr 1
		.amdhsa_reserve_vcc 0
		.amdhsa_reserve_flat_scratch 0
		.amdhsa_float_round_mode_32 0
		.amdhsa_float_round_mode_16_64 0
		.amdhsa_float_denorm_mode_32 3
		.amdhsa_float_denorm_mode_16_64 3
		.amdhsa_dx10_clamp 1
		.amdhsa_ieee_mode 1
		.amdhsa_fp16_overflow 0
		.amdhsa_workgroup_processor_mode 1
		.amdhsa_memory_ordered 1
		.amdhsa_forward_progress 1
		.amdhsa_shared_vgpr_count 0
		.amdhsa_exception_fp_ieee_invalid_op 0
		.amdhsa_exception_fp_denorm_src 0
		.amdhsa_exception_fp_ieee_div_zero 0
		.amdhsa_exception_fp_ieee_overflow 0
		.amdhsa_exception_fp_ieee_underflow 0
		.amdhsa_exception_fp_ieee_inexact 0
		.amdhsa_exception_int_div_zero 0
	.end_amdhsa_kernel
	.section	.text._ZN7rocprim17ROCPRIM_400000_NS6detail17trampoline_kernelINS0_14default_configENS1_22reduce_config_selectorIN6thrust23THRUST_200600_302600_NS5tupleIblNS6_9null_typeES8_S8_S8_S8_S8_S8_S8_EEEEZNS1_11reduce_implILb1ES3_PS9_SC_S9_NS6_11hip_rocprim9__find_if7functorIS9_EEEE10hipError_tPvRmT1_T2_T3_mT4_P12ihipStream_tbEUlT_E0_NS1_11comp_targetILNS1_3genE5ELNS1_11target_archE942ELNS1_3gpuE9ELNS1_3repE0EEENS1_30default_config_static_selectorELNS0_4arch9wavefront6targetE0EEEvSK_,"axG",@progbits,_ZN7rocprim17ROCPRIM_400000_NS6detail17trampoline_kernelINS0_14default_configENS1_22reduce_config_selectorIN6thrust23THRUST_200600_302600_NS5tupleIblNS6_9null_typeES8_S8_S8_S8_S8_S8_S8_EEEEZNS1_11reduce_implILb1ES3_PS9_SC_S9_NS6_11hip_rocprim9__find_if7functorIS9_EEEE10hipError_tPvRmT1_T2_T3_mT4_P12ihipStream_tbEUlT_E0_NS1_11comp_targetILNS1_3genE5ELNS1_11target_archE942ELNS1_3gpuE9ELNS1_3repE0EEENS1_30default_config_static_selectorELNS0_4arch9wavefront6targetE0EEEvSK_,comdat
.Lfunc_end20:
	.size	_ZN7rocprim17ROCPRIM_400000_NS6detail17trampoline_kernelINS0_14default_configENS1_22reduce_config_selectorIN6thrust23THRUST_200600_302600_NS5tupleIblNS6_9null_typeES8_S8_S8_S8_S8_S8_S8_EEEEZNS1_11reduce_implILb1ES3_PS9_SC_S9_NS6_11hip_rocprim9__find_if7functorIS9_EEEE10hipError_tPvRmT1_T2_T3_mT4_P12ihipStream_tbEUlT_E0_NS1_11comp_targetILNS1_3genE5ELNS1_11target_archE942ELNS1_3gpuE9ELNS1_3repE0EEENS1_30default_config_static_selectorELNS0_4arch9wavefront6targetE0EEEvSK_, .Lfunc_end20-_ZN7rocprim17ROCPRIM_400000_NS6detail17trampoline_kernelINS0_14default_configENS1_22reduce_config_selectorIN6thrust23THRUST_200600_302600_NS5tupleIblNS6_9null_typeES8_S8_S8_S8_S8_S8_S8_EEEEZNS1_11reduce_implILb1ES3_PS9_SC_S9_NS6_11hip_rocprim9__find_if7functorIS9_EEEE10hipError_tPvRmT1_T2_T3_mT4_P12ihipStream_tbEUlT_E0_NS1_11comp_targetILNS1_3genE5ELNS1_11target_archE942ELNS1_3gpuE9ELNS1_3repE0EEENS1_30default_config_static_selectorELNS0_4arch9wavefront6targetE0EEEvSK_
                                        ; -- End function
	.set _ZN7rocprim17ROCPRIM_400000_NS6detail17trampoline_kernelINS0_14default_configENS1_22reduce_config_selectorIN6thrust23THRUST_200600_302600_NS5tupleIblNS6_9null_typeES8_S8_S8_S8_S8_S8_S8_EEEEZNS1_11reduce_implILb1ES3_PS9_SC_S9_NS6_11hip_rocprim9__find_if7functorIS9_EEEE10hipError_tPvRmT1_T2_T3_mT4_P12ihipStream_tbEUlT_E0_NS1_11comp_targetILNS1_3genE5ELNS1_11target_archE942ELNS1_3gpuE9ELNS1_3repE0EEENS1_30default_config_static_selectorELNS0_4arch9wavefront6targetE0EEEvSK_.num_vgpr, 0
	.set _ZN7rocprim17ROCPRIM_400000_NS6detail17trampoline_kernelINS0_14default_configENS1_22reduce_config_selectorIN6thrust23THRUST_200600_302600_NS5tupleIblNS6_9null_typeES8_S8_S8_S8_S8_S8_S8_EEEEZNS1_11reduce_implILb1ES3_PS9_SC_S9_NS6_11hip_rocprim9__find_if7functorIS9_EEEE10hipError_tPvRmT1_T2_T3_mT4_P12ihipStream_tbEUlT_E0_NS1_11comp_targetILNS1_3genE5ELNS1_11target_archE942ELNS1_3gpuE9ELNS1_3repE0EEENS1_30default_config_static_selectorELNS0_4arch9wavefront6targetE0EEEvSK_.num_agpr, 0
	.set _ZN7rocprim17ROCPRIM_400000_NS6detail17trampoline_kernelINS0_14default_configENS1_22reduce_config_selectorIN6thrust23THRUST_200600_302600_NS5tupleIblNS6_9null_typeES8_S8_S8_S8_S8_S8_S8_EEEEZNS1_11reduce_implILb1ES3_PS9_SC_S9_NS6_11hip_rocprim9__find_if7functorIS9_EEEE10hipError_tPvRmT1_T2_T3_mT4_P12ihipStream_tbEUlT_E0_NS1_11comp_targetILNS1_3genE5ELNS1_11target_archE942ELNS1_3gpuE9ELNS1_3repE0EEENS1_30default_config_static_selectorELNS0_4arch9wavefront6targetE0EEEvSK_.numbered_sgpr, 0
	.set _ZN7rocprim17ROCPRIM_400000_NS6detail17trampoline_kernelINS0_14default_configENS1_22reduce_config_selectorIN6thrust23THRUST_200600_302600_NS5tupleIblNS6_9null_typeES8_S8_S8_S8_S8_S8_S8_EEEEZNS1_11reduce_implILb1ES3_PS9_SC_S9_NS6_11hip_rocprim9__find_if7functorIS9_EEEE10hipError_tPvRmT1_T2_T3_mT4_P12ihipStream_tbEUlT_E0_NS1_11comp_targetILNS1_3genE5ELNS1_11target_archE942ELNS1_3gpuE9ELNS1_3repE0EEENS1_30default_config_static_selectorELNS0_4arch9wavefront6targetE0EEEvSK_.num_named_barrier, 0
	.set _ZN7rocprim17ROCPRIM_400000_NS6detail17trampoline_kernelINS0_14default_configENS1_22reduce_config_selectorIN6thrust23THRUST_200600_302600_NS5tupleIblNS6_9null_typeES8_S8_S8_S8_S8_S8_S8_EEEEZNS1_11reduce_implILb1ES3_PS9_SC_S9_NS6_11hip_rocprim9__find_if7functorIS9_EEEE10hipError_tPvRmT1_T2_T3_mT4_P12ihipStream_tbEUlT_E0_NS1_11comp_targetILNS1_3genE5ELNS1_11target_archE942ELNS1_3gpuE9ELNS1_3repE0EEENS1_30default_config_static_selectorELNS0_4arch9wavefront6targetE0EEEvSK_.private_seg_size, 0
	.set _ZN7rocprim17ROCPRIM_400000_NS6detail17trampoline_kernelINS0_14default_configENS1_22reduce_config_selectorIN6thrust23THRUST_200600_302600_NS5tupleIblNS6_9null_typeES8_S8_S8_S8_S8_S8_S8_EEEEZNS1_11reduce_implILb1ES3_PS9_SC_S9_NS6_11hip_rocprim9__find_if7functorIS9_EEEE10hipError_tPvRmT1_T2_T3_mT4_P12ihipStream_tbEUlT_E0_NS1_11comp_targetILNS1_3genE5ELNS1_11target_archE942ELNS1_3gpuE9ELNS1_3repE0EEENS1_30default_config_static_selectorELNS0_4arch9wavefront6targetE0EEEvSK_.uses_vcc, 0
	.set _ZN7rocprim17ROCPRIM_400000_NS6detail17trampoline_kernelINS0_14default_configENS1_22reduce_config_selectorIN6thrust23THRUST_200600_302600_NS5tupleIblNS6_9null_typeES8_S8_S8_S8_S8_S8_S8_EEEEZNS1_11reduce_implILb1ES3_PS9_SC_S9_NS6_11hip_rocprim9__find_if7functorIS9_EEEE10hipError_tPvRmT1_T2_T3_mT4_P12ihipStream_tbEUlT_E0_NS1_11comp_targetILNS1_3genE5ELNS1_11target_archE942ELNS1_3gpuE9ELNS1_3repE0EEENS1_30default_config_static_selectorELNS0_4arch9wavefront6targetE0EEEvSK_.uses_flat_scratch, 0
	.set _ZN7rocprim17ROCPRIM_400000_NS6detail17trampoline_kernelINS0_14default_configENS1_22reduce_config_selectorIN6thrust23THRUST_200600_302600_NS5tupleIblNS6_9null_typeES8_S8_S8_S8_S8_S8_S8_EEEEZNS1_11reduce_implILb1ES3_PS9_SC_S9_NS6_11hip_rocprim9__find_if7functorIS9_EEEE10hipError_tPvRmT1_T2_T3_mT4_P12ihipStream_tbEUlT_E0_NS1_11comp_targetILNS1_3genE5ELNS1_11target_archE942ELNS1_3gpuE9ELNS1_3repE0EEENS1_30default_config_static_selectorELNS0_4arch9wavefront6targetE0EEEvSK_.has_dyn_sized_stack, 0
	.set _ZN7rocprim17ROCPRIM_400000_NS6detail17trampoline_kernelINS0_14default_configENS1_22reduce_config_selectorIN6thrust23THRUST_200600_302600_NS5tupleIblNS6_9null_typeES8_S8_S8_S8_S8_S8_S8_EEEEZNS1_11reduce_implILb1ES3_PS9_SC_S9_NS6_11hip_rocprim9__find_if7functorIS9_EEEE10hipError_tPvRmT1_T2_T3_mT4_P12ihipStream_tbEUlT_E0_NS1_11comp_targetILNS1_3genE5ELNS1_11target_archE942ELNS1_3gpuE9ELNS1_3repE0EEENS1_30default_config_static_selectorELNS0_4arch9wavefront6targetE0EEEvSK_.has_recursion, 0
	.set _ZN7rocprim17ROCPRIM_400000_NS6detail17trampoline_kernelINS0_14default_configENS1_22reduce_config_selectorIN6thrust23THRUST_200600_302600_NS5tupleIblNS6_9null_typeES8_S8_S8_S8_S8_S8_S8_EEEEZNS1_11reduce_implILb1ES3_PS9_SC_S9_NS6_11hip_rocprim9__find_if7functorIS9_EEEE10hipError_tPvRmT1_T2_T3_mT4_P12ihipStream_tbEUlT_E0_NS1_11comp_targetILNS1_3genE5ELNS1_11target_archE942ELNS1_3gpuE9ELNS1_3repE0EEENS1_30default_config_static_selectorELNS0_4arch9wavefront6targetE0EEEvSK_.has_indirect_call, 0
	.section	.AMDGPU.csdata,"",@progbits
; Kernel info:
; codeLenInByte = 0
; TotalNumSgprs: 0
; NumVgprs: 0
; ScratchSize: 0
; MemoryBound: 0
; FloatMode: 240
; IeeeMode: 1
; LDSByteSize: 0 bytes/workgroup (compile time only)
; SGPRBlocks: 0
; VGPRBlocks: 0
; NumSGPRsForWavesPerEU: 1
; NumVGPRsForWavesPerEU: 1
; Occupancy: 16
; WaveLimiterHint : 0
; COMPUTE_PGM_RSRC2:SCRATCH_EN: 0
; COMPUTE_PGM_RSRC2:USER_SGPR: 6
; COMPUTE_PGM_RSRC2:TRAP_HANDLER: 0
; COMPUTE_PGM_RSRC2:TGID_X_EN: 1
; COMPUTE_PGM_RSRC2:TGID_Y_EN: 0
; COMPUTE_PGM_RSRC2:TGID_Z_EN: 0
; COMPUTE_PGM_RSRC2:TIDIG_COMP_CNT: 0
	.section	.text._ZN7rocprim17ROCPRIM_400000_NS6detail17trampoline_kernelINS0_14default_configENS1_22reduce_config_selectorIN6thrust23THRUST_200600_302600_NS5tupleIblNS6_9null_typeES8_S8_S8_S8_S8_S8_S8_EEEEZNS1_11reduce_implILb1ES3_PS9_SC_S9_NS6_11hip_rocprim9__find_if7functorIS9_EEEE10hipError_tPvRmT1_T2_T3_mT4_P12ihipStream_tbEUlT_E0_NS1_11comp_targetILNS1_3genE4ELNS1_11target_archE910ELNS1_3gpuE8ELNS1_3repE0EEENS1_30default_config_static_selectorELNS0_4arch9wavefront6targetE0EEEvSK_,"axG",@progbits,_ZN7rocprim17ROCPRIM_400000_NS6detail17trampoline_kernelINS0_14default_configENS1_22reduce_config_selectorIN6thrust23THRUST_200600_302600_NS5tupleIblNS6_9null_typeES8_S8_S8_S8_S8_S8_S8_EEEEZNS1_11reduce_implILb1ES3_PS9_SC_S9_NS6_11hip_rocprim9__find_if7functorIS9_EEEE10hipError_tPvRmT1_T2_T3_mT4_P12ihipStream_tbEUlT_E0_NS1_11comp_targetILNS1_3genE4ELNS1_11target_archE910ELNS1_3gpuE8ELNS1_3repE0EEENS1_30default_config_static_selectorELNS0_4arch9wavefront6targetE0EEEvSK_,comdat
	.protected	_ZN7rocprim17ROCPRIM_400000_NS6detail17trampoline_kernelINS0_14default_configENS1_22reduce_config_selectorIN6thrust23THRUST_200600_302600_NS5tupleIblNS6_9null_typeES8_S8_S8_S8_S8_S8_S8_EEEEZNS1_11reduce_implILb1ES3_PS9_SC_S9_NS6_11hip_rocprim9__find_if7functorIS9_EEEE10hipError_tPvRmT1_T2_T3_mT4_P12ihipStream_tbEUlT_E0_NS1_11comp_targetILNS1_3genE4ELNS1_11target_archE910ELNS1_3gpuE8ELNS1_3repE0EEENS1_30default_config_static_selectorELNS0_4arch9wavefront6targetE0EEEvSK_ ; -- Begin function _ZN7rocprim17ROCPRIM_400000_NS6detail17trampoline_kernelINS0_14default_configENS1_22reduce_config_selectorIN6thrust23THRUST_200600_302600_NS5tupleIblNS6_9null_typeES8_S8_S8_S8_S8_S8_S8_EEEEZNS1_11reduce_implILb1ES3_PS9_SC_S9_NS6_11hip_rocprim9__find_if7functorIS9_EEEE10hipError_tPvRmT1_T2_T3_mT4_P12ihipStream_tbEUlT_E0_NS1_11comp_targetILNS1_3genE4ELNS1_11target_archE910ELNS1_3gpuE8ELNS1_3repE0EEENS1_30default_config_static_selectorELNS0_4arch9wavefront6targetE0EEEvSK_
	.globl	_ZN7rocprim17ROCPRIM_400000_NS6detail17trampoline_kernelINS0_14default_configENS1_22reduce_config_selectorIN6thrust23THRUST_200600_302600_NS5tupleIblNS6_9null_typeES8_S8_S8_S8_S8_S8_S8_EEEEZNS1_11reduce_implILb1ES3_PS9_SC_S9_NS6_11hip_rocprim9__find_if7functorIS9_EEEE10hipError_tPvRmT1_T2_T3_mT4_P12ihipStream_tbEUlT_E0_NS1_11comp_targetILNS1_3genE4ELNS1_11target_archE910ELNS1_3gpuE8ELNS1_3repE0EEENS1_30default_config_static_selectorELNS0_4arch9wavefront6targetE0EEEvSK_
	.p2align	8
	.type	_ZN7rocprim17ROCPRIM_400000_NS6detail17trampoline_kernelINS0_14default_configENS1_22reduce_config_selectorIN6thrust23THRUST_200600_302600_NS5tupleIblNS6_9null_typeES8_S8_S8_S8_S8_S8_S8_EEEEZNS1_11reduce_implILb1ES3_PS9_SC_S9_NS6_11hip_rocprim9__find_if7functorIS9_EEEE10hipError_tPvRmT1_T2_T3_mT4_P12ihipStream_tbEUlT_E0_NS1_11comp_targetILNS1_3genE4ELNS1_11target_archE910ELNS1_3gpuE8ELNS1_3repE0EEENS1_30default_config_static_selectorELNS0_4arch9wavefront6targetE0EEEvSK_,@function
_ZN7rocprim17ROCPRIM_400000_NS6detail17trampoline_kernelINS0_14default_configENS1_22reduce_config_selectorIN6thrust23THRUST_200600_302600_NS5tupleIblNS6_9null_typeES8_S8_S8_S8_S8_S8_S8_EEEEZNS1_11reduce_implILb1ES3_PS9_SC_S9_NS6_11hip_rocprim9__find_if7functorIS9_EEEE10hipError_tPvRmT1_T2_T3_mT4_P12ihipStream_tbEUlT_E0_NS1_11comp_targetILNS1_3genE4ELNS1_11target_archE910ELNS1_3gpuE8ELNS1_3repE0EEENS1_30default_config_static_selectorELNS0_4arch9wavefront6targetE0EEEvSK_: ; @_ZN7rocprim17ROCPRIM_400000_NS6detail17trampoline_kernelINS0_14default_configENS1_22reduce_config_selectorIN6thrust23THRUST_200600_302600_NS5tupleIblNS6_9null_typeES8_S8_S8_S8_S8_S8_S8_EEEEZNS1_11reduce_implILb1ES3_PS9_SC_S9_NS6_11hip_rocprim9__find_if7functorIS9_EEEE10hipError_tPvRmT1_T2_T3_mT4_P12ihipStream_tbEUlT_E0_NS1_11comp_targetILNS1_3genE4ELNS1_11target_archE910ELNS1_3gpuE8ELNS1_3repE0EEENS1_30default_config_static_selectorELNS0_4arch9wavefront6targetE0EEEvSK_
; %bb.0:
	.section	.rodata,"a",@progbits
	.p2align	6, 0x0
	.amdhsa_kernel _ZN7rocprim17ROCPRIM_400000_NS6detail17trampoline_kernelINS0_14default_configENS1_22reduce_config_selectorIN6thrust23THRUST_200600_302600_NS5tupleIblNS6_9null_typeES8_S8_S8_S8_S8_S8_S8_EEEEZNS1_11reduce_implILb1ES3_PS9_SC_S9_NS6_11hip_rocprim9__find_if7functorIS9_EEEE10hipError_tPvRmT1_T2_T3_mT4_P12ihipStream_tbEUlT_E0_NS1_11comp_targetILNS1_3genE4ELNS1_11target_archE910ELNS1_3gpuE8ELNS1_3repE0EEENS1_30default_config_static_selectorELNS0_4arch9wavefront6targetE0EEEvSK_
		.amdhsa_group_segment_fixed_size 0
		.amdhsa_private_segment_fixed_size 0
		.amdhsa_kernarg_size 72
		.amdhsa_user_sgpr_count 6
		.amdhsa_user_sgpr_private_segment_buffer 1
		.amdhsa_user_sgpr_dispatch_ptr 0
		.amdhsa_user_sgpr_queue_ptr 0
		.amdhsa_user_sgpr_kernarg_segment_ptr 1
		.amdhsa_user_sgpr_dispatch_id 0
		.amdhsa_user_sgpr_flat_scratch_init 0
		.amdhsa_user_sgpr_private_segment_size 0
		.amdhsa_wavefront_size32 1
		.amdhsa_uses_dynamic_stack 0
		.amdhsa_system_sgpr_private_segment_wavefront_offset 0
		.amdhsa_system_sgpr_workgroup_id_x 1
		.amdhsa_system_sgpr_workgroup_id_y 0
		.amdhsa_system_sgpr_workgroup_id_z 0
		.amdhsa_system_sgpr_workgroup_info 0
		.amdhsa_system_vgpr_workitem_id 0
		.amdhsa_next_free_vgpr 1
		.amdhsa_next_free_sgpr 1
		.amdhsa_reserve_vcc 0
		.amdhsa_reserve_flat_scratch 0
		.amdhsa_float_round_mode_32 0
		.amdhsa_float_round_mode_16_64 0
		.amdhsa_float_denorm_mode_32 3
		.amdhsa_float_denorm_mode_16_64 3
		.amdhsa_dx10_clamp 1
		.amdhsa_ieee_mode 1
		.amdhsa_fp16_overflow 0
		.amdhsa_workgroup_processor_mode 1
		.amdhsa_memory_ordered 1
		.amdhsa_forward_progress 1
		.amdhsa_shared_vgpr_count 0
		.amdhsa_exception_fp_ieee_invalid_op 0
		.amdhsa_exception_fp_denorm_src 0
		.amdhsa_exception_fp_ieee_div_zero 0
		.amdhsa_exception_fp_ieee_overflow 0
		.amdhsa_exception_fp_ieee_underflow 0
		.amdhsa_exception_fp_ieee_inexact 0
		.amdhsa_exception_int_div_zero 0
	.end_amdhsa_kernel
	.section	.text._ZN7rocprim17ROCPRIM_400000_NS6detail17trampoline_kernelINS0_14default_configENS1_22reduce_config_selectorIN6thrust23THRUST_200600_302600_NS5tupleIblNS6_9null_typeES8_S8_S8_S8_S8_S8_S8_EEEEZNS1_11reduce_implILb1ES3_PS9_SC_S9_NS6_11hip_rocprim9__find_if7functorIS9_EEEE10hipError_tPvRmT1_T2_T3_mT4_P12ihipStream_tbEUlT_E0_NS1_11comp_targetILNS1_3genE4ELNS1_11target_archE910ELNS1_3gpuE8ELNS1_3repE0EEENS1_30default_config_static_selectorELNS0_4arch9wavefront6targetE0EEEvSK_,"axG",@progbits,_ZN7rocprim17ROCPRIM_400000_NS6detail17trampoline_kernelINS0_14default_configENS1_22reduce_config_selectorIN6thrust23THRUST_200600_302600_NS5tupleIblNS6_9null_typeES8_S8_S8_S8_S8_S8_S8_EEEEZNS1_11reduce_implILb1ES3_PS9_SC_S9_NS6_11hip_rocprim9__find_if7functorIS9_EEEE10hipError_tPvRmT1_T2_T3_mT4_P12ihipStream_tbEUlT_E0_NS1_11comp_targetILNS1_3genE4ELNS1_11target_archE910ELNS1_3gpuE8ELNS1_3repE0EEENS1_30default_config_static_selectorELNS0_4arch9wavefront6targetE0EEEvSK_,comdat
.Lfunc_end21:
	.size	_ZN7rocprim17ROCPRIM_400000_NS6detail17trampoline_kernelINS0_14default_configENS1_22reduce_config_selectorIN6thrust23THRUST_200600_302600_NS5tupleIblNS6_9null_typeES8_S8_S8_S8_S8_S8_S8_EEEEZNS1_11reduce_implILb1ES3_PS9_SC_S9_NS6_11hip_rocprim9__find_if7functorIS9_EEEE10hipError_tPvRmT1_T2_T3_mT4_P12ihipStream_tbEUlT_E0_NS1_11comp_targetILNS1_3genE4ELNS1_11target_archE910ELNS1_3gpuE8ELNS1_3repE0EEENS1_30default_config_static_selectorELNS0_4arch9wavefront6targetE0EEEvSK_, .Lfunc_end21-_ZN7rocprim17ROCPRIM_400000_NS6detail17trampoline_kernelINS0_14default_configENS1_22reduce_config_selectorIN6thrust23THRUST_200600_302600_NS5tupleIblNS6_9null_typeES8_S8_S8_S8_S8_S8_S8_EEEEZNS1_11reduce_implILb1ES3_PS9_SC_S9_NS6_11hip_rocprim9__find_if7functorIS9_EEEE10hipError_tPvRmT1_T2_T3_mT4_P12ihipStream_tbEUlT_E0_NS1_11comp_targetILNS1_3genE4ELNS1_11target_archE910ELNS1_3gpuE8ELNS1_3repE0EEENS1_30default_config_static_selectorELNS0_4arch9wavefront6targetE0EEEvSK_
                                        ; -- End function
	.set _ZN7rocprim17ROCPRIM_400000_NS6detail17trampoline_kernelINS0_14default_configENS1_22reduce_config_selectorIN6thrust23THRUST_200600_302600_NS5tupleIblNS6_9null_typeES8_S8_S8_S8_S8_S8_S8_EEEEZNS1_11reduce_implILb1ES3_PS9_SC_S9_NS6_11hip_rocprim9__find_if7functorIS9_EEEE10hipError_tPvRmT1_T2_T3_mT4_P12ihipStream_tbEUlT_E0_NS1_11comp_targetILNS1_3genE4ELNS1_11target_archE910ELNS1_3gpuE8ELNS1_3repE0EEENS1_30default_config_static_selectorELNS0_4arch9wavefront6targetE0EEEvSK_.num_vgpr, 0
	.set _ZN7rocprim17ROCPRIM_400000_NS6detail17trampoline_kernelINS0_14default_configENS1_22reduce_config_selectorIN6thrust23THRUST_200600_302600_NS5tupleIblNS6_9null_typeES8_S8_S8_S8_S8_S8_S8_EEEEZNS1_11reduce_implILb1ES3_PS9_SC_S9_NS6_11hip_rocprim9__find_if7functorIS9_EEEE10hipError_tPvRmT1_T2_T3_mT4_P12ihipStream_tbEUlT_E0_NS1_11comp_targetILNS1_3genE4ELNS1_11target_archE910ELNS1_3gpuE8ELNS1_3repE0EEENS1_30default_config_static_selectorELNS0_4arch9wavefront6targetE0EEEvSK_.num_agpr, 0
	.set _ZN7rocprim17ROCPRIM_400000_NS6detail17trampoline_kernelINS0_14default_configENS1_22reduce_config_selectorIN6thrust23THRUST_200600_302600_NS5tupleIblNS6_9null_typeES8_S8_S8_S8_S8_S8_S8_EEEEZNS1_11reduce_implILb1ES3_PS9_SC_S9_NS6_11hip_rocprim9__find_if7functorIS9_EEEE10hipError_tPvRmT1_T2_T3_mT4_P12ihipStream_tbEUlT_E0_NS1_11comp_targetILNS1_3genE4ELNS1_11target_archE910ELNS1_3gpuE8ELNS1_3repE0EEENS1_30default_config_static_selectorELNS0_4arch9wavefront6targetE0EEEvSK_.numbered_sgpr, 0
	.set _ZN7rocprim17ROCPRIM_400000_NS6detail17trampoline_kernelINS0_14default_configENS1_22reduce_config_selectorIN6thrust23THRUST_200600_302600_NS5tupleIblNS6_9null_typeES8_S8_S8_S8_S8_S8_S8_EEEEZNS1_11reduce_implILb1ES3_PS9_SC_S9_NS6_11hip_rocprim9__find_if7functorIS9_EEEE10hipError_tPvRmT1_T2_T3_mT4_P12ihipStream_tbEUlT_E0_NS1_11comp_targetILNS1_3genE4ELNS1_11target_archE910ELNS1_3gpuE8ELNS1_3repE0EEENS1_30default_config_static_selectorELNS0_4arch9wavefront6targetE0EEEvSK_.num_named_barrier, 0
	.set _ZN7rocprim17ROCPRIM_400000_NS6detail17trampoline_kernelINS0_14default_configENS1_22reduce_config_selectorIN6thrust23THRUST_200600_302600_NS5tupleIblNS6_9null_typeES8_S8_S8_S8_S8_S8_S8_EEEEZNS1_11reduce_implILb1ES3_PS9_SC_S9_NS6_11hip_rocprim9__find_if7functorIS9_EEEE10hipError_tPvRmT1_T2_T3_mT4_P12ihipStream_tbEUlT_E0_NS1_11comp_targetILNS1_3genE4ELNS1_11target_archE910ELNS1_3gpuE8ELNS1_3repE0EEENS1_30default_config_static_selectorELNS0_4arch9wavefront6targetE0EEEvSK_.private_seg_size, 0
	.set _ZN7rocprim17ROCPRIM_400000_NS6detail17trampoline_kernelINS0_14default_configENS1_22reduce_config_selectorIN6thrust23THRUST_200600_302600_NS5tupleIblNS6_9null_typeES8_S8_S8_S8_S8_S8_S8_EEEEZNS1_11reduce_implILb1ES3_PS9_SC_S9_NS6_11hip_rocprim9__find_if7functorIS9_EEEE10hipError_tPvRmT1_T2_T3_mT4_P12ihipStream_tbEUlT_E0_NS1_11comp_targetILNS1_3genE4ELNS1_11target_archE910ELNS1_3gpuE8ELNS1_3repE0EEENS1_30default_config_static_selectorELNS0_4arch9wavefront6targetE0EEEvSK_.uses_vcc, 0
	.set _ZN7rocprim17ROCPRIM_400000_NS6detail17trampoline_kernelINS0_14default_configENS1_22reduce_config_selectorIN6thrust23THRUST_200600_302600_NS5tupleIblNS6_9null_typeES8_S8_S8_S8_S8_S8_S8_EEEEZNS1_11reduce_implILb1ES3_PS9_SC_S9_NS6_11hip_rocprim9__find_if7functorIS9_EEEE10hipError_tPvRmT1_T2_T3_mT4_P12ihipStream_tbEUlT_E0_NS1_11comp_targetILNS1_3genE4ELNS1_11target_archE910ELNS1_3gpuE8ELNS1_3repE0EEENS1_30default_config_static_selectorELNS0_4arch9wavefront6targetE0EEEvSK_.uses_flat_scratch, 0
	.set _ZN7rocprim17ROCPRIM_400000_NS6detail17trampoline_kernelINS0_14default_configENS1_22reduce_config_selectorIN6thrust23THRUST_200600_302600_NS5tupleIblNS6_9null_typeES8_S8_S8_S8_S8_S8_S8_EEEEZNS1_11reduce_implILb1ES3_PS9_SC_S9_NS6_11hip_rocprim9__find_if7functorIS9_EEEE10hipError_tPvRmT1_T2_T3_mT4_P12ihipStream_tbEUlT_E0_NS1_11comp_targetILNS1_3genE4ELNS1_11target_archE910ELNS1_3gpuE8ELNS1_3repE0EEENS1_30default_config_static_selectorELNS0_4arch9wavefront6targetE0EEEvSK_.has_dyn_sized_stack, 0
	.set _ZN7rocprim17ROCPRIM_400000_NS6detail17trampoline_kernelINS0_14default_configENS1_22reduce_config_selectorIN6thrust23THRUST_200600_302600_NS5tupleIblNS6_9null_typeES8_S8_S8_S8_S8_S8_S8_EEEEZNS1_11reduce_implILb1ES3_PS9_SC_S9_NS6_11hip_rocprim9__find_if7functorIS9_EEEE10hipError_tPvRmT1_T2_T3_mT4_P12ihipStream_tbEUlT_E0_NS1_11comp_targetILNS1_3genE4ELNS1_11target_archE910ELNS1_3gpuE8ELNS1_3repE0EEENS1_30default_config_static_selectorELNS0_4arch9wavefront6targetE0EEEvSK_.has_recursion, 0
	.set _ZN7rocprim17ROCPRIM_400000_NS6detail17trampoline_kernelINS0_14default_configENS1_22reduce_config_selectorIN6thrust23THRUST_200600_302600_NS5tupleIblNS6_9null_typeES8_S8_S8_S8_S8_S8_S8_EEEEZNS1_11reduce_implILb1ES3_PS9_SC_S9_NS6_11hip_rocprim9__find_if7functorIS9_EEEE10hipError_tPvRmT1_T2_T3_mT4_P12ihipStream_tbEUlT_E0_NS1_11comp_targetILNS1_3genE4ELNS1_11target_archE910ELNS1_3gpuE8ELNS1_3repE0EEENS1_30default_config_static_selectorELNS0_4arch9wavefront6targetE0EEEvSK_.has_indirect_call, 0
	.section	.AMDGPU.csdata,"",@progbits
; Kernel info:
; codeLenInByte = 0
; TotalNumSgprs: 0
; NumVgprs: 0
; ScratchSize: 0
; MemoryBound: 0
; FloatMode: 240
; IeeeMode: 1
; LDSByteSize: 0 bytes/workgroup (compile time only)
; SGPRBlocks: 0
; VGPRBlocks: 0
; NumSGPRsForWavesPerEU: 1
; NumVGPRsForWavesPerEU: 1
; Occupancy: 16
; WaveLimiterHint : 0
; COMPUTE_PGM_RSRC2:SCRATCH_EN: 0
; COMPUTE_PGM_RSRC2:USER_SGPR: 6
; COMPUTE_PGM_RSRC2:TRAP_HANDLER: 0
; COMPUTE_PGM_RSRC2:TGID_X_EN: 1
; COMPUTE_PGM_RSRC2:TGID_Y_EN: 0
; COMPUTE_PGM_RSRC2:TGID_Z_EN: 0
; COMPUTE_PGM_RSRC2:TIDIG_COMP_CNT: 0
	.section	.text._ZN7rocprim17ROCPRIM_400000_NS6detail17trampoline_kernelINS0_14default_configENS1_22reduce_config_selectorIN6thrust23THRUST_200600_302600_NS5tupleIblNS6_9null_typeES8_S8_S8_S8_S8_S8_S8_EEEEZNS1_11reduce_implILb1ES3_PS9_SC_S9_NS6_11hip_rocprim9__find_if7functorIS9_EEEE10hipError_tPvRmT1_T2_T3_mT4_P12ihipStream_tbEUlT_E0_NS1_11comp_targetILNS1_3genE3ELNS1_11target_archE908ELNS1_3gpuE7ELNS1_3repE0EEENS1_30default_config_static_selectorELNS0_4arch9wavefront6targetE0EEEvSK_,"axG",@progbits,_ZN7rocprim17ROCPRIM_400000_NS6detail17trampoline_kernelINS0_14default_configENS1_22reduce_config_selectorIN6thrust23THRUST_200600_302600_NS5tupleIblNS6_9null_typeES8_S8_S8_S8_S8_S8_S8_EEEEZNS1_11reduce_implILb1ES3_PS9_SC_S9_NS6_11hip_rocprim9__find_if7functorIS9_EEEE10hipError_tPvRmT1_T2_T3_mT4_P12ihipStream_tbEUlT_E0_NS1_11comp_targetILNS1_3genE3ELNS1_11target_archE908ELNS1_3gpuE7ELNS1_3repE0EEENS1_30default_config_static_selectorELNS0_4arch9wavefront6targetE0EEEvSK_,comdat
	.protected	_ZN7rocprim17ROCPRIM_400000_NS6detail17trampoline_kernelINS0_14default_configENS1_22reduce_config_selectorIN6thrust23THRUST_200600_302600_NS5tupleIblNS6_9null_typeES8_S8_S8_S8_S8_S8_S8_EEEEZNS1_11reduce_implILb1ES3_PS9_SC_S9_NS6_11hip_rocprim9__find_if7functorIS9_EEEE10hipError_tPvRmT1_T2_T3_mT4_P12ihipStream_tbEUlT_E0_NS1_11comp_targetILNS1_3genE3ELNS1_11target_archE908ELNS1_3gpuE7ELNS1_3repE0EEENS1_30default_config_static_selectorELNS0_4arch9wavefront6targetE0EEEvSK_ ; -- Begin function _ZN7rocprim17ROCPRIM_400000_NS6detail17trampoline_kernelINS0_14default_configENS1_22reduce_config_selectorIN6thrust23THRUST_200600_302600_NS5tupleIblNS6_9null_typeES8_S8_S8_S8_S8_S8_S8_EEEEZNS1_11reduce_implILb1ES3_PS9_SC_S9_NS6_11hip_rocprim9__find_if7functorIS9_EEEE10hipError_tPvRmT1_T2_T3_mT4_P12ihipStream_tbEUlT_E0_NS1_11comp_targetILNS1_3genE3ELNS1_11target_archE908ELNS1_3gpuE7ELNS1_3repE0EEENS1_30default_config_static_selectorELNS0_4arch9wavefront6targetE0EEEvSK_
	.globl	_ZN7rocprim17ROCPRIM_400000_NS6detail17trampoline_kernelINS0_14default_configENS1_22reduce_config_selectorIN6thrust23THRUST_200600_302600_NS5tupleIblNS6_9null_typeES8_S8_S8_S8_S8_S8_S8_EEEEZNS1_11reduce_implILb1ES3_PS9_SC_S9_NS6_11hip_rocprim9__find_if7functorIS9_EEEE10hipError_tPvRmT1_T2_T3_mT4_P12ihipStream_tbEUlT_E0_NS1_11comp_targetILNS1_3genE3ELNS1_11target_archE908ELNS1_3gpuE7ELNS1_3repE0EEENS1_30default_config_static_selectorELNS0_4arch9wavefront6targetE0EEEvSK_
	.p2align	8
	.type	_ZN7rocprim17ROCPRIM_400000_NS6detail17trampoline_kernelINS0_14default_configENS1_22reduce_config_selectorIN6thrust23THRUST_200600_302600_NS5tupleIblNS6_9null_typeES8_S8_S8_S8_S8_S8_S8_EEEEZNS1_11reduce_implILb1ES3_PS9_SC_S9_NS6_11hip_rocprim9__find_if7functorIS9_EEEE10hipError_tPvRmT1_T2_T3_mT4_P12ihipStream_tbEUlT_E0_NS1_11comp_targetILNS1_3genE3ELNS1_11target_archE908ELNS1_3gpuE7ELNS1_3repE0EEENS1_30default_config_static_selectorELNS0_4arch9wavefront6targetE0EEEvSK_,@function
_ZN7rocprim17ROCPRIM_400000_NS6detail17trampoline_kernelINS0_14default_configENS1_22reduce_config_selectorIN6thrust23THRUST_200600_302600_NS5tupleIblNS6_9null_typeES8_S8_S8_S8_S8_S8_S8_EEEEZNS1_11reduce_implILb1ES3_PS9_SC_S9_NS6_11hip_rocprim9__find_if7functorIS9_EEEE10hipError_tPvRmT1_T2_T3_mT4_P12ihipStream_tbEUlT_E0_NS1_11comp_targetILNS1_3genE3ELNS1_11target_archE908ELNS1_3gpuE7ELNS1_3repE0EEENS1_30default_config_static_selectorELNS0_4arch9wavefront6targetE0EEEvSK_: ; @_ZN7rocprim17ROCPRIM_400000_NS6detail17trampoline_kernelINS0_14default_configENS1_22reduce_config_selectorIN6thrust23THRUST_200600_302600_NS5tupleIblNS6_9null_typeES8_S8_S8_S8_S8_S8_S8_EEEEZNS1_11reduce_implILb1ES3_PS9_SC_S9_NS6_11hip_rocprim9__find_if7functorIS9_EEEE10hipError_tPvRmT1_T2_T3_mT4_P12ihipStream_tbEUlT_E0_NS1_11comp_targetILNS1_3genE3ELNS1_11target_archE908ELNS1_3gpuE7ELNS1_3repE0EEENS1_30default_config_static_selectorELNS0_4arch9wavefront6targetE0EEEvSK_
; %bb.0:
	.section	.rodata,"a",@progbits
	.p2align	6, 0x0
	.amdhsa_kernel _ZN7rocprim17ROCPRIM_400000_NS6detail17trampoline_kernelINS0_14default_configENS1_22reduce_config_selectorIN6thrust23THRUST_200600_302600_NS5tupleIblNS6_9null_typeES8_S8_S8_S8_S8_S8_S8_EEEEZNS1_11reduce_implILb1ES3_PS9_SC_S9_NS6_11hip_rocprim9__find_if7functorIS9_EEEE10hipError_tPvRmT1_T2_T3_mT4_P12ihipStream_tbEUlT_E0_NS1_11comp_targetILNS1_3genE3ELNS1_11target_archE908ELNS1_3gpuE7ELNS1_3repE0EEENS1_30default_config_static_selectorELNS0_4arch9wavefront6targetE0EEEvSK_
		.amdhsa_group_segment_fixed_size 0
		.amdhsa_private_segment_fixed_size 0
		.amdhsa_kernarg_size 72
		.amdhsa_user_sgpr_count 6
		.amdhsa_user_sgpr_private_segment_buffer 1
		.amdhsa_user_sgpr_dispatch_ptr 0
		.amdhsa_user_sgpr_queue_ptr 0
		.amdhsa_user_sgpr_kernarg_segment_ptr 1
		.amdhsa_user_sgpr_dispatch_id 0
		.amdhsa_user_sgpr_flat_scratch_init 0
		.amdhsa_user_sgpr_private_segment_size 0
		.amdhsa_wavefront_size32 1
		.amdhsa_uses_dynamic_stack 0
		.amdhsa_system_sgpr_private_segment_wavefront_offset 0
		.amdhsa_system_sgpr_workgroup_id_x 1
		.amdhsa_system_sgpr_workgroup_id_y 0
		.amdhsa_system_sgpr_workgroup_id_z 0
		.amdhsa_system_sgpr_workgroup_info 0
		.amdhsa_system_vgpr_workitem_id 0
		.amdhsa_next_free_vgpr 1
		.amdhsa_next_free_sgpr 1
		.amdhsa_reserve_vcc 0
		.amdhsa_reserve_flat_scratch 0
		.amdhsa_float_round_mode_32 0
		.amdhsa_float_round_mode_16_64 0
		.amdhsa_float_denorm_mode_32 3
		.amdhsa_float_denorm_mode_16_64 3
		.amdhsa_dx10_clamp 1
		.amdhsa_ieee_mode 1
		.amdhsa_fp16_overflow 0
		.amdhsa_workgroup_processor_mode 1
		.amdhsa_memory_ordered 1
		.amdhsa_forward_progress 1
		.amdhsa_shared_vgpr_count 0
		.amdhsa_exception_fp_ieee_invalid_op 0
		.amdhsa_exception_fp_denorm_src 0
		.amdhsa_exception_fp_ieee_div_zero 0
		.amdhsa_exception_fp_ieee_overflow 0
		.amdhsa_exception_fp_ieee_underflow 0
		.amdhsa_exception_fp_ieee_inexact 0
		.amdhsa_exception_int_div_zero 0
	.end_amdhsa_kernel
	.section	.text._ZN7rocprim17ROCPRIM_400000_NS6detail17trampoline_kernelINS0_14default_configENS1_22reduce_config_selectorIN6thrust23THRUST_200600_302600_NS5tupleIblNS6_9null_typeES8_S8_S8_S8_S8_S8_S8_EEEEZNS1_11reduce_implILb1ES3_PS9_SC_S9_NS6_11hip_rocprim9__find_if7functorIS9_EEEE10hipError_tPvRmT1_T2_T3_mT4_P12ihipStream_tbEUlT_E0_NS1_11comp_targetILNS1_3genE3ELNS1_11target_archE908ELNS1_3gpuE7ELNS1_3repE0EEENS1_30default_config_static_selectorELNS0_4arch9wavefront6targetE0EEEvSK_,"axG",@progbits,_ZN7rocprim17ROCPRIM_400000_NS6detail17trampoline_kernelINS0_14default_configENS1_22reduce_config_selectorIN6thrust23THRUST_200600_302600_NS5tupleIblNS6_9null_typeES8_S8_S8_S8_S8_S8_S8_EEEEZNS1_11reduce_implILb1ES3_PS9_SC_S9_NS6_11hip_rocprim9__find_if7functorIS9_EEEE10hipError_tPvRmT1_T2_T3_mT4_P12ihipStream_tbEUlT_E0_NS1_11comp_targetILNS1_3genE3ELNS1_11target_archE908ELNS1_3gpuE7ELNS1_3repE0EEENS1_30default_config_static_selectorELNS0_4arch9wavefront6targetE0EEEvSK_,comdat
.Lfunc_end22:
	.size	_ZN7rocprim17ROCPRIM_400000_NS6detail17trampoline_kernelINS0_14default_configENS1_22reduce_config_selectorIN6thrust23THRUST_200600_302600_NS5tupleIblNS6_9null_typeES8_S8_S8_S8_S8_S8_S8_EEEEZNS1_11reduce_implILb1ES3_PS9_SC_S9_NS6_11hip_rocprim9__find_if7functorIS9_EEEE10hipError_tPvRmT1_T2_T3_mT4_P12ihipStream_tbEUlT_E0_NS1_11comp_targetILNS1_3genE3ELNS1_11target_archE908ELNS1_3gpuE7ELNS1_3repE0EEENS1_30default_config_static_selectorELNS0_4arch9wavefront6targetE0EEEvSK_, .Lfunc_end22-_ZN7rocprim17ROCPRIM_400000_NS6detail17trampoline_kernelINS0_14default_configENS1_22reduce_config_selectorIN6thrust23THRUST_200600_302600_NS5tupleIblNS6_9null_typeES8_S8_S8_S8_S8_S8_S8_EEEEZNS1_11reduce_implILb1ES3_PS9_SC_S9_NS6_11hip_rocprim9__find_if7functorIS9_EEEE10hipError_tPvRmT1_T2_T3_mT4_P12ihipStream_tbEUlT_E0_NS1_11comp_targetILNS1_3genE3ELNS1_11target_archE908ELNS1_3gpuE7ELNS1_3repE0EEENS1_30default_config_static_selectorELNS0_4arch9wavefront6targetE0EEEvSK_
                                        ; -- End function
	.set _ZN7rocprim17ROCPRIM_400000_NS6detail17trampoline_kernelINS0_14default_configENS1_22reduce_config_selectorIN6thrust23THRUST_200600_302600_NS5tupleIblNS6_9null_typeES8_S8_S8_S8_S8_S8_S8_EEEEZNS1_11reduce_implILb1ES3_PS9_SC_S9_NS6_11hip_rocprim9__find_if7functorIS9_EEEE10hipError_tPvRmT1_T2_T3_mT4_P12ihipStream_tbEUlT_E0_NS1_11comp_targetILNS1_3genE3ELNS1_11target_archE908ELNS1_3gpuE7ELNS1_3repE0EEENS1_30default_config_static_selectorELNS0_4arch9wavefront6targetE0EEEvSK_.num_vgpr, 0
	.set _ZN7rocprim17ROCPRIM_400000_NS6detail17trampoline_kernelINS0_14default_configENS1_22reduce_config_selectorIN6thrust23THRUST_200600_302600_NS5tupleIblNS6_9null_typeES8_S8_S8_S8_S8_S8_S8_EEEEZNS1_11reduce_implILb1ES3_PS9_SC_S9_NS6_11hip_rocprim9__find_if7functorIS9_EEEE10hipError_tPvRmT1_T2_T3_mT4_P12ihipStream_tbEUlT_E0_NS1_11comp_targetILNS1_3genE3ELNS1_11target_archE908ELNS1_3gpuE7ELNS1_3repE0EEENS1_30default_config_static_selectorELNS0_4arch9wavefront6targetE0EEEvSK_.num_agpr, 0
	.set _ZN7rocprim17ROCPRIM_400000_NS6detail17trampoline_kernelINS0_14default_configENS1_22reduce_config_selectorIN6thrust23THRUST_200600_302600_NS5tupleIblNS6_9null_typeES8_S8_S8_S8_S8_S8_S8_EEEEZNS1_11reduce_implILb1ES3_PS9_SC_S9_NS6_11hip_rocprim9__find_if7functorIS9_EEEE10hipError_tPvRmT1_T2_T3_mT4_P12ihipStream_tbEUlT_E0_NS1_11comp_targetILNS1_3genE3ELNS1_11target_archE908ELNS1_3gpuE7ELNS1_3repE0EEENS1_30default_config_static_selectorELNS0_4arch9wavefront6targetE0EEEvSK_.numbered_sgpr, 0
	.set _ZN7rocprim17ROCPRIM_400000_NS6detail17trampoline_kernelINS0_14default_configENS1_22reduce_config_selectorIN6thrust23THRUST_200600_302600_NS5tupleIblNS6_9null_typeES8_S8_S8_S8_S8_S8_S8_EEEEZNS1_11reduce_implILb1ES3_PS9_SC_S9_NS6_11hip_rocprim9__find_if7functorIS9_EEEE10hipError_tPvRmT1_T2_T3_mT4_P12ihipStream_tbEUlT_E0_NS1_11comp_targetILNS1_3genE3ELNS1_11target_archE908ELNS1_3gpuE7ELNS1_3repE0EEENS1_30default_config_static_selectorELNS0_4arch9wavefront6targetE0EEEvSK_.num_named_barrier, 0
	.set _ZN7rocprim17ROCPRIM_400000_NS6detail17trampoline_kernelINS0_14default_configENS1_22reduce_config_selectorIN6thrust23THRUST_200600_302600_NS5tupleIblNS6_9null_typeES8_S8_S8_S8_S8_S8_S8_EEEEZNS1_11reduce_implILb1ES3_PS9_SC_S9_NS6_11hip_rocprim9__find_if7functorIS9_EEEE10hipError_tPvRmT1_T2_T3_mT4_P12ihipStream_tbEUlT_E0_NS1_11comp_targetILNS1_3genE3ELNS1_11target_archE908ELNS1_3gpuE7ELNS1_3repE0EEENS1_30default_config_static_selectorELNS0_4arch9wavefront6targetE0EEEvSK_.private_seg_size, 0
	.set _ZN7rocprim17ROCPRIM_400000_NS6detail17trampoline_kernelINS0_14default_configENS1_22reduce_config_selectorIN6thrust23THRUST_200600_302600_NS5tupleIblNS6_9null_typeES8_S8_S8_S8_S8_S8_S8_EEEEZNS1_11reduce_implILb1ES3_PS9_SC_S9_NS6_11hip_rocprim9__find_if7functorIS9_EEEE10hipError_tPvRmT1_T2_T3_mT4_P12ihipStream_tbEUlT_E0_NS1_11comp_targetILNS1_3genE3ELNS1_11target_archE908ELNS1_3gpuE7ELNS1_3repE0EEENS1_30default_config_static_selectorELNS0_4arch9wavefront6targetE0EEEvSK_.uses_vcc, 0
	.set _ZN7rocprim17ROCPRIM_400000_NS6detail17trampoline_kernelINS0_14default_configENS1_22reduce_config_selectorIN6thrust23THRUST_200600_302600_NS5tupleIblNS6_9null_typeES8_S8_S8_S8_S8_S8_S8_EEEEZNS1_11reduce_implILb1ES3_PS9_SC_S9_NS6_11hip_rocprim9__find_if7functorIS9_EEEE10hipError_tPvRmT1_T2_T3_mT4_P12ihipStream_tbEUlT_E0_NS1_11comp_targetILNS1_3genE3ELNS1_11target_archE908ELNS1_3gpuE7ELNS1_3repE0EEENS1_30default_config_static_selectorELNS0_4arch9wavefront6targetE0EEEvSK_.uses_flat_scratch, 0
	.set _ZN7rocprim17ROCPRIM_400000_NS6detail17trampoline_kernelINS0_14default_configENS1_22reduce_config_selectorIN6thrust23THRUST_200600_302600_NS5tupleIblNS6_9null_typeES8_S8_S8_S8_S8_S8_S8_EEEEZNS1_11reduce_implILb1ES3_PS9_SC_S9_NS6_11hip_rocprim9__find_if7functorIS9_EEEE10hipError_tPvRmT1_T2_T3_mT4_P12ihipStream_tbEUlT_E0_NS1_11comp_targetILNS1_3genE3ELNS1_11target_archE908ELNS1_3gpuE7ELNS1_3repE0EEENS1_30default_config_static_selectorELNS0_4arch9wavefront6targetE0EEEvSK_.has_dyn_sized_stack, 0
	.set _ZN7rocprim17ROCPRIM_400000_NS6detail17trampoline_kernelINS0_14default_configENS1_22reduce_config_selectorIN6thrust23THRUST_200600_302600_NS5tupleIblNS6_9null_typeES8_S8_S8_S8_S8_S8_S8_EEEEZNS1_11reduce_implILb1ES3_PS9_SC_S9_NS6_11hip_rocprim9__find_if7functorIS9_EEEE10hipError_tPvRmT1_T2_T3_mT4_P12ihipStream_tbEUlT_E0_NS1_11comp_targetILNS1_3genE3ELNS1_11target_archE908ELNS1_3gpuE7ELNS1_3repE0EEENS1_30default_config_static_selectorELNS0_4arch9wavefront6targetE0EEEvSK_.has_recursion, 0
	.set _ZN7rocprim17ROCPRIM_400000_NS6detail17trampoline_kernelINS0_14default_configENS1_22reduce_config_selectorIN6thrust23THRUST_200600_302600_NS5tupleIblNS6_9null_typeES8_S8_S8_S8_S8_S8_S8_EEEEZNS1_11reduce_implILb1ES3_PS9_SC_S9_NS6_11hip_rocprim9__find_if7functorIS9_EEEE10hipError_tPvRmT1_T2_T3_mT4_P12ihipStream_tbEUlT_E0_NS1_11comp_targetILNS1_3genE3ELNS1_11target_archE908ELNS1_3gpuE7ELNS1_3repE0EEENS1_30default_config_static_selectorELNS0_4arch9wavefront6targetE0EEEvSK_.has_indirect_call, 0
	.section	.AMDGPU.csdata,"",@progbits
; Kernel info:
; codeLenInByte = 0
; TotalNumSgprs: 0
; NumVgprs: 0
; ScratchSize: 0
; MemoryBound: 0
; FloatMode: 240
; IeeeMode: 1
; LDSByteSize: 0 bytes/workgroup (compile time only)
; SGPRBlocks: 0
; VGPRBlocks: 0
; NumSGPRsForWavesPerEU: 1
; NumVGPRsForWavesPerEU: 1
; Occupancy: 16
; WaveLimiterHint : 0
; COMPUTE_PGM_RSRC2:SCRATCH_EN: 0
; COMPUTE_PGM_RSRC2:USER_SGPR: 6
; COMPUTE_PGM_RSRC2:TRAP_HANDLER: 0
; COMPUTE_PGM_RSRC2:TGID_X_EN: 1
; COMPUTE_PGM_RSRC2:TGID_Y_EN: 0
; COMPUTE_PGM_RSRC2:TGID_Z_EN: 0
; COMPUTE_PGM_RSRC2:TIDIG_COMP_CNT: 0
	.section	.text._ZN7rocprim17ROCPRIM_400000_NS6detail17trampoline_kernelINS0_14default_configENS1_22reduce_config_selectorIN6thrust23THRUST_200600_302600_NS5tupleIblNS6_9null_typeES8_S8_S8_S8_S8_S8_S8_EEEEZNS1_11reduce_implILb1ES3_PS9_SC_S9_NS6_11hip_rocprim9__find_if7functorIS9_EEEE10hipError_tPvRmT1_T2_T3_mT4_P12ihipStream_tbEUlT_E0_NS1_11comp_targetILNS1_3genE2ELNS1_11target_archE906ELNS1_3gpuE6ELNS1_3repE0EEENS1_30default_config_static_selectorELNS0_4arch9wavefront6targetE0EEEvSK_,"axG",@progbits,_ZN7rocprim17ROCPRIM_400000_NS6detail17trampoline_kernelINS0_14default_configENS1_22reduce_config_selectorIN6thrust23THRUST_200600_302600_NS5tupleIblNS6_9null_typeES8_S8_S8_S8_S8_S8_S8_EEEEZNS1_11reduce_implILb1ES3_PS9_SC_S9_NS6_11hip_rocprim9__find_if7functorIS9_EEEE10hipError_tPvRmT1_T2_T3_mT4_P12ihipStream_tbEUlT_E0_NS1_11comp_targetILNS1_3genE2ELNS1_11target_archE906ELNS1_3gpuE6ELNS1_3repE0EEENS1_30default_config_static_selectorELNS0_4arch9wavefront6targetE0EEEvSK_,comdat
	.protected	_ZN7rocprim17ROCPRIM_400000_NS6detail17trampoline_kernelINS0_14default_configENS1_22reduce_config_selectorIN6thrust23THRUST_200600_302600_NS5tupleIblNS6_9null_typeES8_S8_S8_S8_S8_S8_S8_EEEEZNS1_11reduce_implILb1ES3_PS9_SC_S9_NS6_11hip_rocprim9__find_if7functorIS9_EEEE10hipError_tPvRmT1_T2_T3_mT4_P12ihipStream_tbEUlT_E0_NS1_11comp_targetILNS1_3genE2ELNS1_11target_archE906ELNS1_3gpuE6ELNS1_3repE0EEENS1_30default_config_static_selectorELNS0_4arch9wavefront6targetE0EEEvSK_ ; -- Begin function _ZN7rocprim17ROCPRIM_400000_NS6detail17trampoline_kernelINS0_14default_configENS1_22reduce_config_selectorIN6thrust23THRUST_200600_302600_NS5tupleIblNS6_9null_typeES8_S8_S8_S8_S8_S8_S8_EEEEZNS1_11reduce_implILb1ES3_PS9_SC_S9_NS6_11hip_rocprim9__find_if7functorIS9_EEEE10hipError_tPvRmT1_T2_T3_mT4_P12ihipStream_tbEUlT_E0_NS1_11comp_targetILNS1_3genE2ELNS1_11target_archE906ELNS1_3gpuE6ELNS1_3repE0EEENS1_30default_config_static_selectorELNS0_4arch9wavefront6targetE0EEEvSK_
	.globl	_ZN7rocprim17ROCPRIM_400000_NS6detail17trampoline_kernelINS0_14default_configENS1_22reduce_config_selectorIN6thrust23THRUST_200600_302600_NS5tupleIblNS6_9null_typeES8_S8_S8_S8_S8_S8_S8_EEEEZNS1_11reduce_implILb1ES3_PS9_SC_S9_NS6_11hip_rocprim9__find_if7functorIS9_EEEE10hipError_tPvRmT1_T2_T3_mT4_P12ihipStream_tbEUlT_E0_NS1_11comp_targetILNS1_3genE2ELNS1_11target_archE906ELNS1_3gpuE6ELNS1_3repE0EEENS1_30default_config_static_selectorELNS0_4arch9wavefront6targetE0EEEvSK_
	.p2align	8
	.type	_ZN7rocprim17ROCPRIM_400000_NS6detail17trampoline_kernelINS0_14default_configENS1_22reduce_config_selectorIN6thrust23THRUST_200600_302600_NS5tupleIblNS6_9null_typeES8_S8_S8_S8_S8_S8_S8_EEEEZNS1_11reduce_implILb1ES3_PS9_SC_S9_NS6_11hip_rocprim9__find_if7functorIS9_EEEE10hipError_tPvRmT1_T2_T3_mT4_P12ihipStream_tbEUlT_E0_NS1_11comp_targetILNS1_3genE2ELNS1_11target_archE906ELNS1_3gpuE6ELNS1_3repE0EEENS1_30default_config_static_selectorELNS0_4arch9wavefront6targetE0EEEvSK_,@function
_ZN7rocprim17ROCPRIM_400000_NS6detail17trampoline_kernelINS0_14default_configENS1_22reduce_config_selectorIN6thrust23THRUST_200600_302600_NS5tupleIblNS6_9null_typeES8_S8_S8_S8_S8_S8_S8_EEEEZNS1_11reduce_implILb1ES3_PS9_SC_S9_NS6_11hip_rocprim9__find_if7functorIS9_EEEE10hipError_tPvRmT1_T2_T3_mT4_P12ihipStream_tbEUlT_E0_NS1_11comp_targetILNS1_3genE2ELNS1_11target_archE906ELNS1_3gpuE6ELNS1_3repE0EEENS1_30default_config_static_selectorELNS0_4arch9wavefront6targetE0EEEvSK_: ; @_ZN7rocprim17ROCPRIM_400000_NS6detail17trampoline_kernelINS0_14default_configENS1_22reduce_config_selectorIN6thrust23THRUST_200600_302600_NS5tupleIblNS6_9null_typeES8_S8_S8_S8_S8_S8_S8_EEEEZNS1_11reduce_implILb1ES3_PS9_SC_S9_NS6_11hip_rocprim9__find_if7functorIS9_EEEE10hipError_tPvRmT1_T2_T3_mT4_P12ihipStream_tbEUlT_E0_NS1_11comp_targetILNS1_3genE2ELNS1_11target_archE906ELNS1_3gpuE6ELNS1_3repE0EEENS1_30default_config_static_selectorELNS0_4arch9wavefront6targetE0EEEvSK_
; %bb.0:
	.section	.rodata,"a",@progbits
	.p2align	6, 0x0
	.amdhsa_kernel _ZN7rocprim17ROCPRIM_400000_NS6detail17trampoline_kernelINS0_14default_configENS1_22reduce_config_selectorIN6thrust23THRUST_200600_302600_NS5tupleIblNS6_9null_typeES8_S8_S8_S8_S8_S8_S8_EEEEZNS1_11reduce_implILb1ES3_PS9_SC_S9_NS6_11hip_rocprim9__find_if7functorIS9_EEEE10hipError_tPvRmT1_T2_T3_mT4_P12ihipStream_tbEUlT_E0_NS1_11comp_targetILNS1_3genE2ELNS1_11target_archE906ELNS1_3gpuE6ELNS1_3repE0EEENS1_30default_config_static_selectorELNS0_4arch9wavefront6targetE0EEEvSK_
		.amdhsa_group_segment_fixed_size 0
		.amdhsa_private_segment_fixed_size 0
		.amdhsa_kernarg_size 72
		.amdhsa_user_sgpr_count 6
		.amdhsa_user_sgpr_private_segment_buffer 1
		.amdhsa_user_sgpr_dispatch_ptr 0
		.amdhsa_user_sgpr_queue_ptr 0
		.amdhsa_user_sgpr_kernarg_segment_ptr 1
		.amdhsa_user_sgpr_dispatch_id 0
		.amdhsa_user_sgpr_flat_scratch_init 0
		.amdhsa_user_sgpr_private_segment_size 0
		.amdhsa_wavefront_size32 1
		.amdhsa_uses_dynamic_stack 0
		.amdhsa_system_sgpr_private_segment_wavefront_offset 0
		.amdhsa_system_sgpr_workgroup_id_x 1
		.amdhsa_system_sgpr_workgroup_id_y 0
		.amdhsa_system_sgpr_workgroup_id_z 0
		.amdhsa_system_sgpr_workgroup_info 0
		.amdhsa_system_vgpr_workitem_id 0
		.amdhsa_next_free_vgpr 1
		.amdhsa_next_free_sgpr 1
		.amdhsa_reserve_vcc 0
		.amdhsa_reserve_flat_scratch 0
		.amdhsa_float_round_mode_32 0
		.amdhsa_float_round_mode_16_64 0
		.amdhsa_float_denorm_mode_32 3
		.amdhsa_float_denorm_mode_16_64 3
		.amdhsa_dx10_clamp 1
		.amdhsa_ieee_mode 1
		.amdhsa_fp16_overflow 0
		.amdhsa_workgroup_processor_mode 1
		.amdhsa_memory_ordered 1
		.amdhsa_forward_progress 1
		.amdhsa_shared_vgpr_count 0
		.amdhsa_exception_fp_ieee_invalid_op 0
		.amdhsa_exception_fp_denorm_src 0
		.amdhsa_exception_fp_ieee_div_zero 0
		.amdhsa_exception_fp_ieee_overflow 0
		.amdhsa_exception_fp_ieee_underflow 0
		.amdhsa_exception_fp_ieee_inexact 0
		.amdhsa_exception_int_div_zero 0
	.end_amdhsa_kernel
	.section	.text._ZN7rocprim17ROCPRIM_400000_NS6detail17trampoline_kernelINS0_14default_configENS1_22reduce_config_selectorIN6thrust23THRUST_200600_302600_NS5tupleIblNS6_9null_typeES8_S8_S8_S8_S8_S8_S8_EEEEZNS1_11reduce_implILb1ES3_PS9_SC_S9_NS6_11hip_rocprim9__find_if7functorIS9_EEEE10hipError_tPvRmT1_T2_T3_mT4_P12ihipStream_tbEUlT_E0_NS1_11comp_targetILNS1_3genE2ELNS1_11target_archE906ELNS1_3gpuE6ELNS1_3repE0EEENS1_30default_config_static_selectorELNS0_4arch9wavefront6targetE0EEEvSK_,"axG",@progbits,_ZN7rocprim17ROCPRIM_400000_NS6detail17trampoline_kernelINS0_14default_configENS1_22reduce_config_selectorIN6thrust23THRUST_200600_302600_NS5tupleIblNS6_9null_typeES8_S8_S8_S8_S8_S8_S8_EEEEZNS1_11reduce_implILb1ES3_PS9_SC_S9_NS6_11hip_rocprim9__find_if7functorIS9_EEEE10hipError_tPvRmT1_T2_T3_mT4_P12ihipStream_tbEUlT_E0_NS1_11comp_targetILNS1_3genE2ELNS1_11target_archE906ELNS1_3gpuE6ELNS1_3repE0EEENS1_30default_config_static_selectorELNS0_4arch9wavefront6targetE0EEEvSK_,comdat
.Lfunc_end23:
	.size	_ZN7rocprim17ROCPRIM_400000_NS6detail17trampoline_kernelINS0_14default_configENS1_22reduce_config_selectorIN6thrust23THRUST_200600_302600_NS5tupleIblNS6_9null_typeES8_S8_S8_S8_S8_S8_S8_EEEEZNS1_11reduce_implILb1ES3_PS9_SC_S9_NS6_11hip_rocprim9__find_if7functorIS9_EEEE10hipError_tPvRmT1_T2_T3_mT4_P12ihipStream_tbEUlT_E0_NS1_11comp_targetILNS1_3genE2ELNS1_11target_archE906ELNS1_3gpuE6ELNS1_3repE0EEENS1_30default_config_static_selectorELNS0_4arch9wavefront6targetE0EEEvSK_, .Lfunc_end23-_ZN7rocprim17ROCPRIM_400000_NS6detail17trampoline_kernelINS0_14default_configENS1_22reduce_config_selectorIN6thrust23THRUST_200600_302600_NS5tupleIblNS6_9null_typeES8_S8_S8_S8_S8_S8_S8_EEEEZNS1_11reduce_implILb1ES3_PS9_SC_S9_NS6_11hip_rocprim9__find_if7functorIS9_EEEE10hipError_tPvRmT1_T2_T3_mT4_P12ihipStream_tbEUlT_E0_NS1_11comp_targetILNS1_3genE2ELNS1_11target_archE906ELNS1_3gpuE6ELNS1_3repE0EEENS1_30default_config_static_selectorELNS0_4arch9wavefront6targetE0EEEvSK_
                                        ; -- End function
	.set _ZN7rocprim17ROCPRIM_400000_NS6detail17trampoline_kernelINS0_14default_configENS1_22reduce_config_selectorIN6thrust23THRUST_200600_302600_NS5tupleIblNS6_9null_typeES8_S8_S8_S8_S8_S8_S8_EEEEZNS1_11reduce_implILb1ES3_PS9_SC_S9_NS6_11hip_rocprim9__find_if7functorIS9_EEEE10hipError_tPvRmT1_T2_T3_mT4_P12ihipStream_tbEUlT_E0_NS1_11comp_targetILNS1_3genE2ELNS1_11target_archE906ELNS1_3gpuE6ELNS1_3repE0EEENS1_30default_config_static_selectorELNS0_4arch9wavefront6targetE0EEEvSK_.num_vgpr, 0
	.set _ZN7rocprim17ROCPRIM_400000_NS6detail17trampoline_kernelINS0_14default_configENS1_22reduce_config_selectorIN6thrust23THRUST_200600_302600_NS5tupleIblNS6_9null_typeES8_S8_S8_S8_S8_S8_S8_EEEEZNS1_11reduce_implILb1ES3_PS9_SC_S9_NS6_11hip_rocprim9__find_if7functorIS9_EEEE10hipError_tPvRmT1_T2_T3_mT4_P12ihipStream_tbEUlT_E0_NS1_11comp_targetILNS1_3genE2ELNS1_11target_archE906ELNS1_3gpuE6ELNS1_3repE0EEENS1_30default_config_static_selectorELNS0_4arch9wavefront6targetE0EEEvSK_.num_agpr, 0
	.set _ZN7rocprim17ROCPRIM_400000_NS6detail17trampoline_kernelINS0_14default_configENS1_22reduce_config_selectorIN6thrust23THRUST_200600_302600_NS5tupleIblNS6_9null_typeES8_S8_S8_S8_S8_S8_S8_EEEEZNS1_11reduce_implILb1ES3_PS9_SC_S9_NS6_11hip_rocprim9__find_if7functorIS9_EEEE10hipError_tPvRmT1_T2_T3_mT4_P12ihipStream_tbEUlT_E0_NS1_11comp_targetILNS1_3genE2ELNS1_11target_archE906ELNS1_3gpuE6ELNS1_3repE0EEENS1_30default_config_static_selectorELNS0_4arch9wavefront6targetE0EEEvSK_.numbered_sgpr, 0
	.set _ZN7rocprim17ROCPRIM_400000_NS6detail17trampoline_kernelINS0_14default_configENS1_22reduce_config_selectorIN6thrust23THRUST_200600_302600_NS5tupleIblNS6_9null_typeES8_S8_S8_S8_S8_S8_S8_EEEEZNS1_11reduce_implILb1ES3_PS9_SC_S9_NS6_11hip_rocprim9__find_if7functorIS9_EEEE10hipError_tPvRmT1_T2_T3_mT4_P12ihipStream_tbEUlT_E0_NS1_11comp_targetILNS1_3genE2ELNS1_11target_archE906ELNS1_3gpuE6ELNS1_3repE0EEENS1_30default_config_static_selectorELNS0_4arch9wavefront6targetE0EEEvSK_.num_named_barrier, 0
	.set _ZN7rocprim17ROCPRIM_400000_NS6detail17trampoline_kernelINS0_14default_configENS1_22reduce_config_selectorIN6thrust23THRUST_200600_302600_NS5tupleIblNS6_9null_typeES8_S8_S8_S8_S8_S8_S8_EEEEZNS1_11reduce_implILb1ES3_PS9_SC_S9_NS6_11hip_rocprim9__find_if7functorIS9_EEEE10hipError_tPvRmT1_T2_T3_mT4_P12ihipStream_tbEUlT_E0_NS1_11comp_targetILNS1_3genE2ELNS1_11target_archE906ELNS1_3gpuE6ELNS1_3repE0EEENS1_30default_config_static_selectorELNS0_4arch9wavefront6targetE0EEEvSK_.private_seg_size, 0
	.set _ZN7rocprim17ROCPRIM_400000_NS6detail17trampoline_kernelINS0_14default_configENS1_22reduce_config_selectorIN6thrust23THRUST_200600_302600_NS5tupleIblNS6_9null_typeES8_S8_S8_S8_S8_S8_S8_EEEEZNS1_11reduce_implILb1ES3_PS9_SC_S9_NS6_11hip_rocprim9__find_if7functorIS9_EEEE10hipError_tPvRmT1_T2_T3_mT4_P12ihipStream_tbEUlT_E0_NS1_11comp_targetILNS1_3genE2ELNS1_11target_archE906ELNS1_3gpuE6ELNS1_3repE0EEENS1_30default_config_static_selectorELNS0_4arch9wavefront6targetE0EEEvSK_.uses_vcc, 0
	.set _ZN7rocprim17ROCPRIM_400000_NS6detail17trampoline_kernelINS0_14default_configENS1_22reduce_config_selectorIN6thrust23THRUST_200600_302600_NS5tupleIblNS6_9null_typeES8_S8_S8_S8_S8_S8_S8_EEEEZNS1_11reduce_implILb1ES3_PS9_SC_S9_NS6_11hip_rocprim9__find_if7functorIS9_EEEE10hipError_tPvRmT1_T2_T3_mT4_P12ihipStream_tbEUlT_E0_NS1_11comp_targetILNS1_3genE2ELNS1_11target_archE906ELNS1_3gpuE6ELNS1_3repE0EEENS1_30default_config_static_selectorELNS0_4arch9wavefront6targetE0EEEvSK_.uses_flat_scratch, 0
	.set _ZN7rocprim17ROCPRIM_400000_NS6detail17trampoline_kernelINS0_14default_configENS1_22reduce_config_selectorIN6thrust23THRUST_200600_302600_NS5tupleIblNS6_9null_typeES8_S8_S8_S8_S8_S8_S8_EEEEZNS1_11reduce_implILb1ES3_PS9_SC_S9_NS6_11hip_rocprim9__find_if7functorIS9_EEEE10hipError_tPvRmT1_T2_T3_mT4_P12ihipStream_tbEUlT_E0_NS1_11comp_targetILNS1_3genE2ELNS1_11target_archE906ELNS1_3gpuE6ELNS1_3repE0EEENS1_30default_config_static_selectorELNS0_4arch9wavefront6targetE0EEEvSK_.has_dyn_sized_stack, 0
	.set _ZN7rocprim17ROCPRIM_400000_NS6detail17trampoline_kernelINS0_14default_configENS1_22reduce_config_selectorIN6thrust23THRUST_200600_302600_NS5tupleIblNS6_9null_typeES8_S8_S8_S8_S8_S8_S8_EEEEZNS1_11reduce_implILb1ES3_PS9_SC_S9_NS6_11hip_rocprim9__find_if7functorIS9_EEEE10hipError_tPvRmT1_T2_T3_mT4_P12ihipStream_tbEUlT_E0_NS1_11comp_targetILNS1_3genE2ELNS1_11target_archE906ELNS1_3gpuE6ELNS1_3repE0EEENS1_30default_config_static_selectorELNS0_4arch9wavefront6targetE0EEEvSK_.has_recursion, 0
	.set _ZN7rocprim17ROCPRIM_400000_NS6detail17trampoline_kernelINS0_14default_configENS1_22reduce_config_selectorIN6thrust23THRUST_200600_302600_NS5tupleIblNS6_9null_typeES8_S8_S8_S8_S8_S8_S8_EEEEZNS1_11reduce_implILb1ES3_PS9_SC_S9_NS6_11hip_rocprim9__find_if7functorIS9_EEEE10hipError_tPvRmT1_T2_T3_mT4_P12ihipStream_tbEUlT_E0_NS1_11comp_targetILNS1_3genE2ELNS1_11target_archE906ELNS1_3gpuE6ELNS1_3repE0EEENS1_30default_config_static_selectorELNS0_4arch9wavefront6targetE0EEEvSK_.has_indirect_call, 0
	.section	.AMDGPU.csdata,"",@progbits
; Kernel info:
; codeLenInByte = 0
; TotalNumSgprs: 0
; NumVgprs: 0
; ScratchSize: 0
; MemoryBound: 0
; FloatMode: 240
; IeeeMode: 1
; LDSByteSize: 0 bytes/workgroup (compile time only)
; SGPRBlocks: 0
; VGPRBlocks: 0
; NumSGPRsForWavesPerEU: 1
; NumVGPRsForWavesPerEU: 1
; Occupancy: 16
; WaveLimiterHint : 0
; COMPUTE_PGM_RSRC2:SCRATCH_EN: 0
; COMPUTE_PGM_RSRC2:USER_SGPR: 6
; COMPUTE_PGM_RSRC2:TRAP_HANDLER: 0
; COMPUTE_PGM_RSRC2:TGID_X_EN: 1
; COMPUTE_PGM_RSRC2:TGID_Y_EN: 0
; COMPUTE_PGM_RSRC2:TGID_Z_EN: 0
; COMPUTE_PGM_RSRC2:TIDIG_COMP_CNT: 0
	.section	.text._ZN7rocprim17ROCPRIM_400000_NS6detail17trampoline_kernelINS0_14default_configENS1_22reduce_config_selectorIN6thrust23THRUST_200600_302600_NS5tupleIblNS6_9null_typeES8_S8_S8_S8_S8_S8_S8_EEEEZNS1_11reduce_implILb1ES3_PS9_SC_S9_NS6_11hip_rocprim9__find_if7functorIS9_EEEE10hipError_tPvRmT1_T2_T3_mT4_P12ihipStream_tbEUlT_E0_NS1_11comp_targetILNS1_3genE10ELNS1_11target_archE1201ELNS1_3gpuE5ELNS1_3repE0EEENS1_30default_config_static_selectorELNS0_4arch9wavefront6targetE0EEEvSK_,"axG",@progbits,_ZN7rocprim17ROCPRIM_400000_NS6detail17trampoline_kernelINS0_14default_configENS1_22reduce_config_selectorIN6thrust23THRUST_200600_302600_NS5tupleIblNS6_9null_typeES8_S8_S8_S8_S8_S8_S8_EEEEZNS1_11reduce_implILb1ES3_PS9_SC_S9_NS6_11hip_rocprim9__find_if7functorIS9_EEEE10hipError_tPvRmT1_T2_T3_mT4_P12ihipStream_tbEUlT_E0_NS1_11comp_targetILNS1_3genE10ELNS1_11target_archE1201ELNS1_3gpuE5ELNS1_3repE0EEENS1_30default_config_static_selectorELNS0_4arch9wavefront6targetE0EEEvSK_,comdat
	.protected	_ZN7rocprim17ROCPRIM_400000_NS6detail17trampoline_kernelINS0_14default_configENS1_22reduce_config_selectorIN6thrust23THRUST_200600_302600_NS5tupleIblNS6_9null_typeES8_S8_S8_S8_S8_S8_S8_EEEEZNS1_11reduce_implILb1ES3_PS9_SC_S9_NS6_11hip_rocprim9__find_if7functorIS9_EEEE10hipError_tPvRmT1_T2_T3_mT4_P12ihipStream_tbEUlT_E0_NS1_11comp_targetILNS1_3genE10ELNS1_11target_archE1201ELNS1_3gpuE5ELNS1_3repE0EEENS1_30default_config_static_selectorELNS0_4arch9wavefront6targetE0EEEvSK_ ; -- Begin function _ZN7rocprim17ROCPRIM_400000_NS6detail17trampoline_kernelINS0_14default_configENS1_22reduce_config_selectorIN6thrust23THRUST_200600_302600_NS5tupleIblNS6_9null_typeES8_S8_S8_S8_S8_S8_S8_EEEEZNS1_11reduce_implILb1ES3_PS9_SC_S9_NS6_11hip_rocprim9__find_if7functorIS9_EEEE10hipError_tPvRmT1_T2_T3_mT4_P12ihipStream_tbEUlT_E0_NS1_11comp_targetILNS1_3genE10ELNS1_11target_archE1201ELNS1_3gpuE5ELNS1_3repE0EEENS1_30default_config_static_selectorELNS0_4arch9wavefront6targetE0EEEvSK_
	.globl	_ZN7rocprim17ROCPRIM_400000_NS6detail17trampoline_kernelINS0_14default_configENS1_22reduce_config_selectorIN6thrust23THRUST_200600_302600_NS5tupleIblNS6_9null_typeES8_S8_S8_S8_S8_S8_S8_EEEEZNS1_11reduce_implILb1ES3_PS9_SC_S9_NS6_11hip_rocprim9__find_if7functorIS9_EEEE10hipError_tPvRmT1_T2_T3_mT4_P12ihipStream_tbEUlT_E0_NS1_11comp_targetILNS1_3genE10ELNS1_11target_archE1201ELNS1_3gpuE5ELNS1_3repE0EEENS1_30default_config_static_selectorELNS0_4arch9wavefront6targetE0EEEvSK_
	.p2align	8
	.type	_ZN7rocprim17ROCPRIM_400000_NS6detail17trampoline_kernelINS0_14default_configENS1_22reduce_config_selectorIN6thrust23THRUST_200600_302600_NS5tupleIblNS6_9null_typeES8_S8_S8_S8_S8_S8_S8_EEEEZNS1_11reduce_implILb1ES3_PS9_SC_S9_NS6_11hip_rocprim9__find_if7functorIS9_EEEE10hipError_tPvRmT1_T2_T3_mT4_P12ihipStream_tbEUlT_E0_NS1_11comp_targetILNS1_3genE10ELNS1_11target_archE1201ELNS1_3gpuE5ELNS1_3repE0EEENS1_30default_config_static_selectorELNS0_4arch9wavefront6targetE0EEEvSK_,@function
_ZN7rocprim17ROCPRIM_400000_NS6detail17trampoline_kernelINS0_14default_configENS1_22reduce_config_selectorIN6thrust23THRUST_200600_302600_NS5tupleIblNS6_9null_typeES8_S8_S8_S8_S8_S8_S8_EEEEZNS1_11reduce_implILb1ES3_PS9_SC_S9_NS6_11hip_rocprim9__find_if7functorIS9_EEEE10hipError_tPvRmT1_T2_T3_mT4_P12ihipStream_tbEUlT_E0_NS1_11comp_targetILNS1_3genE10ELNS1_11target_archE1201ELNS1_3gpuE5ELNS1_3repE0EEENS1_30default_config_static_selectorELNS0_4arch9wavefront6targetE0EEEvSK_: ; @_ZN7rocprim17ROCPRIM_400000_NS6detail17trampoline_kernelINS0_14default_configENS1_22reduce_config_selectorIN6thrust23THRUST_200600_302600_NS5tupleIblNS6_9null_typeES8_S8_S8_S8_S8_S8_S8_EEEEZNS1_11reduce_implILb1ES3_PS9_SC_S9_NS6_11hip_rocprim9__find_if7functorIS9_EEEE10hipError_tPvRmT1_T2_T3_mT4_P12ihipStream_tbEUlT_E0_NS1_11comp_targetILNS1_3genE10ELNS1_11target_archE1201ELNS1_3gpuE5ELNS1_3repE0EEENS1_30default_config_static_selectorELNS0_4arch9wavefront6targetE0EEEvSK_
; %bb.0:
	.section	.rodata,"a",@progbits
	.p2align	6, 0x0
	.amdhsa_kernel _ZN7rocprim17ROCPRIM_400000_NS6detail17trampoline_kernelINS0_14default_configENS1_22reduce_config_selectorIN6thrust23THRUST_200600_302600_NS5tupleIblNS6_9null_typeES8_S8_S8_S8_S8_S8_S8_EEEEZNS1_11reduce_implILb1ES3_PS9_SC_S9_NS6_11hip_rocprim9__find_if7functorIS9_EEEE10hipError_tPvRmT1_T2_T3_mT4_P12ihipStream_tbEUlT_E0_NS1_11comp_targetILNS1_3genE10ELNS1_11target_archE1201ELNS1_3gpuE5ELNS1_3repE0EEENS1_30default_config_static_selectorELNS0_4arch9wavefront6targetE0EEEvSK_
		.amdhsa_group_segment_fixed_size 0
		.amdhsa_private_segment_fixed_size 0
		.amdhsa_kernarg_size 72
		.amdhsa_user_sgpr_count 6
		.amdhsa_user_sgpr_private_segment_buffer 1
		.amdhsa_user_sgpr_dispatch_ptr 0
		.amdhsa_user_sgpr_queue_ptr 0
		.amdhsa_user_sgpr_kernarg_segment_ptr 1
		.amdhsa_user_sgpr_dispatch_id 0
		.amdhsa_user_sgpr_flat_scratch_init 0
		.amdhsa_user_sgpr_private_segment_size 0
		.amdhsa_wavefront_size32 1
		.amdhsa_uses_dynamic_stack 0
		.amdhsa_system_sgpr_private_segment_wavefront_offset 0
		.amdhsa_system_sgpr_workgroup_id_x 1
		.amdhsa_system_sgpr_workgroup_id_y 0
		.amdhsa_system_sgpr_workgroup_id_z 0
		.amdhsa_system_sgpr_workgroup_info 0
		.amdhsa_system_vgpr_workitem_id 0
		.amdhsa_next_free_vgpr 1
		.amdhsa_next_free_sgpr 1
		.amdhsa_reserve_vcc 0
		.amdhsa_reserve_flat_scratch 0
		.amdhsa_float_round_mode_32 0
		.amdhsa_float_round_mode_16_64 0
		.amdhsa_float_denorm_mode_32 3
		.amdhsa_float_denorm_mode_16_64 3
		.amdhsa_dx10_clamp 1
		.amdhsa_ieee_mode 1
		.amdhsa_fp16_overflow 0
		.amdhsa_workgroup_processor_mode 1
		.amdhsa_memory_ordered 1
		.amdhsa_forward_progress 1
		.amdhsa_shared_vgpr_count 0
		.amdhsa_exception_fp_ieee_invalid_op 0
		.amdhsa_exception_fp_denorm_src 0
		.amdhsa_exception_fp_ieee_div_zero 0
		.amdhsa_exception_fp_ieee_overflow 0
		.amdhsa_exception_fp_ieee_underflow 0
		.amdhsa_exception_fp_ieee_inexact 0
		.amdhsa_exception_int_div_zero 0
	.end_amdhsa_kernel
	.section	.text._ZN7rocprim17ROCPRIM_400000_NS6detail17trampoline_kernelINS0_14default_configENS1_22reduce_config_selectorIN6thrust23THRUST_200600_302600_NS5tupleIblNS6_9null_typeES8_S8_S8_S8_S8_S8_S8_EEEEZNS1_11reduce_implILb1ES3_PS9_SC_S9_NS6_11hip_rocprim9__find_if7functorIS9_EEEE10hipError_tPvRmT1_T2_T3_mT4_P12ihipStream_tbEUlT_E0_NS1_11comp_targetILNS1_3genE10ELNS1_11target_archE1201ELNS1_3gpuE5ELNS1_3repE0EEENS1_30default_config_static_selectorELNS0_4arch9wavefront6targetE0EEEvSK_,"axG",@progbits,_ZN7rocprim17ROCPRIM_400000_NS6detail17trampoline_kernelINS0_14default_configENS1_22reduce_config_selectorIN6thrust23THRUST_200600_302600_NS5tupleIblNS6_9null_typeES8_S8_S8_S8_S8_S8_S8_EEEEZNS1_11reduce_implILb1ES3_PS9_SC_S9_NS6_11hip_rocprim9__find_if7functorIS9_EEEE10hipError_tPvRmT1_T2_T3_mT4_P12ihipStream_tbEUlT_E0_NS1_11comp_targetILNS1_3genE10ELNS1_11target_archE1201ELNS1_3gpuE5ELNS1_3repE0EEENS1_30default_config_static_selectorELNS0_4arch9wavefront6targetE0EEEvSK_,comdat
.Lfunc_end24:
	.size	_ZN7rocprim17ROCPRIM_400000_NS6detail17trampoline_kernelINS0_14default_configENS1_22reduce_config_selectorIN6thrust23THRUST_200600_302600_NS5tupleIblNS6_9null_typeES8_S8_S8_S8_S8_S8_S8_EEEEZNS1_11reduce_implILb1ES3_PS9_SC_S9_NS6_11hip_rocprim9__find_if7functorIS9_EEEE10hipError_tPvRmT1_T2_T3_mT4_P12ihipStream_tbEUlT_E0_NS1_11comp_targetILNS1_3genE10ELNS1_11target_archE1201ELNS1_3gpuE5ELNS1_3repE0EEENS1_30default_config_static_selectorELNS0_4arch9wavefront6targetE0EEEvSK_, .Lfunc_end24-_ZN7rocprim17ROCPRIM_400000_NS6detail17trampoline_kernelINS0_14default_configENS1_22reduce_config_selectorIN6thrust23THRUST_200600_302600_NS5tupleIblNS6_9null_typeES8_S8_S8_S8_S8_S8_S8_EEEEZNS1_11reduce_implILb1ES3_PS9_SC_S9_NS6_11hip_rocprim9__find_if7functorIS9_EEEE10hipError_tPvRmT1_T2_T3_mT4_P12ihipStream_tbEUlT_E0_NS1_11comp_targetILNS1_3genE10ELNS1_11target_archE1201ELNS1_3gpuE5ELNS1_3repE0EEENS1_30default_config_static_selectorELNS0_4arch9wavefront6targetE0EEEvSK_
                                        ; -- End function
	.set _ZN7rocprim17ROCPRIM_400000_NS6detail17trampoline_kernelINS0_14default_configENS1_22reduce_config_selectorIN6thrust23THRUST_200600_302600_NS5tupleIblNS6_9null_typeES8_S8_S8_S8_S8_S8_S8_EEEEZNS1_11reduce_implILb1ES3_PS9_SC_S9_NS6_11hip_rocprim9__find_if7functorIS9_EEEE10hipError_tPvRmT1_T2_T3_mT4_P12ihipStream_tbEUlT_E0_NS1_11comp_targetILNS1_3genE10ELNS1_11target_archE1201ELNS1_3gpuE5ELNS1_3repE0EEENS1_30default_config_static_selectorELNS0_4arch9wavefront6targetE0EEEvSK_.num_vgpr, 0
	.set _ZN7rocprim17ROCPRIM_400000_NS6detail17trampoline_kernelINS0_14default_configENS1_22reduce_config_selectorIN6thrust23THRUST_200600_302600_NS5tupleIblNS6_9null_typeES8_S8_S8_S8_S8_S8_S8_EEEEZNS1_11reduce_implILb1ES3_PS9_SC_S9_NS6_11hip_rocprim9__find_if7functorIS9_EEEE10hipError_tPvRmT1_T2_T3_mT4_P12ihipStream_tbEUlT_E0_NS1_11comp_targetILNS1_3genE10ELNS1_11target_archE1201ELNS1_3gpuE5ELNS1_3repE0EEENS1_30default_config_static_selectorELNS0_4arch9wavefront6targetE0EEEvSK_.num_agpr, 0
	.set _ZN7rocprim17ROCPRIM_400000_NS6detail17trampoline_kernelINS0_14default_configENS1_22reduce_config_selectorIN6thrust23THRUST_200600_302600_NS5tupleIblNS6_9null_typeES8_S8_S8_S8_S8_S8_S8_EEEEZNS1_11reduce_implILb1ES3_PS9_SC_S9_NS6_11hip_rocprim9__find_if7functorIS9_EEEE10hipError_tPvRmT1_T2_T3_mT4_P12ihipStream_tbEUlT_E0_NS1_11comp_targetILNS1_3genE10ELNS1_11target_archE1201ELNS1_3gpuE5ELNS1_3repE0EEENS1_30default_config_static_selectorELNS0_4arch9wavefront6targetE0EEEvSK_.numbered_sgpr, 0
	.set _ZN7rocprim17ROCPRIM_400000_NS6detail17trampoline_kernelINS0_14default_configENS1_22reduce_config_selectorIN6thrust23THRUST_200600_302600_NS5tupleIblNS6_9null_typeES8_S8_S8_S8_S8_S8_S8_EEEEZNS1_11reduce_implILb1ES3_PS9_SC_S9_NS6_11hip_rocprim9__find_if7functorIS9_EEEE10hipError_tPvRmT1_T2_T3_mT4_P12ihipStream_tbEUlT_E0_NS1_11comp_targetILNS1_3genE10ELNS1_11target_archE1201ELNS1_3gpuE5ELNS1_3repE0EEENS1_30default_config_static_selectorELNS0_4arch9wavefront6targetE0EEEvSK_.num_named_barrier, 0
	.set _ZN7rocprim17ROCPRIM_400000_NS6detail17trampoline_kernelINS0_14default_configENS1_22reduce_config_selectorIN6thrust23THRUST_200600_302600_NS5tupleIblNS6_9null_typeES8_S8_S8_S8_S8_S8_S8_EEEEZNS1_11reduce_implILb1ES3_PS9_SC_S9_NS6_11hip_rocprim9__find_if7functorIS9_EEEE10hipError_tPvRmT1_T2_T3_mT4_P12ihipStream_tbEUlT_E0_NS1_11comp_targetILNS1_3genE10ELNS1_11target_archE1201ELNS1_3gpuE5ELNS1_3repE0EEENS1_30default_config_static_selectorELNS0_4arch9wavefront6targetE0EEEvSK_.private_seg_size, 0
	.set _ZN7rocprim17ROCPRIM_400000_NS6detail17trampoline_kernelINS0_14default_configENS1_22reduce_config_selectorIN6thrust23THRUST_200600_302600_NS5tupleIblNS6_9null_typeES8_S8_S8_S8_S8_S8_S8_EEEEZNS1_11reduce_implILb1ES3_PS9_SC_S9_NS6_11hip_rocprim9__find_if7functorIS9_EEEE10hipError_tPvRmT1_T2_T3_mT4_P12ihipStream_tbEUlT_E0_NS1_11comp_targetILNS1_3genE10ELNS1_11target_archE1201ELNS1_3gpuE5ELNS1_3repE0EEENS1_30default_config_static_selectorELNS0_4arch9wavefront6targetE0EEEvSK_.uses_vcc, 0
	.set _ZN7rocprim17ROCPRIM_400000_NS6detail17trampoline_kernelINS0_14default_configENS1_22reduce_config_selectorIN6thrust23THRUST_200600_302600_NS5tupleIblNS6_9null_typeES8_S8_S8_S8_S8_S8_S8_EEEEZNS1_11reduce_implILb1ES3_PS9_SC_S9_NS6_11hip_rocprim9__find_if7functorIS9_EEEE10hipError_tPvRmT1_T2_T3_mT4_P12ihipStream_tbEUlT_E0_NS1_11comp_targetILNS1_3genE10ELNS1_11target_archE1201ELNS1_3gpuE5ELNS1_3repE0EEENS1_30default_config_static_selectorELNS0_4arch9wavefront6targetE0EEEvSK_.uses_flat_scratch, 0
	.set _ZN7rocprim17ROCPRIM_400000_NS6detail17trampoline_kernelINS0_14default_configENS1_22reduce_config_selectorIN6thrust23THRUST_200600_302600_NS5tupleIblNS6_9null_typeES8_S8_S8_S8_S8_S8_S8_EEEEZNS1_11reduce_implILb1ES3_PS9_SC_S9_NS6_11hip_rocprim9__find_if7functorIS9_EEEE10hipError_tPvRmT1_T2_T3_mT4_P12ihipStream_tbEUlT_E0_NS1_11comp_targetILNS1_3genE10ELNS1_11target_archE1201ELNS1_3gpuE5ELNS1_3repE0EEENS1_30default_config_static_selectorELNS0_4arch9wavefront6targetE0EEEvSK_.has_dyn_sized_stack, 0
	.set _ZN7rocprim17ROCPRIM_400000_NS6detail17trampoline_kernelINS0_14default_configENS1_22reduce_config_selectorIN6thrust23THRUST_200600_302600_NS5tupleIblNS6_9null_typeES8_S8_S8_S8_S8_S8_S8_EEEEZNS1_11reduce_implILb1ES3_PS9_SC_S9_NS6_11hip_rocprim9__find_if7functorIS9_EEEE10hipError_tPvRmT1_T2_T3_mT4_P12ihipStream_tbEUlT_E0_NS1_11comp_targetILNS1_3genE10ELNS1_11target_archE1201ELNS1_3gpuE5ELNS1_3repE0EEENS1_30default_config_static_selectorELNS0_4arch9wavefront6targetE0EEEvSK_.has_recursion, 0
	.set _ZN7rocprim17ROCPRIM_400000_NS6detail17trampoline_kernelINS0_14default_configENS1_22reduce_config_selectorIN6thrust23THRUST_200600_302600_NS5tupleIblNS6_9null_typeES8_S8_S8_S8_S8_S8_S8_EEEEZNS1_11reduce_implILb1ES3_PS9_SC_S9_NS6_11hip_rocprim9__find_if7functorIS9_EEEE10hipError_tPvRmT1_T2_T3_mT4_P12ihipStream_tbEUlT_E0_NS1_11comp_targetILNS1_3genE10ELNS1_11target_archE1201ELNS1_3gpuE5ELNS1_3repE0EEENS1_30default_config_static_selectorELNS0_4arch9wavefront6targetE0EEEvSK_.has_indirect_call, 0
	.section	.AMDGPU.csdata,"",@progbits
; Kernel info:
; codeLenInByte = 0
; TotalNumSgprs: 0
; NumVgprs: 0
; ScratchSize: 0
; MemoryBound: 0
; FloatMode: 240
; IeeeMode: 1
; LDSByteSize: 0 bytes/workgroup (compile time only)
; SGPRBlocks: 0
; VGPRBlocks: 0
; NumSGPRsForWavesPerEU: 1
; NumVGPRsForWavesPerEU: 1
; Occupancy: 16
; WaveLimiterHint : 0
; COMPUTE_PGM_RSRC2:SCRATCH_EN: 0
; COMPUTE_PGM_RSRC2:USER_SGPR: 6
; COMPUTE_PGM_RSRC2:TRAP_HANDLER: 0
; COMPUTE_PGM_RSRC2:TGID_X_EN: 1
; COMPUTE_PGM_RSRC2:TGID_Y_EN: 0
; COMPUTE_PGM_RSRC2:TGID_Z_EN: 0
; COMPUTE_PGM_RSRC2:TIDIG_COMP_CNT: 0
	.section	.text._ZN7rocprim17ROCPRIM_400000_NS6detail17trampoline_kernelINS0_14default_configENS1_22reduce_config_selectorIN6thrust23THRUST_200600_302600_NS5tupleIblNS6_9null_typeES8_S8_S8_S8_S8_S8_S8_EEEEZNS1_11reduce_implILb1ES3_PS9_SC_S9_NS6_11hip_rocprim9__find_if7functorIS9_EEEE10hipError_tPvRmT1_T2_T3_mT4_P12ihipStream_tbEUlT_E0_NS1_11comp_targetILNS1_3genE10ELNS1_11target_archE1200ELNS1_3gpuE4ELNS1_3repE0EEENS1_30default_config_static_selectorELNS0_4arch9wavefront6targetE0EEEvSK_,"axG",@progbits,_ZN7rocprim17ROCPRIM_400000_NS6detail17trampoline_kernelINS0_14default_configENS1_22reduce_config_selectorIN6thrust23THRUST_200600_302600_NS5tupleIblNS6_9null_typeES8_S8_S8_S8_S8_S8_S8_EEEEZNS1_11reduce_implILb1ES3_PS9_SC_S9_NS6_11hip_rocprim9__find_if7functorIS9_EEEE10hipError_tPvRmT1_T2_T3_mT4_P12ihipStream_tbEUlT_E0_NS1_11comp_targetILNS1_3genE10ELNS1_11target_archE1200ELNS1_3gpuE4ELNS1_3repE0EEENS1_30default_config_static_selectorELNS0_4arch9wavefront6targetE0EEEvSK_,comdat
	.protected	_ZN7rocprim17ROCPRIM_400000_NS6detail17trampoline_kernelINS0_14default_configENS1_22reduce_config_selectorIN6thrust23THRUST_200600_302600_NS5tupleIblNS6_9null_typeES8_S8_S8_S8_S8_S8_S8_EEEEZNS1_11reduce_implILb1ES3_PS9_SC_S9_NS6_11hip_rocprim9__find_if7functorIS9_EEEE10hipError_tPvRmT1_T2_T3_mT4_P12ihipStream_tbEUlT_E0_NS1_11comp_targetILNS1_3genE10ELNS1_11target_archE1200ELNS1_3gpuE4ELNS1_3repE0EEENS1_30default_config_static_selectorELNS0_4arch9wavefront6targetE0EEEvSK_ ; -- Begin function _ZN7rocprim17ROCPRIM_400000_NS6detail17trampoline_kernelINS0_14default_configENS1_22reduce_config_selectorIN6thrust23THRUST_200600_302600_NS5tupleIblNS6_9null_typeES8_S8_S8_S8_S8_S8_S8_EEEEZNS1_11reduce_implILb1ES3_PS9_SC_S9_NS6_11hip_rocprim9__find_if7functorIS9_EEEE10hipError_tPvRmT1_T2_T3_mT4_P12ihipStream_tbEUlT_E0_NS1_11comp_targetILNS1_3genE10ELNS1_11target_archE1200ELNS1_3gpuE4ELNS1_3repE0EEENS1_30default_config_static_selectorELNS0_4arch9wavefront6targetE0EEEvSK_
	.globl	_ZN7rocprim17ROCPRIM_400000_NS6detail17trampoline_kernelINS0_14default_configENS1_22reduce_config_selectorIN6thrust23THRUST_200600_302600_NS5tupleIblNS6_9null_typeES8_S8_S8_S8_S8_S8_S8_EEEEZNS1_11reduce_implILb1ES3_PS9_SC_S9_NS6_11hip_rocprim9__find_if7functorIS9_EEEE10hipError_tPvRmT1_T2_T3_mT4_P12ihipStream_tbEUlT_E0_NS1_11comp_targetILNS1_3genE10ELNS1_11target_archE1200ELNS1_3gpuE4ELNS1_3repE0EEENS1_30default_config_static_selectorELNS0_4arch9wavefront6targetE0EEEvSK_
	.p2align	8
	.type	_ZN7rocprim17ROCPRIM_400000_NS6detail17trampoline_kernelINS0_14default_configENS1_22reduce_config_selectorIN6thrust23THRUST_200600_302600_NS5tupleIblNS6_9null_typeES8_S8_S8_S8_S8_S8_S8_EEEEZNS1_11reduce_implILb1ES3_PS9_SC_S9_NS6_11hip_rocprim9__find_if7functorIS9_EEEE10hipError_tPvRmT1_T2_T3_mT4_P12ihipStream_tbEUlT_E0_NS1_11comp_targetILNS1_3genE10ELNS1_11target_archE1200ELNS1_3gpuE4ELNS1_3repE0EEENS1_30default_config_static_selectorELNS0_4arch9wavefront6targetE0EEEvSK_,@function
_ZN7rocprim17ROCPRIM_400000_NS6detail17trampoline_kernelINS0_14default_configENS1_22reduce_config_selectorIN6thrust23THRUST_200600_302600_NS5tupleIblNS6_9null_typeES8_S8_S8_S8_S8_S8_S8_EEEEZNS1_11reduce_implILb1ES3_PS9_SC_S9_NS6_11hip_rocprim9__find_if7functorIS9_EEEE10hipError_tPvRmT1_T2_T3_mT4_P12ihipStream_tbEUlT_E0_NS1_11comp_targetILNS1_3genE10ELNS1_11target_archE1200ELNS1_3gpuE4ELNS1_3repE0EEENS1_30default_config_static_selectorELNS0_4arch9wavefront6targetE0EEEvSK_: ; @_ZN7rocprim17ROCPRIM_400000_NS6detail17trampoline_kernelINS0_14default_configENS1_22reduce_config_selectorIN6thrust23THRUST_200600_302600_NS5tupleIblNS6_9null_typeES8_S8_S8_S8_S8_S8_S8_EEEEZNS1_11reduce_implILb1ES3_PS9_SC_S9_NS6_11hip_rocprim9__find_if7functorIS9_EEEE10hipError_tPvRmT1_T2_T3_mT4_P12ihipStream_tbEUlT_E0_NS1_11comp_targetILNS1_3genE10ELNS1_11target_archE1200ELNS1_3gpuE4ELNS1_3repE0EEENS1_30default_config_static_selectorELNS0_4arch9wavefront6targetE0EEEvSK_
; %bb.0:
	.section	.rodata,"a",@progbits
	.p2align	6, 0x0
	.amdhsa_kernel _ZN7rocprim17ROCPRIM_400000_NS6detail17trampoline_kernelINS0_14default_configENS1_22reduce_config_selectorIN6thrust23THRUST_200600_302600_NS5tupleIblNS6_9null_typeES8_S8_S8_S8_S8_S8_S8_EEEEZNS1_11reduce_implILb1ES3_PS9_SC_S9_NS6_11hip_rocprim9__find_if7functorIS9_EEEE10hipError_tPvRmT1_T2_T3_mT4_P12ihipStream_tbEUlT_E0_NS1_11comp_targetILNS1_3genE10ELNS1_11target_archE1200ELNS1_3gpuE4ELNS1_3repE0EEENS1_30default_config_static_selectorELNS0_4arch9wavefront6targetE0EEEvSK_
		.amdhsa_group_segment_fixed_size 0
		.amdhsa_private_segment_fixed_size 0
		.amdhsa_kernarg_size 72
		.amdhsa_user_sgpr_count 6
		.amdhsa_user_sgpr_private_segment_buffer 1
		.amdhsa_user_sgpr_dispatch_ptr 0
		.amdhsa_user_sgpr_queue_ptr 0
		.amdhsa_user_sgpr_kernarg_segment_ptr 1
		.amdhsa_user_sgpr_dispatch_id 0
		.amdhsa_user_sgpr_flat_scratch_init 0
		.amdhsa_user_sgpr_private_segment_size 0
		.amdhsa_wavefront_size32 1
		.amdhsa_uses_dynamic_stack 0
		.amdhsa_system_sgpr_private_segment_wavefront_offset 0
		.amdhsa_system_sgpr_workgroup_id_x 1
		.amdhsa_system_sgpr_workgroup_id_y 0
		.amdhsa_system_sgpr_workgroup_id_z 0
		.amdhsa_system_sgpr_workgroup_info 0
		.amdhsa_system_vgpr_workitem_id 0
		.amdhsa_next_free_vgpr 1
		.amdhsa_next_free_sgpr 1
		.amdhsa_reserve_vcc 0
		.amdhsa_reserve_flat_scratch 0
		.amdhsa_float_round_mode_32 0
		.amdhsa_float_round_mode_16_64 0
		.amdhsa_float_denorm_mode_32 3
		.amdhsa_float_denorm_mode_16_64 3
		.amdhsa_dx10_clamp 1
		.amdhsa_ieee_mode 1
		.amdhsa_fp16_overflow 0
		.amdhsa_workgroup_processor_mode 1
		.amdhsa_memory_ordered 1
		.amdhsa_forward_progress 1
		.amdhsa_shared_vgpr_count 0
		.amdhsa_exception_fp_ieee_invalid_op 0
		.amdhsa_exception_fp_denorm_src 0
		.amdhsa_exception_fp_ieee_div_zero 0
		.amdhsa_exception_fp_ieee_overflow 0
		.amdhsa_exception_fp_ieee_underflow 0
		.amdhsa_exception_fp_ieee_inexact 0
		.amdhsa_exception_int_div_zero 0
	.end_amdhsa_kernel
	.section	.text._ZN7rocprim17ROCPRIM_400000_NS6detail17trampoline_kernelINS0_14default_configENS1_22reduce_config_selectorIN6thrust23THRUST_200600_302600_NS5tupleIblNS6_9null_typeES8_S8_S8_S8_S8_S8_S8_EEEEZNS1_11reduce_implILb1ES3_PS9_SC_S9_NS6_11hip_rocprim9__find_if7functorIS9_EEEE10hipError_tPvRmT1_T2_T3_mT4_P12ihipStream_tbEUlT_E0_NS1_11comp_targetILNS1_3genE10ELNS1_11target_archE1200ELNS1_3gpuE4ELNS1_3repE0EEENS1_30default_config_static_selectorELNS0_4arch9wavefront6targetE0EEEvSK_,"axG",@progbits,_ZN7rocprim17ROCPRIM_400000_NS6detail17trampoline_kernelINS0_14default_configENS1_22reduce_config_selectorIN6thrust23THRUST_200600_302600_NS5tupleIblNS6_9null_typeES8_S8_S8_S8_S8_S8_S8_EEEEZNS1_11reduce_implILb1ES3_PS9_SC_S9_NS6_11hip_rocprim9__find_if7functorIS9_EEEE10hipError_tPvRmT1_T2_T3_mT4_P12ihipStream_tbEUlT_E0_NS1_11comp_targetILNS1_3genE10ELNS1_11target_archE1200ELNS1_3gpuE4ELNS1_3repE0EEENS1_30default_config_static_selectorELNS0_4arch9wavefront6targetE0EEEvSK_,comdat
.Lfunc_end25:
	.size	_ZN7rocprim17ROCPRIM_400000_NS6detail17trampoline_kernelINS0_14default_configENS1_22reduce_config_selectorIN6thrust23THRUST_200600_302600_NS5tupleIblNS6_9null_typeES8_S8_S8_S8_S8_S8_S8_EEEEZNS1_11reduce_implILb1ES3_PS9_SC_S9_NS6_11hip_rocprim9__find_if7functorIS9_EEEE10hipError_tPvRmT1_T2_T3_mT4_P12ihipStream_tbEUlT_E0_NS1_11comp_targetILNS1_3genE10ELNS1_11target_archE1200ELNS1_3gpuE4ELNS1_3repE0EEENS1_30default_config_static_selectorELNS0_4arch9wavefront6targetE0EEEvSK_, .Lfunc_end25-_ZN7rocprim17ROCPRIM_400000_NS6detail17trampoline_kernelINS0_14default_configENS1_22reduce_config_selectorIN6thrust23THRUST_200600_302600_NS5tupleIblNS6_9null_typeES8_S8_S8_S8_S8_S8_S8_EEEEZNS1_11reduce_implILb1ES3_PS9_SC_S9_NS6_11hip_rocprim9__find_if7functorIS9_EEEE10hipError_tPvRmT1_T2_T3_mT4_P12ihipStream_tbEUlT_E0_NS1_11comp_targetILNS1_3genE10ELNS1_11target_archE1200ELNS1_3gpuE4ELNS1_3repE0EEENS1_30default_config_static_selectorELNS0_4arch9wavefront6targetE0EEEvSK_
                                        ; -- End function
	.set _ZN7rocprim17ROCPRIM_400000_NS6detail17trampoline_kernelINS0_14default_configENS1_22reduce_config_selectorIN6thrust23THRUST_200600_302600_NS5tupleIblNS6_9null_typeES8_S8_S8_S8_S8_S8_S8_EEEEZNS1_11reduce_implILb1ES3_PS9_SC_S9_NS6_11hip_rocprim9__find_if7functorIS9_EEEE10hipError_tPvRmT1_T2_T3_mT4_P12ihipStream_tbEUlT_E0_NS1_11comp_targetILNS1_3genE10ELNS1_11target_archE1200ELNS1_3gpuE4ELNS1_3repE0EEENS1_30default_config_static_selectorELNS0_4arch9wavefront6targetE0EEEvSK_.num_vgpr, 0
	.set _ZN7rocprim17ROCPRIM_400000_NS6detail17trampoline_kernelINS0_14default_configENS1_22reduce_config_selectorIN6thrust23THRUST_200600_302600_NS5tupleIblNS6_9null_typeES8_S8_S8_S8_S8_S8_S8_EEEEZNS1_11reduce_implILb1ES3_PS9_SC_S9_NS6_11hip_rocprim9__find_if7functorIS9_EEEE10hipError_tPvRmT1_T2_T3_mT4_P12ihipStream_tbEUlT_E0_NS1_11comp_targetILNS1_3genE10ELNS1_11target_archE1200ELNS1_3gpuE4ELNS1_3repE0EEENS1_30default_config_static_selectorELNS0_4arch9wavefront6targetE0EEEvSK_.num_agpr, 0
	.set _ZN7rocprim17ROCPRIM_400000_NS6detail17trampoline_kernelINS0_14default_configENS1_22reduce_config_selectorIN6thrust23THRUST_200600_302600_NS5tupleIblNS6_9null_typeES8_S8_S8_S8_S8_S8_S8_EEEEZNS1_11reduce_implILb1ES3_PS9_SC_S9_NS6_11hip_rocprim9__find_if7functorIS9_EEEE10hipError_tPvRmT1_T2_T3_mT4_P12ihipStream_tbEUlT_E0_NS1_11comp_targetILNS1_3genE10ELNS1_11target_archE1200ELNS1_3gpuE4ELNS1_3repE0EEENS1_30default_config_static_selectorELNS0_4arch9wavefront6targetE0EEEvSK_.numbered_sgpr, 0
	.set _ZN7rocprim17ROCPRIM_400000_NS6detail17trampoline_kernelINS0_14default_configENS1_22reduce_config_selectorIN6thrust23THRUST_200600_302600_NS5tupleIblNS6_9null_typeES8_S8_S8_S8_S8_S8_S8_EEEEZNS1_11reduce_implILb1ES3_PS9_SC_S9_NS6_11hip_rocprim9__find_if7functorIS9_EEEE10hipError_tPvRmT1_T2_T3_mT4_P12ihipStream_tbEUlT_E0_NS1_11comp_targetILNS1_3genE10ELNS1_11target_archE1200ELNS1_3gpuE4ELNS1_3repE0EEENS1_30default_config_static_selectorELNS0_4arch9wavefront6targetE0EEEvSK_.num_named_barrier, 0
	.set _ZN7rocprim17ROCPRIM_400000_NS6detail17trampoline_kernelINS0_14default_configENS1_22reduce_config_selectorIN6thrust23THRUST_200600_302600_NS5tupleIblNS6_9null_typeES8_S8_S8_S8_S8_S8_S8_EEEEZNS1_11reduce_implILb1ES3_PS9_SC_S9_NS6_11hip_rocprim9__find_if7functorIS9_EEEE10hipError_tPvRmT1_T2_T3_mT4_P12ihipStream_tbEUlT_E0_NS1_11comp_targetILNS1_3genE10ELNS1_11target_archE1200ELNS1_3gpuE4ELNS1_3repE0EEENS1_30default_config_static_selectorELNS0_4arch9wavefront6targetE0EEEvSK_.private_seg_size, 0
	.set _ZN7rocprim17ROCPRIM_400000_NS6detail17trampoline_kernelINS0_14default_configENS1_22reduce_config_selectorIN6thrust23THRUST_200600_302600_NS5tupleIblNS6_9null_typeES8_S8_S8_S8_S8_S8_S8_EEEEZNS1_11reduce_implILb1ES3_PS9_SC_S9_NS6_11hip_rocprim9__find_if7functorIS9_EEEE10hipError_tPvRmT1_T2_T3_mT4_P12ihipStream_tbEUlT_E0_NS1_11comp_targetILNS1_3genE10ELNS1_11target_archE1200ELNS1_3gpuE4ELNS1_3repE0EEENS1_30default_config_static_selectorELNS0_4arch9wavefront6targetE0EEEvSK_.uses_vcc, 0
	.set _ZN7rocprim17ROCPRIM_400000_NS6detail17trampoline_kernelINS0_14default_configENS1_22reduce_config_selectorIN6thrust23THRUST_200600_302600_NS5tupleIblNS6_9null_typeES8_S8_S8_S8_S8_S8_S8_EEEEZNS1_11reduce_implILb1ES3_PS9_SC_S9_NS6_11hip_rocprim9__find_if7functorIS9_EEEE10hipError_tPvRmT1_T2_T3_mT4_P12ihipStream_tbEUlT_E0_NS1_11comp_targetILNS1_3genE10ELNS1_11target_archE1200ELNS1_3gpuE4ELNS1_3repE0EEENS1_30default_config_static_selectorELNS0_4arch9wavefront6targetE0EEEvSK_.uses_flat_scratch, 0
	.set _ZN7rocprim17ROCPRIM_400000_NS6detail17trampoline_kernelINS0_14default_configENS1_22reduce_config_selectorIN6thrust23THRUST_200600_302600_NS5tupleIblNS6_9null_typeES8_S8_S8_S8_S8_S8_S8_EEEEZNS1_11reduce_implILb1ES3_PS9_SC_S9_NS6_11hip_rocprim9__find_if7functorIS9_EEEE10hipError_tPvRmT1_T2_T3_mT4_P12ihipStream_tbEUlT_E0_NS1_11comp_targetILNS1_3genE10ELNS1_11target_archE1200ELNS1_3gpuE4ELNS1_3repE0EEENS1_30default_config_static_selectorELNS0_4arch9wavefront6targetE0EEEvSK_.has_dyn_sized_stack, 0
	.set _ZN7rocprim17ROCPRIM_400000_NS6detail17trampoline_kernelINS0_14default_configENS1_22reduce_config_selectorIN6thrust23THRUST_200600_302600_NS5tupleIblNS6_9null_typeES8_S8_S8_S8_S8_S8_S8_EEEEZNS1_11reduce_implILb1ES3_PS9_SC_S9_NS6_11hip_rocprim9__find_if7functorIS9_EEEE10hipError_tPvRmT1_T2_T3_mT4_P12ihipStream_tbEUlT_E0_NS1_11comp_targetILNS1_3genE10ELNS1_11target_archE1200ELNS1_3gpuE4ELNS1_3repE0EEENS1_30default_config_static_selectorELNS0_4arch9wavefront6targetE0EEEvSK_.has_recursion, 0
	.set _ZN7rocprim17ROCPRIM_400000_NS6detail17trampoline_kernelINS0_14default_configENS1_22reduce_config_selectorIN6thrust23THRUST_200600_302600_NS5tupleIblNS6_9null_typeES8_S8_S8_S8_S8_S8_S8_EEEEZNS1_11reduce_implILb1ES3_PS9_SC_S9_NS6_11hip_rocprim9__find_if7functorIS9_EEEE10hipError_tPvRmT1_T2_T3_mT4_P12ihipStream_tbEUlT_E0_NS1_11comp_targetILNS1_3genE10ELNS1_11target_archE1200ELNS1_3gpuE4ELNS1_3repE0EEENS1_30default_config_static_selectorELNS0_4arch9wavefront6targetE0EEEvSK_.has_indirect_call, 0
	.section	.AMDGPU.csdata,"",@progbits
; Kernel info:
; codeLenInByte = 0
; TotalNumSgprs: 0
; NumVgprs: 0
; ScratchSize: 0
; MemoryBound: 0
; FloatMode: 240
; IeeeMode: 1
; LDSByteSize: 0 bytes/workgroup (compile time only)
; SGPRBlocks: 0
; VGPRBlocks: 0
; NumSGPRsForWavesPerEU: 1
; NumVGPRsForWavesPerEU: 1
; Occupancy: 16
; WaveLimiterHint : 0
; COMPUTE_PGM_RSRC2:SCRATCH_EN: 0
; COMPUTE_PGM_RSRC2:USER_SGPR: 6
; COMPUTE_PGM_RSRC2:TRAP_HANDLER: 0
; COMPUTE_PGM_RSRC2:TGID_X_EN: 1
; COMPUTE_PGM_RSRC2:TGID_Y_EN: 0
; COMPUTE_PGM_RSRC2:TGID_Z_EN: 0
; COMPUTE_PGM_RSRC2:TIDIG_COMP_CNT: 0
	.section	.text._ZN7rocprim17ROCPRIM_400000_NS6detail17trampoline_kernelINS0_14default_configENS1_22reduce_config_selectorIN6thrust23THRUST_200600_302600_NS5tupleIblNS6_9null_typeES8_S8_S8_S8_S8_S8_S8_EEEEZNS1_11reduce_implILb1ES3_PS9_SC_S9_NS6_11hip_rocprim9__find_if7functorIS9_EEEE10hipError_tPvRmT1_T2_T3_mT4_P12ihipStream_tbEUlT_E0_NS1_11comp_targetILNS1_3genE9ELNS1_11target_archE1100ELNS1_3gpuE3ELNS1_3repE0EEENS1_30default_config_static_selectorELNS0_4arch9wavefront6targetE0EEEvSK_,"axG",@progbits,_ZN7rocprim17ROCPRIM_400000_NS6detail17trampoline_kernelINS0_14default_configENS1_22reduce_config_selectorIN6thrust23THRUST_200600_302600_NS5tupleIblNS6_9null_typeES8_S8_S8_S8_S8_S8_S8_EEEEZNS1_11reduce_implILb1ES3_PS9_SC_S9_NS6_11hip_rocprim9__find_if7functorIS9_EEEE10hipError_tPvRmT1_T2_T3_mT4_P12ihipStream_tbEUlT_E0_NS1_11comp_targetILNS1_3genE9ELNS1_11target_archE1100ELNS1_3gpuE3ELNS1_3repE0EEENS1_30default_config_static_selectorELNS0_4arch9wavefront6targetE0EEEvSK_,comdat
	.protected	_ZN7rocprim17ROCPRIM_400000_NS6detail17trampoline_kernelINS0_14default_configENS1_22reduce_config_selectorIN6thrust23THRUST_200600_302600_NS5tupleIblNS6_9null_typeES8_S8_S8_S8_S8_S8_S8_EEEEZNS1_11reduce_implILb1ES3_PS9_SC_S9_NS6_11hip_rocprim9__find_if7functorIS9_EEEE10hipError_tPvRmT1_T2_T3_mT4_P12ihipStream_tbEUlT_E0_NS1_11comp_targetILNS1_3genE9ELNS1_11target_archE1100ELNS1_3gpuE3ELNS1_3repE0EEENS1_30default_config_static_selectorELNS0_4arch9wavefront6targetE0EEEvSK_ ; -- Begin function _ZN7rocprim17ROCPRIM_400000_NS6detail17trampoline_kernelINS0_14default_configENS1_22reduce_config_selectorIN6thrust23THRUST_200600_302600_NS5tupleIblNS6_9null_typeES8_S8_S8_S8_S8_S8_S8_EEEEZNS1_11reduce_implILb1ES3_PS9_SC_S9_NS6_11hip_rocprim9__find_if7functorIS9_EEEE10hipError_tPvRmT1_T2_T3_mT4_P12ihipStream_tbEUlT_E0_NS1_11comp_targetILNS1_3genE9ELNS1_11target_archE1100ELNS1_3gpuE3ELNS1_3repE0EEENS1_30default_config_static_selectorELNS0_4arch9wavefront6targetE0EEEvSK_
	.globl	_ZN7rocprim17ROCPRIM_400000_NS6detail17trampoline_kernelINS0_14default_configENS1_22reduce_config_selectorIN6thrust23THRUST_200600_302600_NS5tupleIblNS6_9null_typeES8_S8_S8_S8_S8_S8_S8_EEEEZNS1_11reduce_implILb1ES3_PS9_SC_S9_NS6_11hip_rocprim9__find_if7functorIS9_EEEE10hipError_tPvRmT1_T2_T3_mT4_P12ihipStream_tbEUlT_E0_NS1_11comp_targetILNS1_3genE9ELNS1_11target_archE1100ELNS1_3gpuE3ELNS1_3repE0EEENS1_30default_config_static_selectorELNS0_4arch9wavefront6targetE0EEEvSK_
	.p2align	8
	.type	_ZN7rocprim17ROCPRIM_400000_NS6detail17trampoline_kernelINS0_14default_configENS1_22reduce_config_selectorIN6thrust23THRUST_200600_302600_NS5tupleIblNS6_9null_typeES8_S8_S8_S8_S8_S8_S8_EEEEZNS1_11reduce_implILb1ES3_PS9_SC_S9_NS6_11hip_rocprim9__find_if7functorIS9_EEEE10hipError_tPvRmT1_T2_T3_mT4_P12ihipStream_tbEUlT_E0_NS1_11comp_targetILNS1_3genE9ELNS1_11target_archE1100ELNS1_3gpuE3ELNS1_3repE0EEENS1_30default_config_static_selectorELNS0_4arch9wavefront6targetE0EEEvSK_,@function
_ZN7rocprim17ROCPRIM_400000_NS6detail17trampoline_kernelINS0_14default_configENS1_22reduce_config_selectorIN6thrust23THRUST_200600_302600_NS5tupleIblNS6_9null_typeES8_S8_S8_S8_S8_S8_S8_EEEEZNS1_11reduce_implILb1ES3_PS9_SC_S9_NS6_11hip_rocprim9__find_if7functorIS9_EEEE10hipError_tPvRmT1_T2_T3_mT4_P12ihipStream_tbEUlT_E0_NS1_11comp_targetILNS1_3genE9ELNS1_11target_archE1100ELNS1_3gpuE3ELNS1_3repE0EEENS1_30default_config_static_selectorELNS0_4arch9wavefront6targetE0EEEvSK_: ; @_ZN7rocprim17ROCPRIM_400000_NS6detail17trampoline_kernelINS0_14default_configENS1_22reduce_config_selectorIN6thrust23THRUST_200600_302600_NS5tupleIblNS6_9null_typeES8_S8_S8_S8_S8_S8_S8_EEEEZNS1_11reduce_implILb1ES3_PS9_SC_S9_NS6_11hip_rocprim9__find_if7functorIS9_EEEE10hipError_tPvRmT1_T2_T3_mT4_P12ihipStream_tbEUlT_E0_NS1_11comp_targetILNS1_3genE9ELNS1_11target_archE1100ELNS1_3gpuE3ELNS1_3repE0EEENS1_30default_config_static_selectorELNS0_4arch9wavefront6targetE0EEEvSK_
; %bb.0:
	.section	.rodata,"a",@progbits
	.p2align	6, 0x0
	.amdhsa_kernel _ZN7rocprim17ROCPRIM_400000_NS6detail17trampoline_kernelINS0_14default_configENS1_22reduce_config_selectorIN6thrust23THRUST_200600_302600_NS5tupleIblNS6_9null_typeES8_S8_S8_S8_S8_S8_S8_EEEEZNS1_11reduce_implILb1ES3_PS9_SC_S9_NS6_11hip_rocprim9__find_if7functorIS9_EEEE10hipError_tPvRmT1_T2_T3_mT4_P12ihipStream_tbEUlT_E0_NS1_11comp_targetILNS1_3genE9ELNS1_11target_archE1100ELNS1_3gpuE3ELNS1_3repE0EEENS1_30default_config_static_selectorELNS0_4arch9wavefront6targetE0EEEvSK_
		.amdhsa_group_segment_fixed_size 0
		.amdhsa_private_segment_fixed_size 0
		.amdhsa_kernarg_size 72
		.amdhsa_user_sgpr_count 6
		.amdhsa_user_sgpr_private_segment_buffer 1
		.amdhsa_user_sgpr_dispatch_ptr 0
		.amdhsa_user_sgpr_queue_ptr 0
		.amdhsa_user_sgpr_kernarg_segment_ptr 1
		.amdhsa_user_sgpr_dispatch_id 0
		.amdhsa_user_sgpr_flat_scratch_init 0
		.amdhsa_user_sgpr_private_segment_size 0
		.amdhsa_wavefront_size32 1
		.amdhsa_uses_dynamic_stack 0
		.amdhsa_system_sgpr_private_segment_wavefront_offset 0
		.amdhsa_system_sgpr_workgroup_id_x 1
		.amdhsa_system_sgpr_workgroup_id_y 0
		.amdhsa_system_sgpr_workgroup_id_z 0
		.amdhsa_system_sgpr_workgroup_info 0
		.amdhsa_system_vgpr_workitem_id 0
		.amdhsa_next_free_vgpr 1
		.amdhsa_next_free_sgpr 1
		.amdhsa_reserve_vcc 0
		.amdhsa_reserve_flat_scratch 0
		.amdhsa_float_round_mode_32 0
		.amdhsa_float_round_mode_16_64 0
		.amdhsa_float_denorm_mode_32 3
		.amdhsa_float_denorm_mode_16_64 3
		.amdhsa_dx10_clamp 1
		.amdhsa_ieee_mode 1
		.amdhsa_fp16_overflow 0
		.amdhsa_workgroup_processor_mode 1
		.amdhsa_memory_ordered 1
		.amdhsa_forward_progress 1
		.amdhsa_shared_vgpr_count 0
		.amdhsa_exception_fp_ieee_invalid_op 0
		.amdhsa_exception_fp_denorm_src 0
		.amdhsa_exception_fp_ieee_div_zero 0
		.amdhsa_exception_fp_ieee_overflow 0
		.amdhsa_exception_fp_ieee_underflow 0
		.amdhsa_exception_fp_ieee_inexact 0
		.amdhsa_exception_int_div_zero 0
	.end_amdhsa_kernel
	.section	.text._ZN7rocprim17ROCPRIM_400000_NS6detail17trampoline_kernelINS0_14default_configENS1_22reduce_config_selectorIN6thrust23THRUST_200600_302600_NS5tupleIblNS6_9null_typeES8_S8_S8_S8_S8_S8_S8_EEEEZNS1_11reduce_implILb1ES3_PS9_SC_S9_NS6_11hip_rocprim9__find_if7functorIS9_EEEE10hipError_tPvRmT1_T2_T3_mT4_P12ihipStream_tbEUlT_E0_NS1_11comp_targetILNS1_3genE9ELNS1_11target_archE1100ELNS1_3gpuE3ELNS1_3repE0EEENS1_30default_config_static_selectorELNS0_4arch9wavefront6targetE0EEEvSK_,"axG",@progbits,_ZN7rocprim17ROCPRIM_400000_NS6detail17trampoline_kernelINS0_14default_configENS1_22reduce_config_selectorIN6thrust23THRUST_200600_302600_NS5tupleIblNS6_9null_typeES8_S8_S8_S8_S8_S8_S8_EEEEZNS1_11reduce_implILb1ES3_PS9_SC_S9_NS6_11hip_rocprim9__find_if7functorIS9_EEEE10hipError_tPvRmT1_T2_T3_mT4_P12ihipStream_tbEUlT_E0_NS1_11comp_targetILNS1_3genE9ELNS1_11target_archE1100ELNS1_3gpuE3ELNS1_3repE0EEENS1_30default_config_static_selectorELNS0_4arch9wavefront6targetE0EEEvSK_,comdat
.Lfunc_end26:
	.size	_ZN7rocprim17ROCPRIM_400000_NS6detail17trampoline_kernelINS0_14default_configENS1_22reduce_config_selectorIN6thrust23THRUST_200600_302600_NS5tupleIblNS6_9null_typeES8_S8_S8_S8_S8_S8_S8_EEEEZNS1_11reduce_implILb1ES3_PS9_SC_S9_NS6_11hip_rocprim9__find_if7functorIS9_EEEE10hipError_tPvRmT1_T2_T3_mT4_P12ihipStream_tbEUlT_E0_NS1_11comp_targetILNS1_3genE9ELNS1_11target_archE1100ELNS1_3gpuE3ELNS1_3repE0EEENS1_30default_config_static_selectorELNS0_4arch9wavefront6targetE0EEEvSK_, .Lfunc_end26-_ZN7rocprim17ROCPRIM_400000_NS6detail17trampoline_kernelINS0_14default_configENS1_22reduce_config_selectorIN6thrust23THRUST_200600_302600_NS5tupleIblNS6_9null_typeES8_S8_S8_S8_S8_S8_S8_EEEEZNS1_11reduce_implILb1ES3_PS9_SC_S9_NS6_11hip_rocprim9__find_if7functorIS9_EEEE10hipError_tPvRmT1_T2_T3_mT4_P12ihipStream_tbEUlT_E0_NS1_11comp_targetILNS1_3genE9ELNS1_11target_archE1100ELNS1_3gpuE3ELNS1_3repE0EEENS1_30default_config_static_selectorELNS0_4arch9wavefront6targetE0EEEvSK_
                                        ; -- End function
	.set _ZN7rocprim17ROCPRIM_400000_NS6detail17trampoline_kernelINS0_14default_configENS1_22reduce_config_selectorIN6thrust23THRUST_200600_302600_NS5tupleIblNS6_9null_typeES8_S8_S8_S8_S8_S8_S8_EEEEZNS1_11reduce_implILb1ES3_PS9_SC_S9_NS6_11hip_rocprim9__find_if7functorIS9_EEEE10hipError_tPvRmT1_T2_T3_mT4_P12ihipStream_tbEUlT_E0_NS1_11comp_targetILNS1_3genE9ELNS1_11target_archE1100ELNS1_3gpuE3ELNS1_3repE0EEENS1_30default_config_static_selectorELNS0_4arch9wavefront6targetE0EEEvSK_.num_vgpr, 0
	.set _ZN7rocprim17ROCPRIM_400000_NS6detail17trampoline_kernelINS0_14default_configENS1_22reduce_config_selectorIN6thrust23THRUST_200600_302600_NS5tupleIblNS6_9null_typeES8_S8_S8_S8_S8_S8_S8_EEEEZNS1_11reduce_implILb1ES3_PS9_SC_S9_NS6_11hip_rocprim9__find_if7functorIS9_EEEE10hipError_tPvRmT1_T2_T3_mT4_P12ihipStream_tbEUlT_E0_NS1_11comp_targetILNS1_3genE9ELNS1_11target_archE1100ELNS1_3gpuE3ELNS1_3repE0EEENS1_30default_config_static_selectorELNS0_4arch9wavefront6targetE0EEEvSK_.num_agpr, 0
	.set _ZN7rocprim17ROCPRIM_400000_NS6detail17trampoline_kernelINS0_14default_configENS1_22reduce_config_selectorIN6thrust23THRUST_200600_302600_NS5tupleIblNS6_9null_typeES8_S8_S8_S8_S8_S8_S8_EEEEZNS1_11reduce_implILb1ES3_PS9_SC_S9_NS6_11hip_rocprim9__find_if7functorIS9_EEEE10hipError_tPvRmT1_T2_T3_mT4_P12ihipStream_tbEUlT_E0_NS1_11comp_targetILNS1_3genE9ELNS1_11target_archE1100ELNS1_3gpuE3ELNS1_3repE0EEENS1_30default_config_static_selectorELNS0_4arch9wavefront6targetE0EEEvSK_.numbered_sgpr, 0
	.set _ZN7rocprim17ROCPRIM_400000_NS6detail17trampoline_kernelINS0_14default_configENS1_22reduce_config_selectorIN6thrust23THRUST_200600_302600_NS5tupleIblNS6_9null_typeES8_S8_S8_S8_S8_S8_S8_EEEEZNS1_11reduce_implILb1ES3_PS9_SC_S9_NS6_11hip_rocprim9__find_if7functorIS9_EEEE10hipError_tPvRmT1_T2_T3_mT4_P12ihipStream_tbEUlT_E0_NS1_11comp_targetILNS1_3genE9ELNS1_11target_archE1100ELNS1_3gpuE3ELNS1_3repE0EEENS1_30default_config_static_selectorELNS0_4arch9wavefront6targetE0EEEvSK_.num_named_barrier, 0
	.set _ZN7rocprim17ROCPRIM_400000_NS6detail17trampoline_kernelINS0_14default_configENS1_22reduce_config_selectorIN6thrust23THRUST_200600_302600_NS5tupleIblNS6_9null_typeES8_S8_S8_S8_S8_S8_S8_EEEEZNS1_11reduce_implILb1ES3_PS9_SC_S9_NS6_11hip_rocprim9__find_if7functorIS9_EEEE10hipError_tPvRmT1_T2_T3_mT4_P12ihipStream_tbEUlT_E0_NS1_11comp_targetILNS1_3genE9ELNS1_11target_archE1100ELNS1_3gpuE3ELNS1_3repE0EEENS1_30default_config_static_selectorELNS0_4arch9wavefront6targetE0EEEvSK_.private_seg_size, 0
	.set _ZN7rocprim17ROCPRIM_400000_NS6detail17trampoline_kernelINS0_14default_configENS1_22reduce_config_selectorIN6thrust23THRUST_200600_302600_NS5tupleIblNS6_9null_typeES8_S8_S8_S8_S8_S8_S8_EEEEZNS1_11reduce_implILb1ES3_PS9_SC_S9_NS6_11hip_rocprim9__find_if7functorIS9_EEEE10hipError_tPvRmT1_T2_T3_mT4_P12ihipStream_tbEUlT_E0_NS1_11comp_targetILNS1_3genE9ELNS1_11target_archE1100ELNS1_3gpuE3ELNS1_3repE0EEENS1_30default_config_static_selectorELNS0_4arch9wavefront6targetE0EEEvSK_.uses_vcc, 0
	.set _ZN7rocprim17ROCPRIM_400000_NS6detail17trampoline_kernelINS0_14default_configENS1_22reduce_config_selectorIN6thrust23THRUST_200600_302600_NS5tupleIblNS6_9null_typeES8_S8_S8_S8_S8_S8_S8_EEEEZNS1_11reduce_implILb1ES3_PS9_SC_S9_NS6_11hip_rocprim9__find_if7functorIS9_EEEE10hipError_tPvRmT1_T2_T3_mT4_P12ihipStream_tbEUlT_E0_NS1_11comp_targetILNS1_3genE9ELNS1_11target_archE1100ELNS1_3gpuE3ELNS1_3repE0EEENS1_30default_config_static_selectorELNS0_4arch9wavefront6targetE0EEEvSK_.uses_flat_scratch, 0
	.set _ZN7rocprim17ROCPRIM_400000_NS6detail17trampoline_kernelINS0_14default_configENS1_22reduce_config_selectorIN6thrust23THRUST_200600_302600_NS5tupleIblNS6_9null_typeES8_S8_S8_S8_S8_S8_S8_EEEEZNS1_11reduce_implILb1ES3_PS9_SC_S9_NS6_11hip_rocprim9__find_if7functorIS9_EEEE10hipError_tPvRmT1_T2_T3_mT4_P12ihipStream_tbEUlT_E0_NS1_11comp_targetILNS1_3genE9ELNS1_11target_archE1100ELNS1_3gpuE3ELNS1_3repE0EEENS1_30default_config_static_selectorELNS0_4arch9wavefront6targetE0EEEvSK_.has_dyn_sized_stack, 0
	.set _ZN7rocprim17ROCPRIM_400000_NS6detail17trampoline_kernelINS0_14default_configENS1_22reduce_config_selectorIN6thrust23THRUST_200600_302600_NS5tupleIblNS6_9null_typeES8_S8_S8_S8_S8_S8_S8_EEEEZNS1_11reduce_implILb1ES3_PS9_SC_S9_NS6_11hip_rocprim9__find_if7functorIS9_EEEE10hipError_tPvRmT1_T2_T3_mT4_P12ihipStream_tbEUlT_E0_NS1_11comp_targetILNS1_3genE9ELNS1_11target_archE1100ELNS1_3gpuE3ELNS1_3repE0EEENS1_30default_config_static_selectorELNS0_4arch9wavefront6targetE0EEEvSK_.has_recursion, 0
	.set _ZN7rocprim17ROCPRIM_400000_NS6detail17trampoline_kernelINS0_14default_configENS1_22reduce_config_selectorIN6thrust23THRUST_200600_302600_NS5tupleIblNS6_9null_typeES8_S8_S8_S8_S8_S8_S8_EEEEZNS1_11reduce_implILb1ES3_PS9_SC_S9_NS6_11hip_rocprim9__find_if7functorIS9_EEEE10hipError_tPvRmT1_T2_T3_mT4_P12ihipStream_tbEUlT_E0_NS1_11comp_targetILNS1_3genE9ELNS1_11target_archE1100ELNS1_3gpuE3ELNS1_3repE0EEENS1_30default_config_static_selectorELNS0_4arch9wavefront6targetE0EEEvSK_.has_indirect_call, 0
	.section	.AMDGPU.csdata,"",@progbits
; Kernel info:
; codeLenInByte = 0
; TotalNumSgprs: 0
; NumVgprs: 0
; ScratchSize: 0
; MemoryBound: 0
; FloatMode: 240
; IeeeMode: 1
; LDSByteSize: 0 bytes/workgroup (compile time only)
; SGPRBlocks: 0
; VGPRBlocks: 0
; NumSGPRsForWavesPerEU: 1
; NumVGPRsForWavesPerEU: 1
; Occupancy: 16
; WaveLimiterHint : 0
; COMPUTE_PGM_RSRC2:SCRATCH_EN: 0
; COMPUTE_PGM_RSRC2:USER_SGPR: 6
; COMPUTE_PGM_RSRC2:TRAP_HANDLER: 0
; COMPUTE_PGM_RSRC2:TGID_X_EN: 1
; COMPUTE_PGM_RSRC2:TGID_Y_EN: 0
; COMPUTE_PGM_RSRC2:TGID_Z_EN: 0
; COMPUTE_PGM_RSRC2:TIDIG_COMP_CNT: 0
	.section	.text._ZN7rocprim17ROCPRIM_400000_NS6detail17trampoline_kernelINS0_14default_configENS1_22reduce_config_selectorIN6thrust23THRUST_200600_302600_NS5tupleIblNS6_9null_typeES8_S8_S8_S8_S8_S8_S8_EEEEZNS1_11reduce_implILb1ES3_PS9_SC_S9_NS6_11hip_rocprim9__find_if7functorIS9_EEEE10hipError_tPvRmT1_T2_T3_mT4_P12ihipStream_tbEUlT_E0_NS1_11comp_targetILNS1_3genE8ELNS1_11target_archE1030ELNS1_3gpuE2ELNS1_3repE0EEENS1_30default_config_static_selectorELNS0_4arch9wavefront6targetE0EEEvSK_,"axG",@progbits,_ZN7rocprim17ROCPRIM_400000_NS6detail17trampoline_kernelINS0_14default_configENS1_22reduce_config_selectorIN6thrust23THRUST_200600_302600_NS5tupleIblNS6_9null_typeES8_S8_S8_S8_S8_S8_S8_EEEEZNS1_11reduce_implILb1ES3_PS9_SC_S9_NS6_11hip_rocprim9__find_if7functorIS9_EEEE10hipError_tPvRmT1_T2_T3_mT4_P12ihipStream_tbEUlT_E0_NS1_11comp_targetILNS1_3genE8ELNS1_11target_archE1030ELNS1_3gpuE2ELNS1_3repE0EEENS1_30default_config_static_selectorELNS0_4arch9wavefront6targetE0EEEvSK_,comdat
	.protected	_ZN7rocprim17ROCPRIM_400000_NS6detail17trampoline_kernelINS0_14default_configENS1_22reduce_config_selectorIN6thrust23THRUST_200600_302600_NS5tupleIblNS6_9null_typeES8_S8_S8_S8_S8_S8_S8_EEEEZNS1_11reduce_implILb1ES3_PS9_SC_S9_NS6_11hip_rocprim9__find_if7functorIS9_EEEE10hipError_tPvRmT1_T2_T3_mT4_P12ihipStream_tbEUlT_E0_NS1_11comp_targetILNS1_3genE8ELNS1_11target_archE1030ELNS1_3gpuE2ELNS1_3repE0EEENS1_30default_config_static_selectorELNS0_4arch9wavefront6targetE0EEEvSK_ ; -- Begin function _ZN7rocprim17ROCPRIM_400000_NS6detail17trampoline_kernelINS0_14default_configENS1_22reduce_config_selectorIN6thrust23THRUST_200600_302600_NS5tupleIblNS6_9null_typeES8_S8_S8_S8_S8_S8_S8_EEEEZNS1_11reduce_implILb1ES3_PS9_SC_S9_NS6_11hip_rocprim9__find_if7functorIS9_EEEE10hipError_tPvRmT1_T2_T3_mT4_P12ihipStream_tbEUlT_E0_NS1_11comp_targetILNS1_3genE8ELNS1_11target_archE1030ELNS1_3gpuE2ELNS1_3repE0EEENS1_30default_config_static_selectorELNS0_4arch9wavefront6targetE0EEEvSK_
	.globl	_ZN7rocprim17ROCPRIM_400000_NS6detail17trampoline_kernelINS0_14default_configENS1_22reduce_config_selectorIN6thrust23THRUST_200600_302600_NS5tupleIblNS6_9null_typeES8_S8_S8_S8_S8_S8_S8_EEEEZNS1_11reduce_implILb1ES3_PS9_SC_S9_NS6_11hip_rocprim9__find_if7functorIS9_EEEE10hipError_tPvRmT1_T2_T3_mT4_P12ihipStream_tbEUlT_E0_NS1_11comp_targetILNS1_3genE8ELNS1_11target_archE1030ELNS1_3gpuE2ELNS1_3repE0EEENS1_30default_config_static_selectorELNS0_4arch9wavefront6targetE0EEEvSK_
	.p2align	8
	.type	_ZN7rocprim17ROCPRIM_400000_NS6detail17trampoline_kernelINS0_14default_configENS1_22reduce_config_selectorIN6thrust23THRUST_200600_302600_NS5tupleIblNS6_9null_typeES8_S8_S8_S8_S8_S8_S8_EEEEZNS1_11reduce_implILb1ES3_PS9_SC_S9_NS6_11hip_rocprim9__find_if7functorIS9_EEEE10hipError_tPvRmT1_T2_T3_mT4_P12ihipStream_tbEUlT_E0_NS1_11comp_targetILNS1_3genE8ELNS1_11target_archE1030ELNS1_3gpuE2ELNS1_3repE0EEENS1_30default_config_static_selectorELNS0_4arch9wavefront6targetE0EEEvSK_,@function
_ZN7rocprim17ROCPRIM_400000_NS6detail17trampoline_kernelINS0_14default_configENS1_22reduce_config_selectorIN6thrust23THRUST_200600_302600_NS5tupleIblNS6_9null_typeES8_S8_S8_S8_S8_S8_S8_EEEEZNS1_11reduce_implILb1ES3_PS9_SC_S9_NS6_11hip_rocprim9__find_if7functorIS9_EEEE10hipError_tPvRmT1_T2_T3_mT4_P12ihipStream_tbEUlT_E0_NS1_11comp_targetILNS1_3genE8ELNS1_11target_archE1030ELNS1_3gpuE2ELNS1_3repE0EEENS1_30default_config_static_selectorELNS0_4arch9wavefront6targetE0EEEvSK_: ; @_ZN7rocprim17ROCPRIM_400000_NS6detail17trampoline_kernelINS0_14default_configENS1_22reduce_config_selectorIN6thrust23THRUST_200600_302600_NS5tupleIblNS6_9null_typeES8_S8_S8_S8_S8_S8_S8_EEEEZNS1_11reduce_implILb1ES3_PS9_SC_S9_NS6_11hip_rocprim9__find_if7functorIS9_EEEE10hipError_tPvRmT1_T2_T3_mT4_P12ihipStream_tbEUlT_E0_NS1_11comp_targetILNS1_3genE8ELNS1_11target_archE1030ELNS1_3gpuE2ELNS1_3repE0EEENS1_30default_config_static_selectorELNS0_4arch9wavefront6targetE0EEEvSK_
; %bb.0:
	s_clause 0x1
	s_load_dwordx8 s[8:15], s[4:5], 0x0
	s_load_dwordx4 s[16:19], s[4:5], 0x20
	v_mbcnt_lo_u32_b32 v7, -1, 0
	s_waitcnt lgkmcnt(0)
	s_lshl_b64 s[0:1], s[10:11], 4
	s_mov_b32 s11, 0
	s_add_u32 s2, s8, s0
	s_addc_u32 s3, s9, s1
	s_lshl_b32 s10, s6, 9
	s_lshr_b64 s[8:9], s[12:13], 9
	s_lshl_b64 s[0:1], s[10:11], 4
	s_mov_b32 s7, s11
	s_add_u32 s2, s2, s0
	s_addc_u32 s3, s3, s1
	s_cmp_lg_u64 s[8:9], s[6:7]
	s_cbranch_scc0 .LBB27_18
; %bb.1:
	v_lshlrev_b32_e32 v3, 4, v0
	v_add_co_u32 v1, s0, s2, v3
	v_add_co_ci_u32_e64 v2, null, s3, 0, s0
	v_add_co_u32 v1, vcc_lo, 0x1000, v1
	v_add_co_ci_u32_e64 v2, null, 0, v2, vcc_lo
	s_clause 0x3
	global_load_ubyte v5, v[1:2], off
	global_load_ubyte v6, v3, s[2:3]
	global_load_dwordx2 v[3:4], v3, s[2:3] offset:8
	global_load_dwordx2 v[1:2], v[1:2], off offset:8
	s_waitcnt vmcnt(3)
	v_and_b32_e32 v8, 1, v5
	s_waitcnt vmcnt(2)
	v_and_b32_e32 v6, 1, v6
	s_waitcnt vmcnt(0)
	v_cmp_lt_i64_e32 vcc_lo, v[1:2], v[3:4]
	v_cmp_eq_u32_e64 s0, 1, v8
	v_cmp_eq_u32_e64 s1, 1, v6
	s_and_b32 vcc_lo, s0, vcc_lo
	v_cndmask_b32_e64 v5, v5, 1, s1
	v_cndmask_b32_e32 v3, v3, v1, vcc_lo
	v_cndmask_b32_e32 v4, v4, v2, vcc_lo
	v_and_b32_e32 v5, 1, v5
	v_cndmask_b32_e64 v1, v1, v3, s1
	v_cndmask_b32_e64 v2, v2, v4, s1
	v_mov_b32_dpp v6, v5 quad_perm:[1,0,3,2] row_mask:0xf bank_mask:0xf
	v_mov_b32_dpp v3, v1 quad_perm:[1,0,3,2] row_mask:0xf bank_mask:0xf
	;; [unrolled: 1-line block ×3, first 2 shown]
	v_cmp_eq_u32_e64 s0, 1, v5
	v_and_b32_e32 v6, 1, v6
	v_cmp_lt_i64_e32 vcc_lo, v[1:2], v[3:4]
	s_and_b32 vcc_lo, s0, vcc_lo
	v_cndmask_b32_e32 v3, v3, v1, vcc_lo
	v_cndmask_b32_e32 v4, v4, v2, vcc_lo
	v_cmp_eq_u32_e32 vcc_lo, 1, v6
	v_cndmask_b32_e32 v2, v2, v4, vcc_lo
	v_cndmask_b32_e32 v1, v1, v3, vcc_lo
	v_cndmask_b32_e64 v5, v5, 1, vcc_lo
	v_mov_b32_dpp v4, v2 quad_perm:[2,3,0,1] row_mask:0xf bank_mask:0xf
	v_mov_b32_dpp v3, v1 quad_perm:[2,3,0,1] row_mask:0xf bank_mask:0xf
	v_and_b32_e32 v8, 1, v5
	v_mov_b32_dpp v6, v5 quad_perm:[2,3,0,1] row_mask:0xf bank_mask:0xf
	v_cmp_lt_i64_e32 vcc_lo, v[1:2], v[3:4]
	v_cmp_eq_u32_e64 s0, 1, v8
	v_and_b32_e32 v6, 1, v6
	s_and_b32 vcc_lo, s0, vcc_lo
	v_cmp_eq_u32_e64 s1, 1, v6
	v_cndmask_b32_e32 v3, v3, v1, vcc_lo
	v_cndmask_b32_e32 v4, v4, v2, vcc_lo
	v_cndmask_b32_e64 v5, v5, 1, s1
	v_cndmask_b32_e64 v1, v1, v3, s1
	;; [unrolled: 1-line block ×3, first 2 shown]
	v_and_b32_e32 v8, 1, v5
	v_mov_b32_dpp v3, v1 row_ror:4 row_mask:0xf bank_mask:0xf
	v_mov_b32_dpp v4, v2 row_ror:4 row_mask:0xf bank_mask:0xf
	;; [unrolled: 1-line block ×3, first 2 shown]
	v_cmp_eq_u32_e64 s0, 1, v8
	v_cmp_lt_i64_e32 vcc_lo, v[1:2], v[3:4]
	v_and_b32_e32 v6, 1, v6
	s_and_b32 vcc_lo, s0, vcc_lo
	v_cmp_eq_u32_e64 s1, 1, v6
	v_cndmask_b32_e32 v3, v3, v1, vcc_lo
	v_cndmask_b32_e32 v4, v4, v2, vcc_lo
	v_cndmask_b32_e64 v5, v5, 1, s1
	v_cndmask_b32_e64 v1, v1, v3, s1
	;; [unrolled: 1-line block ×3, first 2 shown]
	v_and_b32_e32 v8, 1, v5
	v_mov_b32_dpp v3, v1 row_ror:8 row_mask:0xf bank_mask:0xf
	v_mov_b32_dpp v4, v2 row_ror:8 row_mask:0xf bank_mask:0xf
	v_mov_b32_dpp v6, v5 row_ror:8 row_mask:0xf bank_mask:0xf
	v_cmp_eq_u32_e64 s0, 1, v8
	v_cmp_lt_i64_e32 vcc_lo, v[1:2], v[3:4]
	v_and_b32_e32 v6, 1, v6
	s_and_b32 vcc_lo, s0, vcc_lo
	v_cmp_eq_u32_e64 s1, 1, v6
	v_cndmask_b32_e32 v3, v3, v1, vcc_lo
	v_cndmask_b32_e32 v4, v4, v2, vcc_lo
	v_cndmask_b32_e64 v5, v5, 1, s1
	v_cndmask_b32_e64 v1, v1, v3, s1
	;; [unrolled: 1-line block ×3, first 2 shown]
	ds_swizzle_b32 v6, v5 offset:swizzle(BROADCAST,32,15)
	ds_swizzle_b32 v3, v1 offset:swizzle(BROADCAST,32,15)
	;; [unrolled: 1-line block ×3, first 2 shown]
	v_and_b32_e32 v8, 1, v5
	v_cmp_eq_u32_e64 s0, 1, v8
	s_waitcnt lgkmcnt(2)
	v_and_b32_e32 v6, 1, v6
	s_waitcnt lgkmcnt(0)
	v_cmp_lt_i64_e32 vcc_lo, v[1:2], v[3:4]
	v_cmp_eq_u32_e64 s1, 1, v6
	v_mov_b32_e32 v6, 0
	s_and_b32 vcc_lo, s0, vcc_lo
	s_mov_b32 s0, exec_lo
	v_cndmask_b32_e32 v3, v3, v1, vcc_lo
	v_cndmask_b32_e32 v4, v4, v2, vcc_lo
	v_cndmask_b32_e64 v5, v5, 1, s1
	v_cndmask_b32_e64 v1, v1, v3, s1
	;; [unrolled: 1-line block ×3, first 2 shown]
	ds_bpermute_b32 v8, v6, v5 offset:124
	ds_bpermute_b32 v1, v6, v1 offset:124
	;; [unrolled: 1-line block ×3, first 2 shown]
	v_cmpx_eq_u32_e32 0, v7
	s_cbranch_execz .LBB27_3
; %bb.2:
	v_lshrrev_b32_e32 v3, 1, v0
	v_and_b32_e32 v3, 0x70, v3
	s_waitcnt lgkmcnt(2)
	ds_write_b8 v3, v8
	s_waitcnt lgkmcnt(1)
	ds_write_b64 v3, v[1:2] offset:8
.LBB27_3:
	s_or_b32 exec_lo, exec_lo, s0
	s_mov_b32 s0, exec_lo
	s_waitcnt lgkmcnt(0)
	s_barrier
	buffer_gl0_inv
	v_cmpx_gt_u32_e32 32, v0
	s_cbranch_execz .LBB27_17
; %bb.4:
	v_and_b32_e32 v8, 7, v7
	v_lshlrev_b32_e32 v1, 4, v8
	v_cmp_ne_u32_e32 vcc_lo, 7, v8
	ds_read_u8 v10, v1
	ds_read_b64 v[3:4], v1 offset:8
	v_add_co_ci_u32_e64 v2, null, 0, v7, vcc_lo
	v_lshlrev_b32_e32 v2, 2, v2
	s_waitcnt lgkmcnt(1)
	v_and_b32_e32 v1, 0xff, v10
	s_waitcnt lgkmcnt(0)
	ds_bpermute_b32 v5, v2, v3
	ds_bpermute_b32 v6, v2, v4
	;; [unrolled: 1-line block ×3, first 2 shown]
	s_waitcnt lgkmcnt(0)
	v_and_b32_e32 v1, v10, v11
	v_and_b32_e32 v1, 1, v1
	v_cmp_eq_u32_e32 vcc_lo, 1, v1
                                        ; implicit-def: $vgpr1_vgpr2
	s_and_saveexec_b32 s1, vcc_lo
	s_xor_b32 s1, exec_lo, s1
; %bb.5:
	v_cmp_lt_i64_e32 vcc_lo, v[5:6], v[3:4]
                                        ; implicit-def: $vgpr10
                                        ; implicit-def: $vgpr11
	v_cndmask_b32_e32 v2, v4, v6, vcc_lo
	v_cndmask_b32_e32 v1, v3, v5, vcc_lo
                                        ; implicit-def: $vgpr5_vgpr6
                                        ; implicit-def: $vgpr3_vgpr4
; %bb.6:
	s_or_saveexec_b32 s1, s1
	v_mov_b32_e32 v9, 1
	s_xor_b32 exec_lo, exec_lo, s1
; %bb.7:
	v_and_b32_e32 v1, 1, v10
	v_and_b32_e32 v9, 0xff, v11
	v_cmp_eq_u32_e32 vcc_lo, 1, v1
	v_cndmask_b32_e32 v2, v6, v4, vcc_lo
	v_cndmask_b32_e32 v1, v5, v3, vcc_lo
	v_cndmask_b32_e64 v9, v9, 1, vcc_lo
; %bb.8:
	s_or_b32 exec_lo, exec_lo, s1
	v_cmp_gt_u32_e32 vcc_lo, 6, v8
	v_cndmask_b32_e64 v3, 0, 2, vcc_lo
	v_add_lshl_u32 v3, v3, v7, 2
	ds_bpermute_b32 v8, v3, v9
	ds_bpermute_b32 v5, v3, v1
	;; [unrolled: 1-line block ×3, first 2 shown]
	s_waitcnt lgkmcnt(2)
	v_and_b32_e32 v3, v9, v8
	v_and_b32_e32 v3, 1, v3
	v_cmp_eq_u32_e32 vcc_lo, 1, v3
                                        ; implicit-def: $vgpr3_vgpr4
	s_and_saveexec_b32 s1, vcc_lo
	s_xor_b32 s1, exec_lo, s1
	s_cbranch_execz .LBB27_10
; %bb.9:
	s_waitcnt lgkmcnt(0)
	v_cmp_lt_i64_e32 vcc_lo, v[5:6], v[1:2]
                                        ; implicit-def: $vgpr9
                                        ; implicit-def: $vgpr8
	v_cndmask_b32_e32 v4, v2, v6, vcc_lo
	v_cndmask_b32_e32 v3, v1, v5, vcc_lo
                                        ; implicit-def: $vgpr5_vgpr6
                                        ; implicit-def: $vgpr1_vgpr2
.LBB27_10:
	s_or_saveexec_b32 s1, s1
	v_lshlrev_b32_e32 v11, 2, v7
	v_mov_b32_e32 v10, 1
	s_xor_b32 exec_lo, exec_lo, s1
	s_cbranch_execz .LBB27_12
; %bb.11:
	v_and_b32_e32 v3, 1, v9
	v_and_b32_e32 v8, 0xff, v8
	v_cmp_eq_u32_e32 vcc_lo, 1, v3
	s_waitcnt lgkmcnt(0)
	v_cndmask_b32_e32 v4, v6, v2, vcc_lo
	v_cndmask_b32_e32 v3, v5, v1, vcc_lo
	v_cndmask_b32_e64 v10, v8, 1, vcc_lo
.LBB27_12:
	s_or_b32 exec_lo, exec_lo, s1
	v_or_b32_e32 v1, 16, v11
	ds_bpermute_b32 v9, v1, v10
	s_waitcnt lgkmcnt(2)
	ds_bpermute_b32 v5, v1, v3
	s_waitcnt lgkmcnt(2)
	;; [unrolled: 2-line block ×3, first 2 shown]
	v_and_b32_e32 v1, v10, v9
	v_and_b32_e32 v1, 1, v1
	v_cmp_eq_u32_e32 vcc_lo, 1, v1
                                        ; implicit-def: $vgpr1_vgpr2
	s_and_saveexec_b32 s1, vcc_lo
	s_xor_b32 s1, exec_lo, s1
	s_cbranch_execz .LBB27_14
; %bb.13:
	s_waitcnt lgkmcnt(0)
	v_cmp_lt_i64_e32 vcc_lo, v[5:6], v[3:4]
                                        ; implicit-def: $vgpr10
                                        ; implicit-def: $vgpr9
	v_cndmask_b32_e32 v2, v4, v6, vcc_lo
	v_cndmask_b32_e32 v1, v3, v5, vcc_lo
                                        ; implicit-def: $vgpr5_vgpr6
                                        ; implicit-def: $vgpr3_vgpr4
.LBB27_14:
	s_or_saveexec_b32 s1, s1
	v_mov_b32_e32 v8, 1
	s_xor_b32 exec_lo, exec_lo, s1
	s_cbranch_execz .LBB27_16
; %bb.15:
	v_and_b32_e32 v1, 1, v10
	v_cmp_eq_u32_e32 vcc_lo, 1, v1
	s_waitcnt lgkmcnt(0)
	v_cndmask_b32_e32 v2, v6, v4, vcc_lo
	v_cndmask_b32_e32 v1, v5, v3, vcc_lo
	v_cndmask_b32_e64 v8, v9, 1, vcc_lo
.LBB27_16:
	s_or_b32 exec_lo, exec_lo, s1
.LBB27_17:
	s_or_b32 exec_lo, exec_lo, s0
	s_load_dwordx2 s[8:9], s[4:5], 0x38
	s_branch .LBB27_76
.LBB27_18:
                                        ; implicit-def: $vgpr1_vgpr2
                                        ; implicit-def: $vgpr8
	s_load_dwordx2 s[8:9], s[4:5], 0x38
	s_cbranch_execz .LBB27_76
; %bb.19:
	v_mov_b32_e32 v3, 0
	v_mov_b32_e32 v1, 0
	s_waitcnt lgkmcnt(0)
	v_mov_b32_e32 v5, 0
	v_mov_b32_e32 v4, 0
	;; [unrolled: 1-line block ×4, first 2 shown]
	s_sub_i32 s10, s12, s10
	s_mov_b32 s0, exec_lo
	v_cmpx_gt_u32_e64 s10, v0
	s_cbranch_execz .LBB27_21
; %bb.20:
	v_lshlrev_b32_e32 v1, 4, v0
	s_clause 0x1
	global_load_ubyte v6, v1, s[2:3]
	global_load_dwordx2 v[1:2], v1, s[2:3] offset:8
.LBB27_21:
	s_or_b32 exec_lo, exec_lo, s0
	v_or_b32_e32 v8, 0x100, v0
	v_cmp_gt_u32_e32 vcc_lo, s10, v8
	s_and_saveexec_b32 s0, vcc_lo
	s_cbranch_execz .LBB27_23
; %bb.22:
	v_lshlrev_b32_e32 v3, 4, v8
	s_clause 0x1
	global_load_ubyte v5, v3, s[2:3]
	global_load_dwordx2 v[3:4], v3, s[2:3] offset:8
.LBB27_23:
	s_or_b32 exec_lo, exec_lo, s0
	s_waitcnt vmcnt(1)
	v_and_b32_e32 v8, 1, v5
	s_waitcnt vmcnt(0)
	v_cmp_lt_i64_e64 s0, v[3:4], v[1:2]
	v_and_b32_e32 v9, 1, v6
	v_and_b32_e32 v5, 0xff, v5
	;; [unrolled: 1-line block ×3, first 2 shown]
	v_cmp_eq_u32_e64 s1, 1, v8
	v_cmp_eq_u32_e64 s2, 1, v9
	s_and_b32 s0, s1, s0
	s_mov_b32 s1, exec_lo
	v_cndmask_b32_e64 v8, v2, v4, s0
	v_cndmask_b32_e64 v9, v1, v3, s0
	v_cmp_ne_u32_e64 s0, 31, v7
	v_cndmask_b32_e64 v5, v5, 1, s2
	v_cndmask_b32_e64 v4, v4, v8, s2
	;; [unrolled: 1-line block ×3, first 2 shown]
	v_add_co_ci_u32_e64 v10, null, 0, v7, s0
	v_cndmask_b32_e32 v8, v6, v5, vcc_lo
	v_cndmask_b32_e32 v2, v2, v4, vcc_lo
	;; [unrolled: 1-line block ×3, first 2 shown]
	v_lshlrev_b32_e32 v9, 2, v10
	v_and_b32_e32 v5, 0xe0, v0
	s_min_u32 s0, s10, 0x100
	ds_bpermute_b32 v6, v9, v8
	ds_bpermute_b32 v3, v9, v1
	;; [unrolled: 1-line block ×3, first 2 shown]
	v_sub_nc_u32_e64 v5, s0, v5 clamp
	v_add_nc_u32_e32 v9, 1, v7
	v_cmpx_lt_u32_e64 v9, v5
	s_cbranch_execz .LBB27_29
; %bb.24:
	s_waitcnt lgkmcnt(2)
	v_and_b32_e32 v9, v8, v6
	s_mov_b32 s2, exec_lo
	v_cmpx_ne_u32_e32 0, v9
	s_xor_b32 s2, exec_lo, s2
	s_cbranch_execz .LBB27_26
; %bb.25:
	s_waitcnt lgkmcnt(0)
	v_cmp_lt_i64_e32 vcc_lo, v[3:4], v[1:2]
                                        ; implicit-def: $vgpr8
                                        ; implicit-def: $vgpr6
	v_cndmask_b32_e32 v2, v2, v4, vcc_lo
	v_cndmask_b32_e32 v1, v1, v3, vcc_lo
                                        ; implicit-def: $vgpr3_vgpr4
.LBB27_26:
	s_or_saveexec_b32 s2, s2
	v_mov_b32_e32 v9, 1
	s_xor_b32 exec_lo, exec_lo, s2
	s_cbranch_execz .LBB27_28
; %bb.27:
	v_and_b32_e32 v8, 1, v8
	v_and_b32_e32 v6, 0xff, v6
	v_cmp_eq_u32_e32 vcc_lo, 1, v8
	s_waitcnt lgkmcnt(0)
	v_cndmask_b32_e32 v2, v4, v2, vcc_lo
	v_cndmask_b32_e32 v1, v3, v1, vcc_lo
	v_cndmask_b32_e64 v9, v6, 1, vcc_lo
.LBB27_28:
	s_or_b32 exec_lo, exec_lo, s2
	v_mov_b32_e32 v8, v9
.LBB27_29:
	s_or_b32 exec_lo, exec_lo, s1
	v_cmp_gt_u32_e32 vcc_lo, 30, v7
	v_add_nc_u32_e32 v9, 2, v7
	s_mov_b32 s1, exec_lo
	s_waitcnt lgkmcnt(1)
	v_cndmask_b32_e64 v3, 0, 2, vcc_lo
	s_waitcnt lgkmcnt(0)
	v_add_lshl_u32 v4, v3, v7, 2
	ds_bpermute_b32 v6, v4, v8
	ds_bpermute_b32 v3, v4, v1
	ds_bpermute_b32 v4, v4, v2
	v_cmpx_lt_u32_e64 v9, v5
	s_cbranch_execz .LBB27_35
; %bb.30:
	s_waitcnt lgkmcnt(2)
	v_and_b32_e32 v9, v8, v6
	s_mov_b32 s2, exec_lo
	v_and_b32_e32 v9, 1, v9
	v_cmpx_eq_u32_e32 1, v9
	s_xor_b32 s2, exec_lo, s2
	s_cbranch_execz .LBB27_32
; %bb.31:
	s_waitcnt lgkmcnt(0)
	v_cmp_lt_i64_e32 vcc_lo, v[3:4], v[1:2]
                                        ; implicit-def: $vgpr8
                                        ; implicit-def: $vgpr6
	v_cndmask_b32_e32 v2, v2, v4, vcc_lo
	v_cndmask_b32_e32 v1, v1, v3, vcc_lo
                                        ; implicit-def: $vgpr3_vgpr4
.LBB27_32:
	s_or_saveexec_b32 s2, s2
	v_mov_b32_e32 v9, 1
	s_xor_b32 exec_lo, exec_lo, s2
	s_cbranch_execz .LBB27_34
; %bb.33:
	v_and_b32_e32 v8, 1, v8
	v_and_b32_e32 v6, 0xff, v6
	v_cmp_eq_u32_e32 vcc_lo, 1, v8
	s_waitcnt lgkmcnt(0)
	v_cndmask_b32_e32 v2, v4, v2, vcc_lo
	v_cndmask_b32_e32 v1, v3, v1, vcc_lo
	v_cndmask_b32_e64 v9, v6, 1, vcc_lo
.LBB27_34:
	s_or_b32 exec_lo, exec_lo, s2
	v_mov_b32_e32 v8, v9
.LBB27_35:
	s_or_b32 exec_lo, exec_lo, s1
	v_cmp_gt_u32_e32 vcc_lo, 28, v7
	v_add_nc_u32_e32 v9, 4, v7
	s_mov_b32 s1, exec_lo
	s_waitcnt lgkmcnt(1)
	v_cndmask_b32_e64 v3, 0, 4, vcc_lo
	s_waitcnt lgkmcnt(0)
	v_add_lshl_u32 v4, v3, v7, 2
	ds_bpermute_b32 v6, v4, v8
	ds_bpermute_b32 v3, v4, v1
	ds_bpermute_b32 v4, v4, v2
	v_cmpx_lt_u32_e64 v9, v5
	s_cbranch_execz .LBB27_41
; %bb.36:
	s_waitcnt lgkmcnt(2)
	v_and_b32_e32 v9, v8, v6
	s_mov_b32 s2, exec_lo
	v_and_b32_e32 v9, 1, v9
	v_cmpx_eq_u32_e32 1, v9
	s_xor_b32 s2, exec_lo, s2
	s_cbranch_execz .LBB27_38
; %bb.37:
	s_waitcnt lgkmcnt(0)
	v_cmp_lt_i64_e32 vcc_lo, v[3:4], v[1:2]
                                        ; implicit-def: $vgpr8
                                        ; implicit-def: $vgpr6
	v_cndmask_b32_e32 v2, v2, v4, vcc_lo
	v_cndmask_b32_e32 v1, v1, v3, vcc_lo
                                        ; implicit-def: $vgpr3_vgpr4
.LBB27_38:
	s_or_saveexec_b32 s2, s2
	v_mov_b32_e32 v9, 1
	s_xor_b32 exec_lo, exec_lo, s2
	s_cbranch_execz .LBB27_40
; %bb.39:
	v_and_b32_e32 v8, 1, v8
	v_and_b32_e32 v6, 0xff, v6
	v_cmp_eq_u32_e32 vcc_lo, 1, v8
	s_waitcnt lgkmcnt(0)
	v_cndmask_b32_e32 v2, v4, v2, vcc_lo
	v_cndmask_b32_e32 v1, v3, v1, vcc_lo
	v_cndmask_b32_e64 v9, v6, 1, vcc_lo
.LBB27_40:
	s_or_b32 exec_lo, exec_lo, s2
	v_mov_b32_e32 v8, v9
.LBB27_41:
	;; [unrolled: 46-line block ×3, first 2 shown]
	s_or_b32 exec_lo, exec_lo, s1
	s_waitcnt lgkmcnt(2)
	v_lshlrev_b32_e32 v6, 2, v7
	v_add_nc_u32_e32 v10, 16, v7
	s_waitcnt lgkmcnt(0)
	v_or_b32_e32 v4, 64, v6
	v_cmp_lt_u32_e32 vcc_lo, v10, v5
	v_mov_b32_e32 v5, v8
	ds_bpermute_b32 v9, v4, v8
	ds_bpermute_b32 v3, v4, v1
	ds_bpermute_b32 v4, v4, v2
	s_and_saveexec_b32 s1, vcc_lo
	s_cbranch_execz .LBB27_53
; %bb.48:
	s_waitcnt lgkmcnt(2)
	v_and_b32_e32 v5, v8, v9
	s_mov_b32 s2, exec_lo
	v_and_b32_e32 v5, 1, v5
	v_cmpx_eq_u32_e32 1, v5
	s_xor_b32 s2, exec_lo, s2
	s_cbranch_execz .LBB27_50
; %bb.49:
	s_waitcnt lgkmcnt(0)
	v_cmp_lt_i64_e32 vcc_lo, v[3:4], v[1:2]
                                        ; implicit-def: $vgpr8
                                        ; implicit-def: $vgpr9
	v_cndmask_b32_e32 v2, v2, v4, vcc_lo
	v_cndmask_b32_e32 v1, v1, v3, vcc_lo
                                        ; implicit-def: $vgpr3_vgpr4
.LBB27_50:
	s_or_saveexec_b32 s2, s2
	v_mov_b32_e32 v5, 1
	s_xor_b32 exec_lo, exec_lo, s2
	s_cbranch_execz .LBB27_52
; %bb.51:
	v_and_b32_e32 v5, 1, v8
	v_cmp_eq_u32_e32 vcc_lo, 1, v5
	v_cndmask_b32_e64 v5, v9, 1, vcc_lo
	s_waitcnt lgkmcnt(0)
	v_cndmask_b32_e32 v2, v4, v2, vcc_lo
	v_cndmask_b32_e32 v1, v3, v1, vcc_lo
.LBB27_52:
	s_or_b32 exec_lo, exec_lo, s2
	v_and_b32_e32 v8, 0xff, v5
.LBB27_53:
	s_or_b32 exec_lo, exec_lo, s1
	s_mov_b32 s1, exec_lo
	v_cmpx_eq_u32_e32 0, v7
	s_cbranch_execz .LBB27_55
; %bb.54:
	s_waitcnt lgkmcnt(1)
	v_lshrrev_b32_e32 v3, 1, v0
	v_and_b32_e32 v3, 0x70, v3
	ds_write_b8 v3, v5 offset:128
	ds_write_b64 v3, v[1:2] offset:136
.LBB27_55:
	s_or_b32 exec_lo, exec_lo, s1
	s_mov_b32 s1, exec_lo
	s_waitcnt lgkmcnt(0)
	s_barrier
	buffer_gl0_inv
	v_cmpx_gt_u32_e32 8, v0
	s_cbranch_execz .LBB27_75
; %bb.56:
	v_lshlrev_b32_e32 v1, 4, v7
	v_and_b32_e32 v5, 7, v7
	s_add_i32 s0, s0, 31
	s_mov_b32 s2, exec_lo
	s_lshr_b32 s0, s0, 5
	ds_read_u8 v9, v1 offset:128
	ds_read_b64 v[1:2], v1 offset:136
	v_cmp_ne_u32_e32 vcc_lo, 7, v5
	v_add_nc_u32_e32 v11, 1, v5
	v_add_co_ci_u32_e64 v3, null, 0, v7, vcc_lo
	v_lshlrev_b32_e32 v4, 2, v3
	s_waitcnt lgkmcnt(1)
	v_and_b32_e32 v8, 0xff, v9
	s_waitcnt lgkmcnt(0)
	ds_bpermute_b32 v3, v4, v1
	ds_bpermute_b32 v10, v4, v8
	ds_bpermute_b32 v4, v4, v2
	v_cmpx_gt_u32_e64 s0, v11
	s_cbranch_execz .LBB27_62
; %bb.57:
	s_waitcnt lgkmcnt(1)
	v_and_b32_e32 v8, v8, v10
	s_mov_b32 s3, exec_lo
	v_and_b32_e32 v8, 1, v8
	v_cmpx_eq_u32_e32 1, v8
	s_xor_b32 s3, exec_lo, s3
	s_cbranch_execz .LBB27_59
; %bb.58:
	s_waitcnt lgkmcnt(0)
	v_cmp_lt_i64_e32 vcc_lo, v[3:4], v[1:2]
                                        ; implicit-def: $vgpr9
                                        ; implicit-def: $vgpr10
	v_cndmask_b32_e32 v2, v2, v4, vcc_lo
	v_cndmask_b32_e32 v1, v1, v3, vcc_lo
                                        ; implicit-def: $vgpr3_vgpr4
.LBB27_59:
	s_or_saveexec_b32 s3, s3
	v_mov_b32_e32 v8, 1
	s_xor_b32 exec_lo, exec_lo, s3
	s_cbranch_execz .LBB27_61
; %bb.60:
	v_and_b32_e32 v8, 1, v9
	v_cmp_eq_u32_e32 vcc_lo, 1, v8
	v_and_b32_e32 v8, 0xff, v10
	s_waitcnt lgkmcnt(0)
	v_cndmask_b32_e32 v2, v4, v2, vcc_lo
	v_cndmask_b32_e32 v1, v3, v1, vcc_lo
	v_cndmask_b32_e64 v8, v8, 1, vcc_lo
.LBB27_61:
	s_or_b32 exec_lo, exec_lo, s3
.LBB27_62:
	s_or_b32 exec_lo, exec_lo, s2
	v_cmp_gt_u32_e32 vcc_lo, 6, v5
	v_add_nc_u32_e32 v9, 2, v5
	s_mov_b32 s2, exec_lo
	s_waitcnt lgkmcnt(2)
	v_cndmask_b32_e64 v3, 0, 2, vcc_lo
	s_waitcnt lgkmcnt(0)
	v_add_lshl_u32 v4, v3, v7, 2
	ds_bpermute_b32 v7, v4, v8
	ds_bpermute_b32 v3, v4, v1
	;; [unrolled: 1-line block ×3, first 2 shown]
	v_cmpx_gt_u32_e64 s0, v9
	s_cbranch_execz .LBB27_68
; %bb.63:
	s_waitcnt lgkmcnt(2)
	v_and_b32_e32 v9, v8, v7
	s_mov_b32 s3, exec_lo
	v_and_b32_e32 v9, 1, v9
	v_cmpx_eq_u32_e32 1, v9
	s_xor_b32 s3, exec_lo, s3
	s_cbranch_execz .LBB27_65
; %bb.64:
	s_waitcnt lgkmcnt(0)
	v_cmp_lt_i64_e32 vcc_lo, v[3:4], v[1:2]
                                        ; implicit-def: $vgpr8
                                        ; implicit-def: $vgpr7
	v_cndmask_b32_e32 v2, v2, v4, vcc_lo
	v_cndmask_b32_e32 v1, v1, v3, vcc_lo
                                        ; implicit-def: $vgpr3_vgpr4
.LBB27_65:
	s_or_saveexec_b32 s3, s3
	v_mov_b32_e32 v9, 1
	s_xor_b32 exec_lo, exec_lo, s3
	s_cbranch_execz .LBB27_67
; %bb.66:
	v_and_b32_e32 v8, 1, v8
	v_and_b32_e32 v7, 0xff, v7
	v_cmp_eq_u32_e32 vcc_lo, 1, v8
	s_waitcnt lgkmcnt(0)
	v_cndmask_b32_e32 v2, v4, v2, vcc_lo
	v_cndmask_b32_e32 v1, v3, v1, vcc_lo
	v_cndmask_b32_e64 v9, v7, 1, vcc_lo
.LBB27_67:
	s_or_b32 exec_lo, exec_lo, s3
	v_mov_b32_e32 v8, v9
.LBB27_68:
	s_or_b32 exec_lo, exec_lo, s2
	s_waitcnt lgkmcnt(0)
	v_or_b32_e32 v4, 16, v6
	v_add_nc_u32_e32 v5, 4, v5
	ds_bpermute_b32 v6, v4, v8
	ds_bpermute_b32 v3, v4, v1
	ds_bpermute_b32 v4, v4, v2
	v_cmp_gt_u32_e32 vcc_lo, s0, v5
	s_and_saveexec_b32 s0, vcc_lo
	s_cbranch_execz .LBB27_74
; %bb.69:
	s_waitcnt lgkmcnt(2)
	v_and_b32_e32 v5, v8, v6
	s_mov_b32 s2, exec_lo
	v_and_b32_e32 v5, 1, v5
	v_cmpx_eq_u32_e32 1, v5
	s_xor_b32 s2, exec_lo, s2
	s_cbranch_execz .LBB27_71
; %bb.70:
	s_waitcnt lgkmcnt(0)
	v_cmp_lt_i64_e32 vcc_lo, v[3:4], v[1:2]
                                        ; implicit-def: $vgpr8
                                        ; implicit-def: $vgpr6
	v_cndmask_b32_e32 v2, v2, v4, vcc_lo
	v_cndmask_b32_e32 v1, v1, v3, vcc_lo
                                        ; implicit-def: $vgpr3_vgpr4
.LBB27_71:
	s_or_saveexec_b32 s2, s2
	v_mov_b32_e32 v5, 1
	s_xor_b32 exec_lo, exec_lo, s2
	s_cbranch_execz .LBB27_73
; %bb.72:
	v_and_b32_e32 v5, 1, v8
	v_cmp_eq_u32_e32 vcc_lo, 1, v5
	s_waitcnt lgkmcnt(0)
	v_cndmask_b32_e32 v2, v4, v2, vcc_lo
	v_cndmask_b32_e32 v1, v3, v1, vcc_lo
	v_cndmask_b32_e64 v5, v6, 1, vcc_lo
.LBB27_73:
	s_or_b32 exec_lo, exec_lo, s2
	v_mov_b32_e32 v8, v5
.LBB27_74:
	s_or_b32 exec_lo, exec_lo, s0
.LBB27_75:
	s_or_b32 exec_lo, exec_lo, s1
.LBB27_76:
	s_load_dword s0, s[4:5], 0x30
	s_mov_b32 s1, exec_lo
	v_cmpx_eq_u32_e32 0, v0
	s_cbranch_execz .LBB27_78
; %bb.77:
	s_mul_i32 s1, s18, s17
	s_mul_hi_u32 s2, s18, s16
	s_mul_i32 s3, s19, s16
	s_add_i32 s1, s2, s1
	s_mul_i32 s2, s18, s16
	s_add_i32 s3, s1, s3
	v_mov_b32_e32 v0, 0
	s_lshl_b64 s[2:3], s[2:3], 4
	s_add_u32 s1, s14, s2
	s_addc_u32 s4, s15, s3
	s_cmp_eq_u64 s[12:13], 0
	s_cselect_b32 s5, -1, 0
	s_lshl_b64 s[2:3], s[6:7], 4
	s_waitcnt lgkmcnt(0)
	v_cndmask_b32_e64 v3, v8, s0, s5
	v_cndmask_b32_e64 v2, v2, s9, s5
	;; [unrolled: 1-line block ×3, first 2 shown]
	s_add_u32 s0, s1, s2
	s_addc_u32 s1, s4, s3
	global_store_byte v0, v3, s[0:1]
	global_store_dwordx2 v0, v[1:2], s[0:1] offset:8
.LBB27_78:
	s_endpgm
	.section	.rodata,"a",@progbits
	.p2align	6, 0x0
	.amdhsa_kernel _ZN7rocprim17ROCPRIM_400000_NS6detail17trampoline_kernelINS0_14default_configENS1_22reduce_config_selectorIN6thrust23THRUST_200600_302600_NS5tupleIblNS6_9null_typeES8_S8_S8_S8_S8_S8_S8_EEEEZNS1_11reduce_implILb1ES3_PS9_SC_S9_NS6_11hip_rocprim9__find_if7functorIS9_EEEE10hipError_tPvRmT1_T2_T3_mT4_P12ihipStream_tbEUlT_E0_NS1_11comp_targetILNS1_3genE8ELNS1_11target_archE1030ELNS1_3gpuE2ELNS1_3repE0EEENS1_30default_config_static_selectorELNS0_4arch9wavefront6targetE0EEEvSK_
		.amdhsa_group_segment_fixed_size 256
		.amdhsa_private_segment_fixed_size 0
		.amdhsa_kernarg_size 72
		.amdhsa_user_sgpr_count 6
		.amdhsa_user_sgpr_private_segment_buffer 1
		.amdhsa_user_sgpr_dispatch_ptr 0
		.amdhsa_user_sgpr_queue_ptr 0
		.amdhsa_user_sgpr_kernarg_segment_ptr 1
		.amdhsa_user_sgpr_dispatch_id 0
		.amdhsa_user_sgpr_flat_scratch_init 0
		.amdhsa_user_sgpr_private_segment_size 0
		.amdhsa_wavefront_size32 1
		.amdhsa_uses_dynamic_stack 0
		.amdhsa_system_sgpr_private_segment_wavefront_offset 0
		.amdhsa_system_sgpr_workgroup_id_x 1
		.amdhsa_system_sgpr_workgroup_id_y 0
		.amdhsa_system_sgpr_workgroup_id_z 0
		.amdhsa_system_sgpr_workgroup_info 0
		.amdhsa_system_vgpr_workitem_id 0
		.amdhsa_next_free_vgpr 12
		.amdhsa_next_free_sgpr 20
		.amdhsa_reserve_vcc 1
		.amdhsa_reserve_flat_scratch 0
		.amdhsa_float_round_mode_32 0
		.amdhsa_float_round_mode_16_64 0
		.amdhsa_float_denorm_mode_32 3
		.amdhsa_float_denorm_mode_16_64 3
		.amdhsa_dx10_clamp 1
		.amdhsa_ieee_mode 1
		.amdhsa_fp16_overflow 0
		.amdhsa_workgroup_processor_mode 1
		.amdhsa_memory_ordered 1
		.amdhsa_forward_progress 1
		.amdhsa_shared_vgpr_count 0
		.amdhsa_exception_fp_ieee_invalid_op 0
		.amdhsa_exception_fp_denorm_src 0
		.amdhsa_exception_fp_ieee_div_zero 0
		.amdhsa_exception_fp_ieee_overflow 0
		.amdhsa_exception_fp_ieee_underflow 0
		.amdhsa_exception_fp_ieee_inexact 0
		.amdhsa_exception_int_div_zero 0
	.end_amdhsa_kernel
	.section	.text._ZN7rocprim17ROCPRIM_400000_NS6detail17trampoline_kernelINS0_14default_configENS1_22reduce_config_selectorIN6thrust23THRUST_200600_302600_NS5tupleIblNS6_9null_typeES8_S8_S8_S8_S8_S8_S8_EEEEZNS1_11reduce_implILb1ES3_PS9_SC_S9_NS6_11hip_rocprim9__find_if7functorIS9_EEEE10hipError_tPvRmT1_T2_T3_mT4_P12ihipStream_tbEUlT_E0_NS1_11comp_targetILNS1_3genE8ELNS1_11target_archE1030ELNS1_3gpuE2ELNS1_3repE0EEENS1_30default_config_static_selectorELNS0_4arch9wavefront6targetE0EEEvSK_,"axG",@progbits,_ZN7rocprim17ROCPRIM_400000_NS6detail17trampoline_kernelINS0_14default_configENS1_22reduce_config_selectorIN6thrust23THRUST_200600_302600_NS5tupleIblNS6_9null_typeES8_S8_S8_S8_S8_S8_S8_EEEEZNS1_11reduce_implILb1ES3_PS9_SC_S9_NS6_11hip_rocprim9__find_if7functorIS9_EEEE10hipError_tPvRmT1_T2_T3_mT4_P12ihipStream_tbEUlT_E0_NS1_11comp_targetILNS1_3genE8ELNS1_11target_archE1030ELNS1_3gpuE2ELNS1_3repE0EEENS1_30default_config_static_selectorELNS0_4arch9wavefront6targetE0EEEvSK_,comdat
.Lfunc_end27:
	.size	_ZN7rocprim17ROCPRIM_400000_NS6detail17trampoline_kernelINS0_14default_configENS1_22reduce_config_selectorIN6thrust23THRUST_200600_302600_NS5tupleIblNS6_9null_typeES8_S8_S8_S8_S8_S8_S8_EEEEZNS1_11reduce_implILb1ES3_PS9_SC_S9_NS6_11hip_rocprim9__find_if7functorIS9_EEEE10hipError_tPvRmT1_T2_T3_mT4_P12ihipStream_tbEUlT_E0_NS1_11comp_targetILNS1_3genE8ELNS1_11target_archE1030ELNS1_3gpuE2ELNS1_3repE0EEENS1_30default_config_static_selectorELNS0_4arch9wavefront6targetE0EEEvSK_, .Lfunc_end27-_ZN7rocprim17ROCPRIM_400000_NS6detail17trampoline_kernelINS0_14default_configENS1_22reduce_config_selectorIN6thrust23THRUST_200600_302600_NS5tupleIblNS6_9null_typeES8_S8_S8_S8_S8_S8_S8_EEEEZNS1_11reduce_implILb1ES3_PS9_SC_S9_NS6_11hip_rocprim9__find_if7functorIS9_EEEE10hipError_tPvRmT1_T2_T3_mT4_P12ihipStream_tbEUlT_E0_NS1_11comp_targetILNS1_3genE8ELNS1_11target_archE1030ELNS1_3gpuE2ELNS1_3repE0EEENS1_30default_config_static_selectorELNS0_4arch9wavefront6targetE0EEEvSK_
                                        ; -- End function
	.set _ZN7rocprim17ROCPRIM_400000_NS6detail17trampoline_kernelINS0_14default_configENS1_22reduce_config_selectorIN6thrust23THRUST_200600_302600_NS5tupleIblNS6_9null_typeES8_S8_S8_S8_S8_S8_S8_EEEEZNS1_11reduce_implILb1ES3_PS9_SC_S9_NS6_11hip_rocprim9__find_if7functorIS9_EEEE10hipError_tPvRmT1_T2_T3_mT4_P12ihipStream_tbEUlT_E0_NS1_11comp_targetILNS1_3genE8ELNS1_11target_archE1030ELNS1_3gpuE2ELNS1_3repE0EEENS1_30default_config_static_selectorELNS0_4arch9wavefront6targetE0EEEvSK_.num_vgpr, 12
	.set _ZN7rocprim17ROCPRIM_400000_NS6detail17trampoline_kernelINS0_14default_configENS1_22reduce_config_selectorIN6thrust23THRUST_200600_302600_NS5tupleIblNS6_9null_typeES8_S8_S8_S8_S8_S8_S8_EEEEZNS1_11reduce_implILb1ES3_PS9_SC_S9_NS6_11hip_rocprim9__find_if7functorIS9_EEEE10hipError_tPvRmT1_T2_T3_mT4_P12ihipStream_tbEUlT_E0_NS1_11comp_targetILNS1_3genE8ELNS1_11target_archE1030ELNS1_3gpuE2ELNS1_3repE0EEENS1_30default_config_static_selectorELNS0_4arch9wavefront6targetE0EEEvSK_.num_agpr, 0
	.set _ZN7rocprim17ROCPRIM_400000_NS6detail17trampoline_kernelINS0_14default_configENS1_22reduce_config_selectorIN6thrust23THRUST_200600_302600_NS5tupleIblNS6_9null_typeES8_S8_S8_S8_S8_S8_S8_EEEEZNS1_11reduce_implILb1ES3_PS9_SC_S9_NS6_11hip_rocprim9__find_if7functorIS9_EEEE10hipError_tPvRmT1_T2_T3_mT4_P12ihipStream_tbEUlT_E0_NS1_11comp_targetILNS1_3genE8ELNS1_11target_archE1030ELNS1_3gpuE2ELNS1_3repE0EEENS1_30default_config_static_selectorELNS0_4arch9wavefront6targetE0EEEvSK_.numbered_sgpr, 20
	.set _ZN7rocprim17ROCPRIM_400000_NS6detail17trampoline_kernelINS0_14default_configENS1_22reduce_config_selectorIN6thrust23THRUST_200600_302600_NS5tupleIblNS6_9null_typeES8_S8_S8_S8_S8_S8_S8_EEEEZNS1_11reduce_implILb1ES3_PS9_SC_S9_NS6_11hip_rocprim9__find_if7functorIS9_EEEE10hipError_tPvRmT1_T2_T3_mT4_P12ihipStream_tbEUlT_E0_NS1_11comp_targetILNS1_3genE8ELNS1_11target_archE1030ELNS1_3gpuE2ELNS1_3repE0EEENS1_30default_config_static_selectorELNS0_4arch9wavefront6targetE0EEEvSK_.num_named_barrier, 0
	.set _ZN7rocprim17ROCPRIM_400000_NS6detail17trampoline_kernelINS0_14default_configENS1_22reduce_config_selectorIN6thrust23THRUST_200600_302600_NS5tupleIblNS6_9null_typeES8_S8_S8_S8_S8_S8_S8_EEEEZNS1_11reduce_implILb1ES3_PS9_SC_S9_NS6_11hip_rocprim9__find_if7functorIS9_EEEE10hipError_tPvRmT1_T2_T3_mT4_P12ihipStream_tbEUlT_E0_NS1_11comp_targetILNS1_3genE8ELNS1_11target_archE1030ELNS1_3gpuE2ELNS1_3repE0EEENS1_30default_config_static_selectorELNS0_4arch9wavefront6targetE0EEEvSK_.private_seg_size, 0
	.set _ZN7rocprim17ROCPRIM_400000_NS6detail17trampoline_kernelINS0_14default_configENS1_22reduce_config_selectorIN6thrust23THRUST_200600_302600_NS5tupleIblNS6_9null_typeES8_S8_S8_S8_S8_S8_S8_EEEEZNS1_11reduce_implILb1ES3_PS9_SC_S9_NS6_11hip_rocprim9__find_if7functorIS9_EEEE10hipError_tPvRmT1_T2_T3_mT4_P12ihipStream_tbEUlT_E0_NS1_11comp_targetILNS1_3genE8ELNS1_11target_archE1030ELNS1_3gpuE2ELNS1_3repE0EEENS1_30default_config_static_selectorELNS0_4arch9wavefront6targetE0EEEvSK_.uses_vcc, 1
	.set _ZN7rocprim17ROCPRIM_400000_NS6detail17trampoline_kernelINS0_14default_configENS1_22reduce_config_selectorIN6thrust23THRUST_200600_302600_NS5tupleIblNS6_9null_typeES8_S8_S8_S8_S8_S8_S8_EEEEZNS1_11reduce_implILb1ES3_PS9_SC_S9_NS6_11hip_rocprim9__find_if7functorIS9_EEEE10hipError_tPvRmT1_T2_T3_mT4_P12ihipStream_tbEUlT_E0_NS1_11comp_targetILNS1_3genE8ELNS1_11target_archE1030ELNS1_3gpuE2ELNS1_3repE0EEENS1_30default_config_static_selectorELNS0_4arch9wavefront6targetE0EEEvSK_.uses_flat_scratch, 0
	.set _ZN7rocprim17ROCPRIM_400000_NS6detail17trampoline_kernelINS0_14default_configENS1_22reduce_config_selectorIN6thrust23THRUST_200600_302600_NS5tupleIblNS6_9null_typeES8_S8_S8_S8_S8_S8_S8_EEEEZNS1_11reduce_implILb1ES3_PS9_SC_S9_NS6_11hip_rocprim9__find_if7functorIS9_EEEE10hipError_tPvRmT1_T2_T3_mT4_P12ihipStream_tbEUlT_E0_NS1_11comp_targetILNS1_3genE8ELNS1_11target_archE1030ELNS1_3gpuE2ELNS1_3repE0EEENS1_30default_config_static_selectorELNS0_4arch9wavefront6targetE0EEEvSK_.has_dyn_sized_stack, 0
	.set _ZN7rocprim17ROCPRIM_400000_NS6detail17trampoline_kernelINS0_14default_configENS1_22reduce_config_selectorIN6thrust23THRUST_200600_302600_NS5tupleIblNS6_9null_typeES8_S8_S8_S8_S8_S8_S8_EEEEZNS1_11reduce_implILb1ES3_PS9_SC_S9_NS6_11hip_rocprim9__find_if7functorIS9_EEEE10hipError_tPvRmT1_T2_T3_mT4_P12ihipStream_tbEUlT_E0_NS1_11comp_targetILNS1_3genE8ELNS1_11target_archE1030ELNS1_3gpuE2ELNS1_3repE0EEENS1_30default_config_static_selectorELNS0_4arch9wavefront6targetE0EEEvSK_.has_recursion, 0
	.set _ZN7rocprim17ROCPRIM_400000_NS6detail17trampoline_kernelINS0_14default_configENS1_22reduce_config_selectorIN6thrust23THRUST_200600_302600_NS5tupleIblNS6_9null_typeES8_S8_S8_S8_S8_S8_S8_EEEEZNS1_11reduce_implILb1ES3_PS9_SC_S9_NS6_11hip_rocprim9__find_if7functorIS9_EEEE10hipError_tPvRmT1_T2_T3_mT4_P12ihipStream_tbEUlT_E0_NS1_11comp_targetILNS1_3genE8ELNS1_11target_archE1030ELNS1_3gpuE2ELNS1_3repE0EEENS1_30default_config_static_selectorELNS0_4arch9wavefront6targetE0EEEvSK_.has_indirect_call, 0
	.section	.AMDGPU.csdata,"",@progbits
; Kernel info:
; codeLenInByte = 3124
; TotalNumSgprs: 22
; NumVgprs: 12
; ScratchSize: 0
; MemoryBound: 0
; FloatMode: 240
; IeeeMode: 1
; LDSByteSize: 256 bytes/workgroup (compile time only)
; SGPRBlocks: 0
; VGPRBlocks: 1
; NumSGPRsForWavesPerEU: 22
; NumVGPRsForWavesPerEU: 12
; Occupancy: 16
; WaveLimiterHint : 1
; COMPUTE_PGM_RSRC2:SCRATCH_EN: 0
; COMPUTE_PGM_RSRC2:USER_SGPR: 6
; COMPUTE_PGM_RSRC2:TRAP_HANDLER: 0
; COMPUTE_PGM_RSRC2:TGID_X_EN: 1
; COMPUTE_PGM_RSRC2:TGID_Y_EN: 0
; COMPUTE_PGM_RSRC2:TGID_Z_EN: 0
; COMPUTE_PGM_RSRC2:TIDIG_COMP_CNT: 0
	.section	.text._ZN7rocprim17ROCPRIM_400000_NS6detail17trampoline_kernelINS0_14default_configENS1_22reduce_config_selectorIN6thrust23THRUST_200600_302600_NS5tupleIblNS6_9null_typeES8_S8_S8_S8_S8_S8_S8_EEEEZNS1_11reduce_implILb1ES3_PS9_SC_S9_NS6_11hip_rocprim9__find_if7functorIS9_EEEE10hipError_tPvRmT1_T2_T3_mT4_P12ihipStream_tbEUlT_E1_NS1_11comp_targetILNS1_3genE0ELNS1_11target_archE4294967295ELNS1_3gpuE0ELNS1_3repE0EEENS1_30default_config_static_selectorELNS0_4arch9wavefront6targetE0EEEvSK_,"axG",@progbits,_ZN7rocprim17ROCPRIM_400000_NS6detail17trampoline_kernelINS0_14default_configENS1_22reduce_config_selectorIN6thrust23THRUST_200600_302600_NS5tupleIblNS6_9null_typeES8_S8_S8_S8_S8_S8_S8_EEEEZNS1_11reduce_implILb1ES3_PS9_SC_S9_NS6_11hip_rocprim9__find_if7functorIS9_EEEE10hipError_tPvRmT1_T2_T3_mT4_P12ihipStream_tbEUlT_E1_NS1_11comp_targetILNS1_3genE0ELNS1_11target_archE4294967295ELNS1_3gpuE0ELNS1_3repE0EEENS1_30default_config_static_selectorELNS0_4arch9wavefront6targetE0EEEvSK_,comdat
	.protected	_ZN7rocprim17ROCPRIM_400000_NS6detail17trampoline_kernelINS0_14default_configENS1_22reduce_config_selectorIN6thrust23THRUST_200600_302600_NS5tupleIblNS6_9null_typeES8_S8_S8_S8_S8_S8_S8_EEEEZNS1_11reduce_implILb1ES3_PS9_SC_S9_NS6_11hip_rocprim9__find_if7functorIS9_EEEE10hipError_tPvRmT1_T2_T3_mT4_P12ihipStream_tbEUlT_E1_NS1_11comp_targetILNS1_3genE0ELNS1_11target_archE4294967295ELNS1_3gpuE0ELNS1_3repE0EEENS1_30default_config_static_selectorELNS0_4arch9wavefront6targetE0EEEvSK_ ; -- Begin function _ZN7rocprim17ROCPRIM_400000_NS6detail17trampoline_kernelINS0_14default_configENS1_22reduce_config_selectorIN6thrust23THRUST_200600_302600_NS5tupleIblNS6_9null_typeES8_S8_S8_S8_S8_S8_S8_EEEEZNS1_11reduce_implILb1ES3_PS9_SC_S9_NS6_11hip_rocprim9__find_if7functorIS9_EEEE10hipError_tPvRmT1_T2_T3_mT4_P12ihipStream_tbEUlT_E1_NS1_11comp_targetILNS1_3genE0ELNS1_11target_archE4294967295ELNS1_3gpuE0ELNS1_3repE0EEENS1_30default_config_static_selectorELNS0_4arch9wavefront6targetE0EEEvSK_
	.globl	_ZN7rocprim17ROCPRIM_400000_NS6detail17trampoline_kernelINS0_14default_configENS1_22reduce_config_selectorIN6thrust23THRUST_200600_302600_NS5tupleIblNS6_9null_typeES8_S8_S8_S8_S8_S8_S8_EEEEZNS1_11reduce_implILb1ES3_PS9_SC_S9_NS6_11hip_rocprim9__find_if7functorIS9_EEEE10hipError_tPvRmT1_T2_T3_mT4_P12ihipStream_tbEUlT_E1_NS1_11comp_targetILNS1_3genE0ELNS1_11target_archE4294967295ELNS1_3gpuE0ELNS1_3repE0EEENS1_30default_config_static_selectorELNS0_4arch9wavefront6targetE0EEEvSK_
	.p2align	8
	.type	_ZN7rocprim17ROCPRIM_400000_NS6detail17trampoline_kernelINS0_14default_configENS1_22reduce_config_selectorIN6thrust23THRUST_200600_302600_NS5tupleIblNS6_9null_typeES8_S8_S8_S8_S8_S8_S8_EEEEZNS1_11reduce_implILb1ES3_PS9_SC_S9_NS6_11hip_rocprim9__find_if7functorIS9_EEEE10hipError_tPvRmT1_T2_T3_mT4_P12ihipStream_tbEUlT_E1_NS1_11comp_targetILNS1_3genE0ELNS1_11target_archE4294967295ELNS1_3gpuE0ELNS1_3repE0EEENS1_30default_config_static_selectorELNS0_4arch9wavefront6targetE0EEEvSK_,@function
_ZN7rocprim17ROCPRIM_400000_NS6detail17trampoline_kernelINS0_14default_configENS1_22reduce_config_selectorIN6thrust23THRUST_200600_302600_NS5tupleIblNS6_9null_typeES8_S8_S8_S8_S8_S8_S8_EEEEZNS1_11reduce_implILb1ES3_PS9_SC_S9_NS6_11hip_rocprim9__find_if7functorIS9_EEEE10hipError_tPvRmT1_T2_T3_mT4_P12ihipStream_tbEUlT_E1_NS1_11comp_targetILNS1_3genE0ELNS1_11target_archE4294967295ELNS1_3gpuE0ELNS1_3repE0EEENS1_30default_config_static_selectorELNS0_4arch9wavefront6targetE0EEEvSK_: ; @_ZN7rocprim17ROCPRIM_400000_NS6detail17trampoline_kernelINS0_14default_configENS1_22reduce_config_selectorIN6thrust23THRUST_200600_302600_NS5tupleIblNS6_9null_typeES8_S8_S8_S8_S8_S8_S8_EEEEZNS1_11reduce_implILb1ES3_PS9_SC_S9_NS6_11hip_rocprim9__find_if7functorIS9_EEEE10hipError_tPvRmT1_T2_T3_mT4_P12ihipStream_tbEUlT_E1_NS1_11comp_targetILNS1_3genE0ELNS1_11target_archE4294967295ELNS1_3gpuE0ELNS1_3repE0EEENS1_30default_config_static_selectorELNS0_4arch9wavefront6targetE0EEEvSK_
; %bb.0:
	.section	.rodata,"a",@progbits
	.p2align	6, 0x0
	.amdhsa_kernel _ZN7rocprim17ROCPRIM_400000_NS6detail17trampoline_kernelINS0_14default_configENS1_22reduce_config_selectorIN6thrust23THRUST_200600_302600_NS5tupleIblNS6_9null_typeES8_S8_S8_S8_S8_S8_S8_EEEEZNS1_11reduce_implILb1ES3_PS9_SC_S9_NS6_11hip_rocprim9__find_if7functorIS9_EEEE10hipError_tPvRmT1_T2_T3_mT4_P12ihipStream_tbEUlT_E1_NS1_11comp_targetILNS1_3genE0ELNS1_11target_archE4294967295ELNS1_3gpuE0ELNS1_3repE0EEENS1_30default_config_static_selectorELNS0_4arch9wavefront6targetE0EEEvSK_
		.amdhsa_group_segment_fixed_size 0
		.amdhsa_private_segment_fixed_size 0
		.amdhsa_kernarg_size 56
		.amdhsa_user_sgpr_count 6
		.amdhsa_user_sgpr_private_segment_buffer 1
		.amdhsa_user_sgpr_dispatch_ptr 0
		.amdhsa_user_sgpr_queue_ptr 0
		.amdhsa_user_sgpr_kernarg_segment_ptr 1
		.amdhsa_user_sgpr_dispatch_id 0
		.amdhsa_user_sgpr_flat_scratch_init 0
		.amdhsa_user_sgpr_private_segment_size 0
		.amdhsa_wavefront_size32 1
		.amdhsa_uses_dynamic_stack 0
		.amdhsa_system_sgpr_private_segment_wavefront_offset 0
		.amdhsa_system_sgpr_workgroup_id_x 1
		.amdhsa_system_sgpr_workgroup_id_y 0
		.amdhsa_system_sgpr_workgroup_id_z 0
		.amdhsa_system_sgpr_workgroup_info 0
		.amdhsa_system_vgpr_workitem_id 0
		.amdhsa_next_free_vgpr 1
		.amdhsa_next_free_sgpr 1
		.amdhsa_reserve_vcc 0
		.amdhsa_reserve_flat_scratch 0
		.amdhsa_float_round_mode_32 0
		.amdhsa_float_round_mode_16_64 0
		.amdhsa_float_denorm_mode_32 3
		.amdhsa_float_denorm_mode_16_64 3
		.amdhsa_dx10_clamp 1
		.amdhsa_ieee_mode 1
		.amdhsa_fp16_overflow 0
		.amdhsa_workgroup_processor_mode 1
		.amdhsa_memory_ordered 1
		.amdhsa_forward_progress 1
		.amdhsa_shared_vgpr_count 0
		.amdhsa_exception_fp_ieee_invalid_op 0
		.amdhsa_exception_fp_denorm_src 0
		.amdhsa_exception_fp_ieee_div_zero 0
		.amdhsa_exception_fp_ieee_overflow 0
		.amdhsa_exception_fp_ieee_underflow 0
		.amdhsa_exception_fp_ieee_inexact 0
		.amdhsa_exception_int_div_zero 0
	.end_amdhsa_kernel
	.section	.text._ZN7rocprim17ROCPRIM_400000_NS6detail17trampoline_kernelINS0_14default_configENS1_22reduce_config_selectorIN6thrust23THRUST_200600_302600_NS5tupleIblNS6_9null_typeES8_S8_S8_S8_S8_S8_S8_EEEEZNS1_11reduce_implILb1ES3_PS9_SC_S9_NS6_11hip_rocprim9__find_if7functorIS9_EEEE10hipError_tPvRmT1_T2_T3_mT4_P12ihipStream_tbEUlT_E1_NS1_11comp_targetILNS1_3genE0ELNS1_11target_archE4294967295ELNS1_3gpuE0ELNS1_3repE0EEENS1_30default_config_static_selectorELNS0_4arch9wavefront6targetE0EEEvSK_,"axG",@progbits,_ZN7rocprim17ROCPRIM_400000_NS6detail17trampoline_kernelINS0_14default_configENS1_22reduce_config_selectorIN6thrust23THRUST_200600_302600_NS5tupleIblNS6_9null_typeES8_S8_S8_S8_S8_S8_S8_EEEEZNS1_11reduce_implILb1ES3_PS9_SC_S9_NS6_11hip_rocprim9__find_if7functorIS9_EEEE10hipError_tPvRmT1_T2_T3_mT4_P12ihipStream_tbEUlT_E1_NS1_11comp_targetILNS1_3genE0ELNS1_11target_archE4294967295ELNS1_3gpuE0ELNS1_3repE0EEENS1_30default_config_static_selectorELNS0_4arch9wavefront6targetE0EEEvSK_,comdat
.Lfunc_end28:
	.size	_ZN7rocprim17ROCPRIM_400000_NS6detail17trampoline_kernelINS0_14default_configENS1_22reduce_config_selectorIN6thrust23THRUST_200600_302600_NS5tupleIblNS6_9null_typeES8_S8_S8_S8_S8_S8_S8_EEEEZNS1_11reduce_implILb1ES3_PS9_SC_S9_NS6_11hip_rocprim9__find_if7functorIS9_EEEE10hipError_tPvRmT1_T2_T3_mT4_P12ihipStream_tbEUlT_E1_NS1_11comp_targetILNS1_3genE0ELNS1_11target_archE4294967295ELNS1_3gpuE0ELNS1_3repE0EEENS1_30default_config_static_selectorELNS0_4arch9wavefront6targetE0EEEvSK_, .Lfunc_end28-_ZN7rocprim17ROCPRIM_400000_NS6detail17trampoline_kernelINS0_14default_configENS1_22reduce_config_selectorIN6thrust23THRUST_200600_302600_NS5tupleIblNS6_9null_typeES8_S8_S8_S8_S8_S8_S8_EEEEZNS1_11reduce_implILb1ES3_PS9_SC_S9_NS6_11hip_rocprim9__find_if7functorIS9_EEEE10hipError_tPvRmT1_T2_T3_mT4_P12ihipStream_tbEUlT_E1_NS1_11comp_targetILNS1_3genE0ELNS1_11target_archE4294967295ELNS1_3gpuE0ELNS1_3repE0EEENS1_30default_config_static_selectorELNS0_4arch9wavefront6targetE0EEEvSK_
                                        ; -- End function
	.set _ZN7rocprim17ROCPRIM_400000_NS6detail17trampoline_kernelINS0_14default_configENS1_22reduce_config_selectorIN6thrust23THRUST_200600_302600_NS5tupleIblNS6_9null_typeES8_S8_S8_S8_S8_S8_S8_EEEEZNS1_11reduce_implILb1ES3_PS9_SC_S9_NS6_11hip_rocprim9__find_if7functorIS9_EEEE10hipError_tPvRmT1_T2_T3_mT4_P12ihipStream_tbEUlT_E1_NS1_11comp_targetILNS1_3genE0ELNS1_11target_archE4294967295ELNS1_3gpuE0ELNS1_3repE0EEENS1_30default_config_static_selectorELNS0_4arch9wavefront6targetE0EEEvSK_.num_vgpr, 0
	.set _ZN7rocprim17ROCPRIM_400000_NS6detail17trampoline_kernelINS0_14default_configENS1_22reduce_config_selectorIN6thrust23THRUST_200600_302600_NS5tupleIblNS6_9null_typeES8_S8_S8_S8_S8_S8_S8_EEEEZNS1_11reduce_implILb1ES3_PS9_SC_S9_NS6_11hip_rocprim9__find_if7functorIS9_EEEE10hipError_tPvRmT1_T2_T3_mT4_P12ihipStream_tbEUlT_E1_NS1_11comp_targetILNS1_3genE0ELNS1_11target_archE4294967295ELNS1_3gpuE0ELNS1_3repE0EEENS1_30default_config_static_selectorELNS0_4arch9wavefront6targetE0EEEvSK_.num_agpr, 0
	.set _ZN7rocprim17ROCPRIM_400000_NS6detail17trampoline_kernelINS0_14default_configENS1_22reduce_config_selectorIN6thrust23THRUST_200600_302600_NS5tupleIblNS6_9null_typeES8_S8_S8_S8_S8_S8_S8_EEEEZNS1_11reduce_implILb1ES3_PS9_SC_S9_NS6_11hip_rocprim9__find_if7functorIS9_EEEE10hipError_tPvRmT1_T2_T3_mT4_P12ihipStream_tbEUlT_E1_NS1_11comp_targetILNS1_3genE0ELNS1_11target_archE4294967295ELNS1_3gpuE0ELNS1_3repE0EEENS1_30default_config_static_selectorELNS0_4arch9wavefront6targetE0EEEvSK_.numbered_sgpr, 0
	.set _ZN7rocprim17ROCPRIM_400000_NS6detail17trampoline_kernelINS0_14default_configENS1_22reduce_config_selectorIN6thrust23THRUST_200600_302600_NS5tupleIblNS6_9null_typeES8_S8_S8_S8_S8_S8_S8_EEEEZNS1_11reduce_implILb1ES3_PS9_SC_S9_NS6_11hip_rocprim9__find_if7functorIS9_EEEE10hipError_tPvRmT1_T2_T3_mT4_P12ihipStream_tbEUlT_E1_NS1_11comp_targetILNS1_3genE0ELNS1_11target_archE4294967295ELNS1_3gpuE0ELNS1_3repE0EEENS1_30default_config_static_selectorELNS0_4arch9wavefront6targetE0EEEvSK_.num_named_barrier, 0
	.set _ZN7rocprim17ROCPRIM_400000_NS6detail17trampoline_kernelINS0_14default_configENS1_22reduce_config_selectorIN6thrust23THRUST_200600_302600_NS5tupleIblNS6_9null_typeES8_S8_S8_S8_S8_S8_S8_EEEEZNS1_11reduce_implILb1ES3_PS9_SC_S9_NS6_11hip_rocprim9__find_if7functorIS9_EEEE10hipError_tPvRmT1_T2_T3_mT4_P12ihipStream_tbEUlT_E1_NS1_11comp_targetILNS1_3genE0ELNS1_11target_archE4294967295ELNS1_3gpuE0ELNS1_3repE0EEENS1_30default_config_static_selectorELNS0_4arch9wavefront6targetE0EEEvSK_.private_seg_size, 0
	.set _ZN7rocprim17ROCPRIM_400000_NS6detail17trampoline_kernelINS0_14default_configENS1_22reduce_config_selectorIN6thrust23THRUST_200600_302600_NS5tupleIblNS6_9null_typeES8_S8_S8_S8_S8_S8_S8_EEEEZNS1_11reduce_implILb1ES3_PS9_SC_S9_NS6_11hip_rocprim9__find_if7functorIS9_EEEE10hipError_tPvRmT1_T2_T3_mT4_P12ihipStream_tbEUlT_E1_NS1_11comp_targetILNS1_3genE0ELNS1_11target_archE4294967295ELNS1_3gpuE0ELNS1_3repE0EEENS1_30default_config_static_selectorELNS0_4arch9wavefront6targetE0EEEvSK_.uses_vcc, 0
	.set _ZN7rocprim17ROCPRIM_400000_NS6detail17trampoline_kernelINS0_14default_configENS1_22reduce_config_selectorIN6thrust23THRUST_200600_302600_NS5tupleIblNS6_9null_typeES8_S8_S8_S8_S8_S8_S8_EEEEZNS1_11reduce_implILb1ES3_PS9_SC_S9_NS6_11hip_rocprim9__find_if7functorIS9_EEEE10hipError_tPvRmT1_T2_T3_mT4_P12ihipStream_tbEUlT_E1_NS1_11comp_targetILNS1_3genE0ELNS1_11target_archE4294967295ELNS1_3gpuE0ELNS1_3repE0EEENS1_30default_config_static_selectorELNS0_4arch9wavefront6targetE0EEEvSK_.uses_flat_scratch, 0
	.set _ZN7rocprim17ROCPRIM_400000_NS6detail17trampoline_kernelINS0_14default_configENS1_22reduce_config_selectorIN6thrust23THRUST_200600_302600_NS5tupleIblNS6_9null_typeES8_S8_S8_S8_S8_S8_S8_EEEEZNS1_11reduce_implILb1ES3_PS9_SC_S9_NS6_11hip_rocprim9__find_if7functorIS9_EEEE10hipError_tPvRmT1_T2_T3_mT4_P12ihipStream_tbEUlT_E1_NS1_11comp_targetILNS1_3genE0ELNS1_11target_archE4294967295ELNS1_3gpuE0ELNS1_3repE0EEENS1_30default_config_static_selectorELNS0_4arch9wavefront6targetE0EEEvSK_.has_dyn_sized_stack, 0
	.set _ZN7rocprim17ROCPRIM_400000_NS6detail17trampoline_kernelINS0_14default_configENS1_22reduce_config_selectorIN6thrust23THRUST_200600_302600_NS5tupleIblNS6_9null_typeES8_S8_S8_S8_S8_S8_S8_EEEEZNS1_11reduce_implILb1ES3_PS9_SC_S9_NS6_11hip_rocprim9__find_if7functorIS9_EEEE10hipError_tPvRmT1_T2_T3_mT4_P12ihipStream_tbEUlT_E1_NS1_11comp_targetILNS1_3genE0ELNS1_11target_archE4294967295ELNS1_3gpuE0ELNS1_3repE0EEENS1_30default_config_static_selectorELNS0_4arch9wavefront6targetE0EEEvSK_.has_recursion, 0
	.set _ZN7rocprim17ROCPRIM_400000_NS6detail17trampoline_kernelINS0_14default_configENS1_22reduce_config_selectorIN6thrust23THRUST_200600_302600_NS5tupleIblNS6_9null_typeES8_S8_S8_S8_S8_S8_S8_EEEEZNS1_11reduce_implILb1ES3_PS9_SC_S9_NS6_11hip_rocprim9__find_if7functorIS9_EEEE10hipError_tPvRmT1_T2_T3_mT4_P12ihipStream_tbEUlT_E1_NS1_11comp_targetILNS1_3genE0ELNS1_11target_archE4294967295ELNS1_3gpuE0ELNS1_3repE0EEENS1_30default_config_static_selectorELNS0_4arch9wavefront6targetE0EEEvSK_.has_indirect_call, 0
	.section	.AMDGPU.csdata,"",@progbits
; Kernel info:
; codeLenInByte = 0
; TotalNumSgprs: 0
; NumVgprs: 0
; ScratchSize: 0
; MemoryBound: 0
; FloatMode: 240
; IeeeMode: 1
; LDSByteSize: 0 bytes/workgroup (compile time only)
; SGPRBlocks: 0
; VGPRBlocks: 0
; NumSGPRsForWavesPerEU: 1
; NumVGPRsForWavesPerEU: 1
; Occupancy: 16
; WaveLimiterHint : 0
; COMPUTE_PGM_RSRC2:SCRATCH_EN: 0
; COMPUTE_PGM_RSRC2:USER_SGPR: 6
; COMPUTE_PGM_RSRC2:TRAP_HANDLER: 0
; COMPUTE_PGM_RSRC2:TGID_X_EN: 1
; COMPUTE_PGM_RSRC2:TGID_Y_EN: 0
; COMPUTE_PGM_RSRC2:TGID_Z_EN: 0
; COMPUTE_PGM_RSRC2:TIDIG_COMP_CNT: 0
	.section	.text._ZN7rocprim17ROCPRIM_400000_NS6detail17trampoline_kernelINS0_14default_configENS1_22reduce_config_selectorIN6thrust23THRUST_200600_302600_NS5tupleIblNS6_9null_typeES8_S8_S8_S8_S8_S8_S8_EEEEZNS1_11reduce_implILb1ES3_PS9_SC_S9_NS6_11hip_rocprim9__find_if7functorIS9_EEEE10hipError_tPvRmT1_T2_T3_mT4_P12ihipStream_tbEUlT_E1_NS1_11comp_targetILNS1_3genE5ELNS1_11target_archE942ELNS1_3gpuE9ELNS1_3repE0EEENS1_30default_config_static_selectorELNS0_4arch9wavefront6targetE0EEEvSK_,"axG",@progbits,_ZN7rocprim17ROCPRIM_400000_NS6detail17trampoline_kernelINS0_14default_configENS1_22reduce_config_selectorIN6thrust23THRUST_200600_302600_NS5tupleIblNS6_9null_typeES8_S8_S8_S8_S8_S8_S8_EEEEZNS1_11reduce_implILb1ES3_PS9_SC_S9_NS6_11hip_rocprim9__find_if7functorIS9_EEEE10hipError_tPvRmT1_T2_T3_mT4_P12ihipStream_tbEUlT_E1_NS1_11comp_targetILNS1_3genE5ELNS1_11target_archE942ELNS1_3gpuE9ELNS1_3repE0EEENS1_30default_config_static_selectorELNS0_4arch9wavefront6targetE0EEEvSK_,comdat
	.protected	_ZN7rocprim17ROCPRIM_400000_NS6detail17trampoline_kernelINS0_14default_configENS1_22reduce_config_selectorIN6thrust23THRUST_200600_302600_NS5tupleIblNS6_9null_typeES8_S8_S8_S8_S8_S8_S8_EEEEZNS1_11reduce_implILb1ES3_PS9_SC_S9_NS6_11hip_rocprim9__find_if7functorIS9_EEEE10hipError_tPvRmT1_T2_T3_mT4_P12ihipStream_tbEUlT_E1_NS1_11comp_targetILNS1_3genE5ELNS1_11target_archE942ELNS1_3gpuE9ELNS1_3repE0EEENS1_30default_config_static_selectorELNS0_4arch9wavefront6targetE0EEEvSK_ ; -- Begin function _ZN7rocprim17ROCPRIM_400000_NS6detail17trampoline_kernelINS0_14default_configENS1_22reduce_config_selectorIN6thrust23THRUST_200600_302600_NS5tupleIblNS6_9null_typeES8_S8_S8_S8_S8_S8_S8_EEEEZNS1_11reduce_implILb1ES3_PS9_SC_S9_NS6_11hip_rocprim9__find_if7functorIS9_EEEE10hipError_tPvRmT1_T2_T3_mT4_P12ihipStream_tbEUlT_E1_NS1_11comp_targetILNS1_3genE5ELNS1_11target_archE942ELNS1_3gpuE9ELNS1_3repE0EEENS1_30default_config_static_selectorELNS0_4arch9wavefront6targetE0EEEvSK_
	.globl	_ZN7rocprim17ROCPRIM_400000_NS6detail17trampoline_kernelINS0_14default_configENS1_22reduce_config_selectorIN6thrust23THRUST_200600_302600_NS5tupleIblNS6_9null_typeES8_S8_S8_S8_S8_S8_S8_EEEEZNS1_11reduce_implILb1ES3_PS9_SC_S9_NS6_11hip_rocprim9__find_if7functorIS9_EEEE10hipError_tPvRmT1_T2_T3_mT4_P12ihipStream_tbEUlT_E1_NS1_11comp_targetILNS1_3genE5ELNS1_11target_archE942ELNS1_3gpuE9ELNS1_3repE0EEENS1_30default_config_static_selectorELNS0_4arch9wavefront6targetE0EEEvSK_
	.p2align	8
	.type	_ZN7rocprim17ROCPRIM_400000_NS6detail17trampoline_kernelINS0_14default_configENS1_22reduce_config_selectorIN6thrust23THRUST_200600_302600_NS5tupleIblNS6_9null_typeES8_S8_S8_S8_S8_S8_S8_EEEEZNS1_11reduce_implILb1ES3_PS9_SC_S9_NS6_11hip_rocprim9__find_if7functorIS9_EEEE10hipError_tPvRmT1_T2_T3_mT4_P12ihipStream_tbEUlT_E1_NS1_11comp_targetILNS1_3genE5ELNS1_11target_archE942ELNS1_3gpuE9ELNS1_3repE0EEENS1_30default_config_static_selectorELNS0_4arch9wavefront6targetE0EEEvSK_,@function
_ZN7rocprim17ROCPRIM_400000_NS6detail17trampoline_kernelINS0_14default_configENS1_22reduce_config_selectorIN6thrust23THRUST_200600_302600_NS5tupleIblNS6_9null_typeES8_S8_S8_S8_S8_S8_S8_EEEEZNS1_11reduce_implILb1ES3_PS9_SC_S9_NS6_11hip_rocprim9__find_if7functorIS9_EEEE10hipError_tPvRmT1_T2_T3_mT4_P12ihipStream_tbEUlT_E1_NS1_11comp_targetILNS1_3genE5ELNS1_11target_archE942ELNS1_3gpuE9ELNS1_3repE0EEENS1_30default_config_static_selectorELNS0_4arch9wavefront6targetE0EEEvSK_: ; @_ZN7rocprim17ROCPRIM_400000_NS6detail17trampoline_kernelINS0_14default_configENS1_22reduce_config_selectorIN6thrust23THRUST_200600_302600_NS5tupleIblNS6_9null_typeES8_S8_S8_S8_S8_S8_S8_EEEEZNS1_11reduce_implILb1ES3_PS9_SC_S9_NS6_11hip_rocprim9__find_if7functorIS9_EEEE10hipError_tPvRmT1_T2_T3_mT4_P12ihipStream_tbEUlT_E1_NS1_11comp_targetILNS1_3genE5ELNS1_11target_archE942ELNS1_3gpuE9ELNS1_3repE0EEENS1_30default_config_static_selectorELNS0_4arch9wavefront6targetE0EEEvSK_
; %bb.0:
	.section	.rodata,"a",@progbits
	.p2align	6, 0x0
	.amdhsa_kernel _ZN7rocprim17ROCPRIM_400000_NS6detail17trampoline_kernelINS0_14default_configENS1_22reduce_config_selectorIN6thrust23THRUST_200600_302600_NS5tupleIblNS6_9null_typeES8_S8_S8_S8_S8_S8_S8_EEEEZNS1_11reduce_implILb1ES3_PS9_SC_S9_NS6_11hip_rocprim9__find_if7functorIS9_EEEE10hipError_tPvRmT1_T2_T3_mT4_P12ihipStream_tbEUlT_E1_NS1_11comp_targetILNS1_3genE5ELNS1_11target_archE942ELNS1_3gpuE9ELNS1_3repE0EEENS1_30default_config_static_selectorELNS0_4arch9wavefront6targetE0EEEvSK_
		.amdhsa_group_segment_fixed_size 0
		.amdhsa_private_segment_fixed_size 0
		.amdhsa_kernarg_size 56
		.amdhsa_user_sgpr_count 6
		.amdhsa_user_sgpr_private_segment_buffer 1
		.amdhsa_user_sgpr_dispatch_ptr 0
		.amdhsa_user_sgpr_queue_ptr 0
		.amdhsa_user_sgpr_kernarg_segment_ptr 1
		.amdhsa_user_sgpr_dispatch_id 0
		.amdhsa_user_sgpr_flat_scratch_init 0
		.amdhsa_user_sgpr_private_segment_size 0
		.amdhsa_wavefront_size32 1
		.amdhsa_uses_dynamic_stack 0
		.amdhsa_system_sgpr_private_segment_wavefront_offset 0
		.amdhsa_system_sgpr_workgroup_id_x 1
		.amdhsa_system_sgpr_workgroup_id_y 0
		.amdhsa_system_sgpr_workgroup_id_z 0
		.amdhsa_system_sgpr_workgroup_info 0
		.amdhsa_system_vgpr_workitem_id 0
		.amdhsa_next_free_vgpr 1
		.amdhsa_next_free_sgpr 1
		.amdhsa_reserve_vcc 0
		.amdhsa_reserve_flat_scratch 0
		.amdhsa_float_round_mode_32 0
		.amdhsa_float_round_mode_16_64 0
		.amdhsa_float_denorm_mode_32 3
		.amdhsa_float_denorm_mode_16_64 3
		.amdhsa_dx10_clamp 1
		.amdhsa_ieee_mode 1
		.amdhsa_fp16_overflow 0
		.amdhsa_workgroup_processor_mode 1
		.amdhsa_memory_ordered 1
		.amdhsa_forward_progress 1
		.amdhsa_shared_vgpr_count 0
		.amdhsa_exception_fp_ieee_invalid_op 0
		.amdhsa_exception_fp_denorm_src 0
		.amdhsa_exception_fp_ieee_div_zero 0
		.amdhsa_exception_fp_ieee_overflow 0
		.amdhsa_exception_fp_ieee_underflow 0
		.amdhsa_exception_fp_ieee_inexact 0
		.amdhsa_exception_int_div_zero 0
	.end_amdhsa_kernel
	.section	.text._ZN7rocprim17ROCPRIM_400000_NS6detail17trampoline_kernelINS0_14default_configENS1_22reduce_config_selectorIN6thrust23THRUST_200600_302600_NS5tupleIblNS6_9null_typeES8_S8_S8_S8_S8_S8_S8_EEEEZNS1_11reduce_implILb1ES3_PS9_SC_S9_NS6_11hip_rocprim9__find_if7functorIS9_EEEE10hipError_tPvRmT1_T2_T3_mT4_P12ihipStream_tbEUlT_E1_NS1_11comp_targetILNS1_3genE5ELNS1_11target_archE942ELNS1_3gpuE9ELNS1_3repE0EEENS1_30default_config_static_selectorELNS0_4arch9wavefront6targetE0EEEvSK_,"axG",@progbits,_ZN7rocprim17ROCPRIM_400000_NS6detail17trampoline_kernelINS0_14default_configENS1_22reduce_config_selectorIN6thrust23THRUST_200600_302600_NS5tupleIblNS6_9null_typeES8_S8_S8_S8_S8_S8_S8_EEEEZNS1_11reduce_implILb1ES3_PS9_SC_S9_NS6_11hip_rocprim9__find_if7functorIS9_EEEE10hipError_tPvRmT1_T2_T3_mT4_P12ihipStream_tbEUlT_E1_NS1_11comp_targetILNS1_3genE5ELNS1_11target_archE942ELNS1_3gpuE9ELNS1_3repE0EEENS1_30default_config_static_selectorELNS0_4arch9wavefront6targetE0EEEvSK_,comdat
.Lfunc_end29:
	.size	_ZN7rocprim17ROCPRIM_400000_NS6detail17trampoline_kernelINS0_14default_configENS1_22reduce_config_selectorIN6thrust23THRUST_200600_302600_NS5tupleIblNS6_9null_typeES8_S8_S8_S8_S8_S8_S8_EEEEZNS1_11reduce_implILb1ES3_PS9_SC_S9_NS6_11hip_rocprim9__find_if7functorIS9_EEEE10hipError_tPvRmT1_T2_T3_mT4_P12ihipStream_tbEUlT_E1_NS1_11comp_targetILNS1_3genE5ELNS1_11target_archE942ELNS1_3gpuE9ELNS1_3repE0EEENS1_30default_config_static_selectorELNS0_4arch9wavefront6targetE0EEEvSK_, .Lfunc_end29-_ZN7rocprim17ROCPRIM_400000_NS6detail17trampoline_kernelINS0_14default_configENS1_22reduce_config_selectorIN6thrust23THRUST_200600_302600_NS5tupleIblNS6_9null_typeES8_S8_S8_S8_S8_S8_S8_EEEEZNS1_11reduce_implILb1ES3_PS9_SC_S9_NS6_11hip_rocprim9__find_if7functorIS9_EEEE10hipError_tPvRmT1_T2_T3_mT4_P12ihipStream_tbEUlT_E1_NS1_11comp_targetILNS1_3genE5ELNS1_11target_archE942ELNS1_3gpuE9ELNS1_3repE0EEENS1_30default_config_static_selectorELNS0_4arch9wavefront6targetE0EEEvSK_
                                        ; -- End function
	.set _ZN7rocprim17ROCPRIM_400000_NS6detail17trampoline_kernelINS0_14default_configENS1_22reduce_config_selectorIN6thrust23THRUST_200600_302600_NS5tupleIblNS6_9null_typeES8_S8_S8_S8_S8_S8_S8_EEEEZNS1_11reduce_implILb1ES3_PS9_SC_S9_NS6_11hip_rocprim9__find_if7functorIS9_EEEE10hipError_tPvRmT1_T2_T3_mT4_P12ihipStream_tbEUlT_E1_NS1_11comp_targetILNS1_3genE5ELNS1_11target_archE942ELNS1_3gpuE9ELNS1_3repE0EEENS1_30default_config_static_selectorELNS0_4arch9wavefront6targetE0EEEvSK_.num_vgpr, 0
	.set _ZN7rocprim17ROCPRIM_400000_NS6detail17trampoline_kernelINS0_14default_configENS1_22reduce_config_selectorIN6thrust23THRUST_200600_302600_NS5tupleIblNS6_9null_typeES8_S8_S8_S8_S8_S8_S8_EEEEZNS1_11reduce_implILb1ES3_PS9_SC_S9_NS6_11hip_rocprim9__find_if7functorIS9_EEEE10hipError_tPvRmT1_T2_T3_mT4_P12ihipStream_tbEUlT_E1_NS1_11comp_targetILNS1_3genE5ELNS1_11target_archE942ELNS1_3gpuE9ELNS1_3repE0EEENS1_30default_config_static_selectorELNS0_4arch9wavefront6targetE0EEEvSK_.num_agpr, 0
	.set _ZN7rocprim17ROCPRIM_400000_NS6detail17trampoline_kernelINS0_14default_configENS1_22reduce_config_selectorIN6thrust23THRUST_200600_302600_NS5tupleIblNS6_9null_typeES8_S8_S8_S8_S8_S8_S8_EEEEZNS1_11reduce_implILb1ES3_PS9_SC_S9_NS6_11hip_rocprim9__find_if7functorIS9_EEEE10hipError_tPvRmT1_T2_T3_mT4_P12ihipStream_tbEUlT_E1_NS1_11comp_targetILNS1_3genE5ELNS1_11target_archE942ELNS1_3gpuE9ELNS1_3repE0EEENS1_30default_config_static_selectorELNS0_4arch9wavefront6targetE0EEEvSK_.numbered_sgpr, 0
	.set _ZN7rocprim17ROCPRIM_400000_NS6detail17trampoline_kernelINS0_14default_configENS1_22reduce_config_selectorIN6thrust23THRUST_200600_302600_NS5tupleIblNS6_9null_typeES8_S8_S8_S8_S8_S8_S8_EEEEZNS1_11reduce_implILb1ES3_PS9_SC_S9_NS6_11hip_rocprim9__find_if7functorIS9_EEEE10hipError_tPvRmT1_T2_T3_mT4_P12ihipStream_tbEUlT_E1_NS1_11comp_targetILNS1_3genE5ELNS1_11target_archE942ELNS1_3gpuE9ELNS1_3repE0EEENS1_30default_config_static_selectorELNS0_4arch9wavefront6targetE0EEEvSK_.num_named_barrier, 0
	.set _ZN7rocprim17ROCPRIM_400000_NS6detail17trampoline_kernelINS0_14default_configENS1_22reduce_config_selectorIN6thrust23THRUST_200600_302600_NS5tupleIblNS6_9null_typeES8_S8_S8_S8_S8_S8_S8_EEEEZNS1_11reduce_implILb1ES3_PS9_SC_S9_NS6_11hip_rocprim9__find_if7functorIS9_EEEE10hipError_tPvRmT1_T2_T3_mT4_P12ihipStream_tbEUlT_E1_NS1_11comp_targetILNS1_3genE5ELNS1_11target_archE942ELNS1_3gpuE9ELNS1_3repE0EEENS1_30default_config_static_selectorELNS0_4arch9wavefront6targetE0EEEvSK_.private_seg_size, 0
	.set _ZN7rocprim17ROCPRIM_400000_NS6detail17trampoline_kernelINS0_14default_configENS1_22reduce_config_selectorIN6thrust23THRUST_200600_302600_NS5tupleIblNS6_9null_typeES8_S8_S8_S8_S8_S8_S8_EEEEZNS1_11reduce_implILb1ES3_PS9_SC_S9_NS6_11hip_rocprim9__find_if7functorIS9_EEEE10hipError_tPvRmT1_T2_T3_mT4_P12ihipStream_tbEUlT_E1_NS1_11comp_targetILNS1_3genE5ELNS1_11target_archE942ELNS1_3gpuE9ELNS1_3repE0EEENS1_30default_config_static_selectorELNS0_4arch9wavefront6targetE0EEEvSK_.uses_vcc, 0
	.set _ZN7rocprim17ROCPRIM_400000_NS6detail17trampoline_kernelINS0_14default_configENS1_22reduce_config_selectorIN6thrust23THRUST_200600_302600_NS5tupleIblNS6_9null_typeES8_S8_S8_S8_S8_S8_S8_EEEEZNS1_11reduce_implILb1ES3_PS9_SC_S9_NS6_11hip_rocprim9__find_if7functorIS9_EEEE10hipError_tPvRmT1_T2_T3_mT4_P12ihipStream_tbEUlT_E1_NS1_11comp_targetILNS1_3genE5ELNS1_11target_archE942ELNS1_3gpuE9ELNS1_3repE0EEENS1_30default_config_static_selectorELNS0_4arch9wavefront6targetE0EEEvSK_.uses_flat_scratch, 0
	.set _ZN7rocprim17ROCPRIM_400000_NS6detail17trampoline_kernelINS0_14default_configENS1_22reduce_config_selectorIN6thrust23THRUST_200600_302600_NS5tupleIblNS6_9null_typeES8_S8_S8_S8_S8_S8_S8_EEEEZNS1_11reduce_implILb1ES3_PS9_SC_S9_NS6_11hip_rocprim9__find_if7functorIS9_EEEE10hipError_tPvRmT1_T2_T3_mT4_P12ihipStream_tbEUlT_E1_NS1_11comp_targetILNS1_3genE5ELNS1_11target_archE942ELNS1_3gpuE9ELNS1_3repE0EEENS1_30default_config_static_selectorELNS0_4arch9wavefront6targetE0EEEvSK_.has_dyn_sized_stack, 0
	.set _ZN7rocprim17ROCPRIM_400000_NS6detail17trampoline_kernelINS0_14default_configENS1_22reduce_config_selectorIN6thrust23THRUST_200600_302600_NS5tupleIblNS6_9null_typeES8_S8_S8_S8_S8_S8_S8_EEEEZNS1_11reduce_implILb1ES3_PS9_SC_S9_NS6_11hip_rocprim9__find_if7functorIS9_EEEE10hipError_tPvRmT1_T2_T3_mT4_P12ihipStream_tbEUlT_E1_NS1_11comp_targetILNS1_3genE5ELNS1_11target_archE942ELNS1_3gpuE9ELNS1_3repE0EEENS1_30default_config_static_selectorELNS0_4arch9wavefront6targetE0EEEvSK_.has_recursion, 0
	.set _ZN7rocprim17ROCPRIM_400000_NS6detail17trampoline_kernelINS0_14default_configENS1_22reduce_config_selectorIN6thrust23THRUST_200600_302600_NS5tupleIblNS6_9null_typeES8_S8_S8_S8_S8_S8_S8_EEEEZNS1_11reduce_implILb1ES3_PS9_SC_S9_NS6_11hip_rocprim9__find_if7functorIS9_EEEE10hipError_tPvRmT1_T2_T3_mT4_P12ihipStream_tbEUlT_E1_NS1_11comp_targetILNS1_3genE5ELNS1_11target_archE942ELNS1_3gpuE9ELNS1_3repE0EEENS1_30default_config_static_selectorELNS0_4arch9wavefront6targetE0EEEvSK_.has_indirect_call, 0
	.section	.AMDGPU.csdata,"",@progbits
; Kernel info:
; codeLenInByte = 0
; TotalNumSgprs: 0
; NumVgprs: 0
; ScratchSize: 0
; MemoryBound: 0
; FloatMode: 240
; IeeeMode: 1
; LDSByteSize: 0 bytes/workgroup (compile time only)
; SGPRBlocks: 0
; VGPRBlocks: 0
; NumSGPRsForWavesPerEU: 1
; NumVGPRsForWavesPerEU: 1
; Occupancy: 16
; WaveLimiterHint : 0
; COMPUTE_PGM_RSRC2:SCRATCH_EN: 0
; COMPUTE_PGM_RSRC2:USER_SGPR: 6
; COMPUTE_PGM_RSRC2:TRAP_HANDLER: 0
; COMPUTE_PGM_RSRC2:TGID_X_EN: 1
; COMPUTE_PGM_RSRC2:TGID_Y_EN: 0
; COMPUTE_PGM_RSRC2:TGID_Z_EN: 0
; COMPUTE_PGM_RSRC2:TIDIG_COMP_CNT: 0
	.section	.text._ZN7rocprim17ROCPRIM_400000_NS6detail17trampoline_kernelINS0_14default_configENS1_22reduce_config_selectorIN6thrust23THRUST_200600_302600_NS5tupleIblNS6_9null_typeES8_S8_S8_S8_S8_S8_S8_EEEEZNS1_11reduce_implILb1ES3_PS9_SC_S9_NS6_11hip_rocprim9__find_if7functorIS9_EEEE10hipError_tPvRmT1_T2_T3_mT4_P12ihipStream_tbEUlT_E1_NS1_11comp_targetILNS1_3genE4ELNS1_11target_archE910ELNS1_3gpuE8ELNS1_3repE0EEENS1_30default_config_static_selectorELNS0_4arch9wavefront6targetE0EEEvSK_,"axG",@progbits,_ZN7rocprim17ROCPRIM_400000_NS6detail17trampoline_kernelINS0_14default_configENS1_22reduce_config_selectorIN6thrust23THRUST_200600_302600_NS5tupleIblNS6_9null_typeES8_S8_S8_S8_S8_S8_S8_EEEEZNS1_11reduce_implILb1ES3_PS9_SC_S9_NS6_11hip_rocprim9__find_if7functorIS9_EEEE10hipError_tPvRmT1_T2_T3_mT4_P12ihipStream_tbEUlT_E1_NS1_11comp_targetILNS1_3genE4ELNS1_11target_archE910ELNS1_3gpuE8ELNS1_3repE0EEENS1_30default_config_static_selectorELNS0_4arch9wavefront6targetE0EEEvSK_,comdat
	.protected	_ZN7rocprim17ROCPRIM_400000_NS6detail17trampoline_kernelINS0_14default_configENS1_22reduce_config_selectorIN6thrust23THRUST_200600_302600_NS5tupleIblNS6_9null_typeES8_S8_S8_S8_S8_S8_S8_EEEEZNS1_11reduce_implILb1ES3_PS9_SC_S9_NS6_11hip_rocprim9__find_if7functorIS9_EEEE10hipError_tPvRmT1_T2_T3_mT4_P12ihipStream_tbEUlT_E1_NS1_11comp_targetILNS1_3genE4ELNS1_11target_archE910ELNS1_3gpuE8ELNS1_3repE0EEENS1_30default_config_static_selectorELNS0_4arch9wavefront6targetE0EEEvSK_ ; -- Begin function _ZN7rocprim17ROCPRIM_400000_NS6detail17trampoline_kernelINS0_14default_configENS1_22reduce_config_selectorIN6thrust23THRUST_200600_302600_NS5tupleIblNS6_9null_typeES8_S8_S8_S8_S8_S8_S8_EEEEZNS1_11reduce_implILb1ES3_PS9_SC_S9_NS6_11hip_rocprim9__find_if7functorIS9_EEEE10hipError_tPvRmT1_T2_T3_mT4_P12ihipStream_tbEUlT_E1_NS1_11comp_targetILNS1_3genE4ELNS1_11target_archE910ELNS1_3gpuE8ELNS1_3repE0EEENS1_30default_config_static_selectorELNS0_4arch9wavefront6targetE0EEEvSK_
	.globl	_ZN7rocprim17ROCPRIM_400000_NS6detail17trampoline_kernelINS0_14default_configENS1_22reduce_config_selectorIN6thrust23THRUST_200600_302600_NS5tupleIblNS6_9null_typeES8_S8_S8_S8_S8_S8_S8_EEEEZNS1_11reduce_implILb1ES3_PS9_SC_S9_NS6_11hip_rocprim9__find_if7functorIS9_EEEE10hipError_tPvRmT1_T2_T3_mT4_P12ihipStream_tbEUlT_E1_NS1_11comp_targetILNS1_3genE4ELNS1_11target_archE910ELNS1_3gpuE8ELNS1_3repE0EEENS1_30default_config_static_selectorELNS0_4arch9wavefront6targetE0EEEvSK_
	.p2align	8
	.type	_ZN7rocprim17ROCPRIM_400000_NS6detail17trampoline_kernelINS0_14default_configENS1_22reduce_config_selectorIN6thrust23THRUST_200600_302600_NS5tupleIblNS6_9null_typeES8_S8_S8_S8_S8_S8_S8_EEEEZNS1_11reduce_implILb1ES3_PS9_SC_S9_NS6_11hip_rocprim9__find_if7functorIS9_EEEE10hipError_tPvRmT1_T2_T3_mT4_P12ihipStream_tbEUlT_E1_NS1_11comp_targetILNS1_3genE4ELNS1_11target_archE910ELNS1_3gpuE8ELNS1_3repE0EEENS1_30default_config_static_selectorELNS0_4arch9wavefront6targetE0EEEvSK_,@function
_ZN7rocprim17ROCPRIM_400000_NS6detail17trampoline_kernelINS0_14default_configENS1_22reduce_config_selectorIN6thrust23THRUST_200600_302600_NS5tupleIblNS6_9null_typeES8_S8_S8_S8_S8_S8_S8_EEEEZNS1_11reduce_implILb1ES3_PS9_SC_S9_NS6_11hip_rocprim9__find_if7functorIS9_EEEE10hipError_tPvRmT1_T2_T3_mT4_P12ihipStream_tbEUlT_E1_NS1_11comp_targetILNS1_3genE4ELNS1_11target_archE910ELNS1_3gpuE8ELNS1_3repE0EEENS1_30default_config_static_selectorELNS0_4arch9wavefront6targetE0EEEvSK_: ; @_ZN7rocprim17ROCPRIM_400000_NS6detail17trampoline_kernelINS0_14default_configENS1_22reduce_config_selectorIN6thrust23THRUST_200600_302600_NS5tupleIblNS6_9null_typeES8_S8_S8_S8_S8_S8_S8_EEEEZNS1_11reduce_implILb1ES3_PS9_SC_S9_NS6_11hip_rocprim9__find_if7functorIS9_EEEE10hipError_tPvRmT1_T2_T3_mT4_P12ihipStream_tbEUlT_E1_NS1_11comp_targetILNS1_3genE4ELNS1_11target_archE910ELNS1_3gpuE8ELNS1_3repE0EEENS1_30default_config_static_selectorELNS0_4arch9wavefront6targetE0EEEvSK_
; %bb.0:
	.section	.rodata,"a",@progbits
	.p2align	6, 0x0
	.amdhsa_kernel _ZN7rocprim17ROCPRIM_400000_NS6detail17trampoline_kernelINS0_14default_configENS1_22reduce_config_selectorIN6thrust23THRUST_200600_302600_NS5tupleIblNS6_9null_typeES8_S8_S8_S8_S8_S8_S8_EEEEZNS1_11reduce_implILb1ES3_PS9_SC_S9_NS6_11hip_rocprim9__find_if7functorIS9_EEEE10hipError_tPvRmT1_T2_T3_mT4_P12ihipStream_tbEUlT_E1_NS1_11comp_targetILNS1_3genE4ELNS1_11target_archE910ELNS1_3gpuE8ELNS1_3repE0EEENS1_30default_config_static_selectorELNS0_4arch9wavefront6targetE0EEEvSK_
		.amdhsa_group_segment_fixed_size 0
		.amdhsa_private_segment_fixed_size 0
		.amdhsa_kernarg_size 56
		.amdhsa_user_sgpr_count 6
		.amdhsa_user_sgpr_private_segment_buffer 1
		.amdhsa_user_sgpr_dispatch_ptr 0
		.amdhsa_user_sgpr_queue_ptr 0
		.amdhsa_user_sgpr_kernarg_segment_ptr 1
		.amdhsa_user_sgpr_dispatch_id 0
		.amdhsa_user_sgpr_flat_scratch_init 0
		.amdhsa_user_sgpr_private_segment_size 0
		.amdhsa_wavefront_size32 1
		.amdhsa_uses_dynamic_stack 0
		.amdhsa_system_sgpr_private_segment_wavefront_offset 0
		.amdhsa_system_sgpr_workgroup_id_x 1
		.amdhsa_system_sgpr_workgroup_id_y 0
		.amdhsa_system_sgpr_workgroup_id_z 0
		.amdhsa_system_sgpr_workgroup_info 0
		.amdhsa_system_vgpr_workitem_id 0
		.amdhsa_next_free_vgpr 1
		.amdhsa_next_free_sgpr 1
		.amdhsa_reserve_vcc 0
		.amdhsa_reserve_flat_scratch 0
		.amdhsa_float_round_mode_32 0
		.amdhsa_float_round_mode_16_64 0
		.amdhsa_float_denorm_mode_32 3
		.amdhsa_float_denorm_mode_16_64 3
		.amdhsa_dx10_clamp 1
		.amdhsa_ieee_mode 1
		.amdhsa_fp16_overflow 0
		.amdhsa_workgroup_processor_mode 1
		.amdhsa_memory_ordered 1
		.amdhsa_forward_progress 1
		.amdhsa_shared_vgpr_count 0
		.amdhsa_exception_fp_ieee_invalid_op 0
		.amdhsa_exception_fp_denorm_src 0
		.amdhsa_exception_fp_ieee_div_zero 0
		.amdhsa_exception_fp_ieee_overflow 0
		.amdhsa_exception_fp_ieee_underflow 0
		.amdhsa_exception_fp_ieee_inexact 0
		.amdhsa_exception_int_div_zero 0
	.end_amdhsa_kernel
	.section	.text._ZN7rocprim17ROCPRIM_400000_NS6detail17trampoline_kernelINS0_14default_configENS1_22reduce_config_selectorIN6thrust23THRUST_200600_302600_NS5tupleIblNS6_9null_typeES8_S8_S8_S8_S8_S8_S8_EEEEZNS1_11reduce_implILb1ES3_PS9_SC_S9_NS6_11hip_rocprim9__find_if7functorIS9_EEEE10hipError_tPvRmT1_T2_T3_mT4_P12ihipStream_tbEUlT_E1_NS1_11comp_targetILNS1_3genE4ELNS1_11target_archE910ELNS1_3gpuE8ELNS1_3repE0EEENS1_30default_config_static_selectorELNS0_4arch9wavefront6targetE0EEEvSK_,"axG",@progbits,_ZN7rocprim17ROCPRIM_400000_NS6detail17trampoline_kernelINS0_14default_configENS1_22reduce_config_selectorIN6thrust23THRUST_200600_302600_NS5tupleIblNS6_9null_typeES8_S8_S8_S8_S8_S8_S8_EEEEZNS1_11reduce_implILb1ES3_PS9_SC_S9_NS6_11hip_rocprim9__find_if7functorIS9_EEEE10hipError_tPvRmT1_T2_T3_mT4_P12ihipStream_tbEUlT_E1_NS1_11comp_targetILNS1_3genE4ELNS1_11target_archE910ELNS1_3gpuE8ELNS1_3repE0EEENS1_30default_config_static_selectorELNS0_4arch9wavefront6targetE0EEEvSK_,comdat
.Lfunc_end30:
	.size	_ZN7rocprim17ROCPRIM_400000_NS6detail17trampoline_kernelINS0_14default_configENS1_22reduce_config_selectorIN6thrust23THRUST_200600_302600_NS5tupleIblNS6_9null_typeES8_S8_S8_S8_S8_S8_S8_EEEEZNS1_11reduce_implILb1ES3_PS9_SC_S9_NS6_11hip_rocprim9__find_if7functorIS9_EEEE10hipError_tPvRmT1_T2_T3_mT4_P12ihipStream_tbEUlT_E1_NS1_11comp_targetILNS1_3genE4ELNS1_11target_archE910ELNS1_3gpuE8ELNS1_3repE0EEENS1_30default_config_static_selectorELNS0_4arch9wavefront6targetE0EEEvSK_, .Lfunc_end30-_ZN7rocprim17ROCPRIM_400000_NS6detail17trampoline_kernelINS0_14default_configENS1_22reduce_config_selectorIN6thrust23THRUST_200600_302600_NS5tupleIblNS6_9null_typeES8_S8_S8_S8_S8_S8_S8_EEEEZNS1_11reduce_implILb1ES3_PS9_SC_S9_NS6_11hip_rocprim9__find_if7functorIS9_EEEE10hipError_tPvRmT1_T2_T3_mT4_P12ihipStream_tbEUlT_E1_NS1_11comp_targetILNS1_3genE4ELNS1_11target_archE910ELNS1_3gpuE8ELNS1_3repE0EEENS1_30default_config_static_selectorELNS0_4arch9wavefront6targetE0EEEvSK_
                                        ; -- End function
	.set _ZN7rocprim17ROCPRIM_400000_NS6detail17trampoline_kernelINS0_14default_configENS1_22reduce_config_selectorIN6thrust23THRUST_200600_302600_NS5tupleIblNS6_9null_typeES8_S8_S8_S8_S8_S8_S8_EEEEZNS1_11reduce_implILb1ES3_PS9_SC_S9_NS6_11hip_rocprim9__find_if7functorIS9_EEEE10hipError_tPvRmT1_T2_T3_mT4_P12ihipStream_tbEUlT_E1_NS1_11comp_targetILNS1_3genE4ELNS1_11target_archE910ELNS1_3gpuE8ELNS1_3repE0EEENS1_30default_config_static_selectorELNS0_4arch9wavefront6targetE0EEEvSK_.num_vgpr, 0
	.set _ZN7rocprim17ROCPRIM_400000_NS6detail17trampoline_kernelINS0_14default_configENS1_22reduce_config_selectorIN6thrust23THRUST_200600_302600_NS5tupleIblNS6_9null_typeES8_S8_S8_S8_S8_S8_S8_EEEEZNS1_11reduce_implILb1ES3_PS9_SC_S9_NS6_11hip_rocprim9__find_if7functorIS9_EEEE10hipError_tPvRmT1_T2_T3_mT4_P12ihipStream_tbEUlT_E1_NS1_11comp_targetILNS1_3genE4ELNS1_11target_archE910ELNS1_3gpuE8ELNS1_3repE0EEENS1_30default_config_static_selectorELNS0_4arch9wavefront6targetE0EEEvSK_.num_agpr, 0
	.set _ZN7rocprim17ROCPRIM_400000_NS6detail17trampoline_kernelINS0_14default_configENS1_22reduce_config_selectorIN6thrust23THRUST_200600_302600_NS5tupleIblNS6_9null_typeES8_S8_S8_S8_S8_S8_S8_EEEEZNS1_11reduce_implILb1ES3_PS9_SC_S9_NS6_11hip_rocprim9__find_if7functorIS9_EEEE10hipError_tPvRmT1_T2_T3_mT4_P12ihipStream_tbEUlT_E1_NS1_11comp_targetILNS1_3genE4ELNS1_11target_archE910ELNS1_3gpuE8ELNS1_3repE0EEENS1_30default_config_static_selectorELNS0_4arch9wavefront6targetE0EEEvSK_.numbered_sgpr, 0
	.set _ZN7rocprim17ROCPRIM_400000_NS6detail17trampoline_kernelINS0_14default_configENS1_22reduce_config_selectorIN6thrust23THRUST_200600_302600_NS5tupleIblNS6_9null_typeES8_S8_S8_S8_S8_S8_S8_EEEEZNS1_11reduce_implILb1ES3_PS9_SC_S9_NS6_11hip_rocprim9__find_if7functorIS9_EEEE10hipError_tPvRmT1_T2_T3_mT4_P12ihipStream_tbEUlT_E1_NS1_11comp_targetILNS1_3genE4ELNS1_11target_archE910ELNS1_3gpuE8ELNS1_3repE0EEENS1_30default_config_static_selectorELNS0_4arch9wavefront6targetE0EEEvSK_.num_named_barrier, 0
	.set _ZN7rocprim17ROCPRIM_400000_NS6detail17trampoline_kernelINS0_14default_configENS1_22reduce_config_selectorIN6thrust23THRUST_200600_302600_NS5tupleIblNS6_9null_typeES8_S8_S8_S8_S8_S8_S8_EEEEZNS1_11reduce_implILb1ES3_PS9_SC_S9_NS6_11hip_rocprim9__find_if7functorIS9_EEEE10hipError_tPvRmT1_T2_T3_mT4_P12ihipStream_tbEUlT_E1_NS1_11comp_targetILNS1_3genE4ELNS1_11target_archE910ELNS1_3gpuE8ELNS1_3repE0EEENS1_30default_config_static_selectorELNS0_4arch9wavefront6targetE0EEEvSK_.private_seg_size, 0
	.set _ZN7rocprim17ROCPRIM_400000_NS6detail17trampoline_kernelINS0_14default_configENS1_22reduce_config_selectorIN6thrust23THRUST_200600_302600_NS5tupleIblNS6_9null_typeES8_S8_S8_S8_S8_S8_S8_EEEEZNS1_11reduce_implILb1ES3_PS9_SC_S9_NS6_11hip_rocprim9__find_if7functorIS9_EEEE10hipError_tPvRmT1_T2_T3_mT4_P12ihipStream_tbEUlT_E1_NS1_11comp_targetILNS1_3genE4ELNS1_11target_archE910ELNS1_3gpuE8ELNS1_3repE0EEENS1_30default_config_static_selectorELNS0_4arch9wavefront6targetE0EEEvSK_.uses_vcc, 0
	.set _ZN7rocprim17ROCPRIM_400000_NS6detail17trampoline_kernelINS0_14default_configENS1_22reduce_config_selectorIN6thrust23THRUST_200600_302600_NS5tupleIblNS6_9null_typeES8_S8_S8_S8_S8_S8_S8_EEEEZNS1_11reduce_implILb1ES3_PS9_SC_S9_NS6_11hip_rocprim9__find_if7functorIS9_EEEE10hipError_tPvRmT1_T2_T3_mT4_P12ihipStream_tbEUlT_E1_NS1_11comp_targetILNS1_3genE4ELNS1_11target_archE910ELNS1_3gpuE8ELNS1_3repE0EEENS1_30default_config_static_selectorELNS0_4arch9wavefront6targetE0EEEvSK_.uses_flat_scratch, 0
	.set _ZN7rocprim17ROCPRIM_400000_NS6detail17trampoline_kernelINS0_14default_configENS1_22reduce_config_selectorIN6thrust23THRUST_200600_302600_NS5tupleIblNS6_9null_typeES8_S8_S8_S8_S8_S8_S8_EEEEZNS1_11reduce_implILb1ES3_PS9_SC_S9_NS6_11hip_rocprim9__find_if7functorIS9_EEEE10hipError_tPvRmT1_T2_T3_mT4_P12ihipStream_tbEUlT_E1_NS1_11comp_targetILNS1_3genE4ELNS1_11target_archE910ELNS1_3gpuE8ELNS1_3repE0EEENS1_30default_config_static_selectorELNS0_4arch9wavefront6targetE0EEEvSK_.has_dyn_sized_stack, 0
	.set _ZN7rocprim17ROCPRIM_400000_NS6detail17trampoline_kernelINS0_14default_configENS1_22reduce_config_selectorIN6thrust23THRUST_200600_302600_NS5tupleIblNS6_9null_typeES8_S8_S8_S8_S8_S8_S8_EEEEZNS1_11reduce_implILb1ES3_PS9_SC_S9_NS6_11hip_rocprim9__find_if7functorIS9_EEEE10hipError_tPvRmT1_T2_T3_mT4_P12ihipStream_tbEUlT_E1_NS1_11comp_targetILNS1_3genE4ELNS1_11target_archE910ELNS1_3gpuE8ELNS1_3repE0EEENS1_30default_config_static_selectorELNS0_4arch9wavefront6targetE0EEEvSK_.has_recursion, 0
	.set _ZN7rocprim17ROCPRIM_400000_NS6detail17trampoline_kernelINS0_14default_configENS1_22reduce_config_selectorIN6thrust23THRUST_200600_302600_NS5tupleIblNS6_9null_typeES8_S8_S8_S8_S8_S8_S8_EEEEZNS1_11reduce_implILb1ES3_PS9_SC_S9_NS6_11hip_rocprim9__find_if7functorIS9_EEEE10hipError_tPvRmT1_T2_T3_mT4_P12ihipStream_tbEUlT_E1_NS1_11comp_targetILNS1_3genE4ELNS1_11target_archE910ELNS1_3gpuE8ELNS1_3repE0EEENS1_30default_config_static_selectorELNS0_4arch9wavefront6targetE0EEEvSK_.has_indirect_call, 0
	.section	.AMDGPU.csdata,"",@progbits
; Kernel info:
; codeLenInByte = 0
; TotalNumSgprs: 0
; NumVgprs: 0
; ScratchSize: 0
; MemoryBound: 0
; FloatMode: 240
; IeeeMode: 1
; LDSByteSize: 0 bytes/workgroup (compile time only)
; SGPRBlocks: 0
; VGPRBlocks: 0
; NumSGPRsForWavesPerEU: 1
; NumVGPRsForWavesPerEU: 1
; Occupancy: 16
; WaveLimiterHint : 0
; COMPUTE_PGM_RSRC2:SCRATCH_EN: 0
; COMPUTE_PGM_RSRC2:USER_SGPR: 6
; COMPUTE_PGM_RSRC2:TRAP_HANDLER: 0
; COMPUTE_PGM_RSRC2:TGID_X_EN: 1
; COMPUTE_PGM_RSRC2:TGID_Y_EN: 0
; COMPUTE_PGM_RSRC2:TGID_Z_EN: 0
; COMPUTE_PGM_RSRC2:TIDIG_COMP_CNT: 0
	.section	.text._ZN7rocprim17ROCPRIM_400000_NS6detail17trampoline_kernelINS0_14default_configENS1_22reduce_config_selectorIN6thrust23THRUST_200600_302600_NS5tupleIblNS6_9null_typeES8_S8_S8_S8_S8_S8_S8_EEEEZNS1_11reduce_implILb1ES3_PS9_SC_S9_NS6_11hip_rocprim9__find_if7functorIS9_EEEE10hipError_tPvRmT1_T2_T3_mT4_P12ihipStream_tbEUlT_E1_NS1_11comp_targetILNS1_3genE3ELNS1_11target_archE908ELNS1_3gpuE7ELNS1_3repE0EEENS1_30default_config_static_selectorELNS0_4arch9wavefront6targetE0EEEvSK_,"axG",@progbits,_ZN7rocprim17ROCPRIM_400000_NS6detail17trampoline_kernelINS0_14default_configENS1_22reduce_config_selectorIN6thrust23THRUST_200600_302600_NS5tupleIblNS6_9null_typeES8_S8_S8_S8_S8_S8_S8_EEEEZNS1_11reduce_implILb1ES3_PS9_SC_S9_NS6_11hip_rocprim9__find_if7functorIS9_EEEE10hipError_tPvRmT1_T2_T3_mT4_P12ihipStream_tbEUlT_E1_NS1_11comp_targetILNS1_3genE3ELNS1_11target_archE908ELNS1_3gpuE7ELNS1_3repE0EEENS1_30default_config_static_selectorELNS0_4arch9wavefront6targetE0EEEvSK_,comdat
	.protected	_ZN7rocprim17ROCPRIM_400000_NS6detail17trampoline_kernelINS0_14default_configENS1_22reduce_config_selectorIN6thrust23THRUST_200600_302600_NS5tupleIblNS6_9null_typeES8_S8_S8_S8_S8_S8_S8_EEEEZNS1_11reduce_implILb1ES3_PS9_SC_S9_NS6_11hip_rocprim9__find_if7functorIS9_EEEE10hipError_tPvRmT1_T2_T3_mT4_P12ihipStream_tbEUlT_E1_NS1_11comp_targetILNS1_3genE3ELNS1_11target_archE908ELNS1_3gpuE7ELNS1_3repE0EEENS1_30default_config_static_selectorELNS0_4arch9wavefront6targetE0EEEvSK_ ; -- Begin function _ZN7rocprim17ROCPRIM_400000_NS6detail17trampoline_kernelINS0_14default_configENS1_22reduce_config_selectorIN6thrust23THRUST_200600_302600_NS5tupleIblNS6_9null_typeES8_S8_S8_S8_S8_S8_S8_EEEEZNS1_11reduce_implILb1ES3_PS9_SC_S9_NS6_11hip_rocprim9__find_if7functorIS9_EEEE10hipError_tPvRmT1_T2_T3_mT4_P12ihipStream_tbEUlT_E1_NS1_11comp_targetILNS1_3genE3ELNS1_11target_archE908ELNS1_3gpuE7ELNS1_3repE0EEENS1_30default_config_static_selectorELNS0_4arch9wavefront6targetE0EEEvSK_
	.globl	_ZN7rocprim17ROCPRIM_400000_NS6detail17trampoline_kernelINS0_14default_configENS1_22reduce_config_selectorIN6thrust23THRUST_200600_302600_NS5tupleIblNS6_9null_typeES8_S8_S8_S8_S8_S8_S8_EEEEZNS1_11reduce_implILb1ES3_PS9_SC_S9_NS6_11hip_rocprim9__find_if7functorIS9_EEEE10hipError_tPvRmT1_T2_T3_mT4_P12ihipStream_tbEUlT_E1_NS1_11comp_targetILNS1_3genE3ELNS1_11target_archE908ELNS1_3gpuE7ELNS1_3repE0EEENS1_30default_config_static_selectorELNS0_4arch9wavefront6targetE0EEEvSK_
	.p2align	8
	.type	_ZN7rocprim17ROCPRIM_400000_NS6detail17trampoline_kernelINS0_14default_configENS1_22reduce_config_selectorIN6thrust23THRUST_200600_302600_NS5tupleIblNS6_9null_typeES8_S8_S8_S8_S8_S8_S8_EEEEZNS1_11reduce_implILb1ES3_PS9_SC_S9_NS6_11hip_rocprim9__find_if7functorIS9_EEEE10hipError_tPvRmT1_T2_T3_mT4_P12ihipStream_tbEUlT_E1_NS1_11comp_targetILNS1_3genE3ELNS1_11target_archE908ELNS1_3gpuE7ELNS1_3repE0EEENS1_30default_config_static_selectorELNS0_4arch9wavefront6targetE0EEEvSK_,@function
_ZN7rocprim17ROCPRIM_400000_NS6detail17trampoline_kernelINS0_14default_configENS1_22reduce_config_selectorIN6thrust23THRUST_200600_302600_NS5tupleIblNS6_9null_typeES8_S8_S8_S8_S8_S8_S8_EEEEZNS1_11reduce_implILb1ES3_PS9_SC_S9_NS6_11hip_rocprim9__find_if7functorIS9_EEEE10hipError_tPvRmT1_T2_T3_mT4_P12ihipStream_tbEUlT_E1_NS1_11comp_targetILNS1_3genE3ELNS1_11target_archE908ELNS1_3gpuE7ELNS1_3repE0EEENS1_30default_config_static_selectorELNS0_4arch9wavefront6targetE0EEEvSK_: ; @_ZN7rocprim17ROCPRIM_400000_NS6detail17trampoline_kernelINS0_14default_configENS1_22reduce_config_selectorIN6thrust23THRUST_200600_302600_NS5tupleIblNS6_9null_typeES8_S8_S8_S8_S8_S8_S8_EEEEZNS1_11reduce_implILb1ES3_PS9_SC_S9_NS6_11hip_rocprim9__find_if7functorIS9_EEEE10hipError_tPvRmT1_T2_T3_mT4_P12ihipStream_tbEUlT_E1_NS1_11comp_targetILNS1_3genE3ELNS1_11target_archE908ELNS1_3gpuE7ELNS1_3repE0EEENS1_30default_config_static_selectorELNS0_4arch9wavefront6targetE0EEEvSK_
; %bb.0:
	.section	.rodata,"a",@progbits
	.p2align	6, 0x0
	.amdhsa_kernel _ZN7rocprim17ROCPRIM_400000_NS6detail17trampoline_kernelINS0_14default_configENS1_22reduce_config_selectorIN6thrust23THRUST_200600_302600_NS5tupleIblNS6_9null_typeES8_S8_S8_S8_S8_S8_S8_EEEEZNS1_11reduce_implILb1ES3_PS9_SC_S9_NS6_11hip_rocprim9__find_if7functorIS9_EEEE10hipError_tPvRmT1_T2_T3_mT4_P12ihipStream_tbEUlT_E1_NS1_11comp_targetILNS1_3genE3ELNS1_11target_archE908ELNS1_3gpuE7ELNS1_3repE0EEENS1_30default_config_static_selectorELNS0_4arch9wavefront6targetE0EEEvSK_
		.amdhsa_group_segment_fixed_size 0
		.amdhsa_private_segment_fixed_size 0
		.amdhsa_kernarg_size 56
		.amdhsa_user_sgpr_count 6
		.amdhsa_user_sgpr_private_segment_buffer 1
		.amdhsa_user_sgpr_dispatch_ptr 0
		.amdhsa_user_sgpr_queue_ptr 0
		.amdhsa_user_sgpr_kernarg_segment_ptr 1
		.amdhsa_user_sgpr_dispatch_id 0
		.amdhsa_user_sgpr_flat_scratch_init 0
		.amdhsa_user_sgpr_private_segment_size 0
		.amdhsa_wavefront_size32 1
		.amdhsa_uses_dynamic_stack 0
		.amdhsa_system_sgpr_private_segment_wavefront_offset 0
		.amdhsa_system_sgpr_workgroup_id_x 1
		.amdhsa_system_sgpr_workgroup_id_y 0
		.amdhsa_system_sgpr_workgroup_id_z 0
		.amdhsa_system_sgpr_workgroup_info 0
		.amdhsa_system_vgpr_workitem_id 0
		.amdhsa_next_free_vgpr 1
		.amdhsa_next_free_sgpr 1
		.amdhsa_reserve_vcc 0
		.amdhsa_reserve_flat_scratch 0
		.amdhsa_float_round_mode_32 0
		.amdhsa_float_round_mode_16_64 0
		.amdhsa_float_denorm_mode_32 3
		.amdhsa_float_denorm_mode_16_64 3
		.amdhsa_dx10_clamp 1
		.amdhsa_ieee_mode 1
		.amdhsa_fp16_overflow 0
		.amdhsa_workgroup_processor_mode 1
		.amdhsa_memory_ordered 1
		.amdhsa_forward_progress 1
		.amdhsa_shared_vgpr_count 0
		.amdhsa_exception_fp_ieee_invalid_op 0
		.amdhsa_exception_fp_denorm_src 0
		.amdhsa_exception_fp_ieee_div_zero 0
		.amdhsa_exception_fp_ieee_overflow 0
		.amdhsa_exception_fp_ieee_underflow 0
		.amdhsa_exception_fp_ieee_inexact 0
		.amdhsa_exception_int_div_zero 0
	.end_amdhsa_kernel
	.section	.text._ZN7rocprim17ROCPRIM_400000_NS6detail17trampoline_kernelINS0_14default_configENS1_22reduce_config_selectorIN6thrust23THRUST_200600_302600_NS5tupleIblNS6_9null_typeES8_S8_S8_S8_S8_S8_S8_EEEEZNS1_11reduce_implILb1ES3_PS9_SC_S9_NS6_11hip_rocprim9__find_if7functorIS9_EEEE10hipError_tPvRmT1_T2_T3_mT4_P12ihipStream_tbEUlT_E1_NS1_11comp_targetILNS1_3genE3ELNS1_11target_archE908ELNS1_3gpuE7ELNS1_3repE0EEENS1_30default_config_static_selectorELNS0_4arch9wavefront6targetE0EEEvSK_,"axG",@progbits,_ZN7rocprim17ROCPRIM_400000_NS6detail17trampoline_kernelINS0_14default_configENS1_22reduce_config_selectorIN6thrust23THRUST_200600_302600_NS5tupleIblNS6_9null_typeES8_S8_S8_S8_S8_S8_S8_EEEEZNS1_11reduce_implILb1ES3_PS9_SC_S9_NS6_11hip_rocprim9__find_if7functorIS9_EEEE10hipError_tPvRmT1_T2_T3_mT4_P12ihipStream_tbEUlT_E1_NS1_11comp_targetILNS1_3genE3ELNS1_11target_archE908ELNS1_3gpuE7ELNS1_3repE0EEENS1_30default_config_static_selectorELNS0_4arch9wavefront6targetE0EEEvSK_,comdat
.Lfunc_end31:
	.size	_ZN7rocprim17ROCPRIM_400000_NS6detail17trampoline_kernelINS0_14default_configENS1_22reduce_config_selectorIN6thrust23THRUST_200600_302600_NS5tupleIblNS6_9null_typeES8_S8_S8_S8_S8_S8_S8_EEEEZNS1_11reduce_implILb1ES3_PS9_SC_S9_NS6_11hip_rocprim9__find_if7functorIS9_EEEE10hipError_tPvRmT1_T2_T3_mT4_P12ihipStream_tbEUlT_E1_NS1_11comp_targetILNS1_3genE3ELNS1_11target_archE908ELNS1_3gpuE7ELNS1_3repE0EEENS1_30default_config_static_selectorELNS0_4arch9wavefront6targetE0EEEvSK_, .Lfunc_end31-_ZN7rocprim17ROCPRIM_400000_NS6detail17trampoline_kernelINS0_14default_configENS1_22reduce_config_selectorIN6thrust23THRUST_200600_302600_NS5tupleIblNS6_9null_typeES8_S8_S8_S8_S8_S8_S8_EEEEZNS1_11reduce_implILb1ES3_PS9_SC_S9_NS6_11hip_rocprim9__find_if7functorIS9_EEEE10hipError_tPvRmT1_T2_T3_mT4_P12ihipStream_tbEUlT_E1_NS1_11comp_targetILNS1_3genE3ELNS1_11target_archE908ELNS1_3gpuE7ELNS1_3repE0EEENS1_30default_config_static_selectorELNS0_4arch9wavefront6targetE0EEEvSK_
                                        ; -- End function
	.set _ZN7rocprim17ROCPRIM_400000_NS6detail17trampoline_kernelINS0_14default_configENS1_22reduce_config_selectorIN6thrust23THRUST_200600_302600_NS5tupleIblNS6_9null_typeES8_S8_S8_S8_S8_S8_S8_EEEEZNS1_11reduce_implILb1ES3_PS9_SC_S9_NS6_11hip_rocprim9__find_if7functorIS9_EEEE10hipError_tPvRmT1_T2_T3_mT4_P12ihipStream_tbEUlT_E1_NS1_11comp_targetILNS1_3genE3ELNS1_11target_archE908ELNS1_3gpuE7ELNS1_3repE0EEENS1_30default_config_static_selectorELNS0_4arch9wavefront6targetE0EEEvSK_.num_vgpr, 0
	.set _ZN7rocprim17ROCPRIM_400000_NS6detail17trampoline_kernelINS0_14default_configENS1_22reduce_config_selectorIN6thrust23THRUST_200600_302600_NS5tupleIblNS6_9null_typeES8_S8_S8_S8_S8_S8_S8_EEEEZNS1_11reduce_implILb1ES3_PS9_SC_S9_NS6_11hip_rocprim9__find_if7functorIS9_EEEE10hipError_tPvRmT1_T2_T3_mT4_P12ihipStream_tbEUlT_E1_NS1_11comp_targetILNS1_3genE3ELNS1_11target_archE908ELNS1_3gpuE7ELNS1_3repE0EEENS1_30default_config_static_selectorELNS0_4arch9wavefront6targetE0EEEvSK_.num_agpr, 0
	.set _ZN7rocprim17ROCPRIM_400000_NS6detail17trampoline_kernelINS0_14default_configENS1_22reduce_config_selectorIN6thrust23THRUST_200600_302600_NS5tupleIblNS6_9null_typeES8_S8_S8_S8_S8_S8_S8_EEEEZNS1_11reduce_implILb1ES3_PS9_SC_S9_NS6_11hip_rocprim9__find_if7functorIS9_EEEE10hipError_tPvRmT1_T2_T3_mT4_P12ihipStream_tbEUlT_E1_NS1_11comp_targetILNS1_3genE3ELNS1_11target_archE908ELNS1_3gpuE7ELNS1_3repE0EEENS1_30default_config_static_selectorELNS0_4arch9wavefront6targetE0EEEvSK_.numbered_sgpr, 0
	.set _ZN7rocprim17ROCPRIM_400000_NS6detail17trampoline_kernelINS0_14default_configENS1_22reduce_config_selectorIN6thrust23THRUST_200600_302600_NS5tupleIblNS6_9null_typeES8_S8_S8_S8_S8_S8_S8_EEEEZNS1_11reduce_implILb1ES3_PS9_SC_S9_NS6_11hip_rocprim9__find_if7functorIS9_EEEE10hipError_tPvRmT1_T2_T3_mT4_P12ihipStream_tbEUlT_E1_NS1_11comp_targetILNS1_3genE3ELNS1_11target_archE908ELNS1_3gpuE7ELNS1_3repE0EEENS1_30default_config_static_selectorELNS0_4arch9wavefront6targetE0EEEvSK_.num_named_barrier, 0
	.set _ZN7rocprim17ROCPRIM_400000_NS6detail17trampoline_kernelINS0_14default_configENS1_22reduce_config_selectorIN6thrust23THRUST_200600_302600_NS5tupleIblNS6_9null_typeES8_S8_S8_S8_S8_S8_S8_EEEEZNS1_11reduce_implILb1ES3_PS9_SC_S9_NS6_11hip_rocprim9__find_if7functorIS9_EEEE10hipError_tPvRmT1_T2_T3_mT4_P12ihipStream_tbEUlT_E1_NS1_11comp_targetILNS1_3genE3ELNS1_11target_archE908ELNS1_3gpuE7ELNS1_3repE0EEENS1_30default_config_static_selectorELNS0_4arch9wavefront6targetE0EEEvSK_.private_seg_size, 0
	.set _ZN7rocprim17ROCPRIM_400000_NS6detail17trampoline_kernelINS0_14default_configENS1_22reduce_config_selectorIN6thrust23THRUST_200600_302600_NS5tupleIblNS6_9null_typeES8_S8_S8_S8_S8_S8_S8_EEEEZNS1_11reduce_implILb1ES3_PS9_SC_S9_NS6_11hip_rocprim9__find_if7functorIS9_EEEE10hipError_tPvRmT1_T2_T3_mT4_P12ihipStream_tbEUlT_E1_NS1_11comp_targetILNS1_3genE3ELNS1_11target_archE908ELNS1_3gpuE7ELNS1_3repE0EEENS1_30default_config_static_selectorELNS0_4arch9wavefront6targetE0EEEvSK_.uses_vcc, 0
	.set _ZN7rocprim17ROCPRIM_400000_NS6detail17trampoline_kernelINS0_14default_configENS1_22reduce_config_selectorIN6thrust23THRUST_200600_302600_NS5tupleIblNS6_9null_typeES8_S8_S8_S8_S8_S8_S8_EEEEZNS1_11reduce_implILb1ES3_PS9_SC_S9_NS6_11hip_rocprim9__find_if7functorIS9_EEEE10hipError_tPvRmT1_T2_T3_mT4_P12ihipStream_tbEUlT_E1_NS1_11comp_targetILNS1_3genE3ELNS1_11target_archE908ELNS1_3gpuE7ELNS1_3repE0EEENS1_30default_config_static_selectorELNS0_4arch9wavefront6targetE0EEEvSK_.uses_flat_scratch, 0
	.set _ZN7rocprim17ROCPRIM_400000_NS6detail17trampoline_kernelINS0_14default_configENS1_22reduce_config_selectorIN6thrust23THRUST_200600_302600_NS5tupleIblNS6_9null_typeES8_S8_S8_S8_S8_S8_S8_EEEEZNS1_11reduce_implILb1ES3_PS9_SC_S9_NS6_11hip_rocprim9__find_if7functorIS9_EEEE10hipError_tPvRmT1_T2_T3_mT4_P12ihipStream_tbEUlT_E1_NS1_11comp_targetILNS1_3genE3ELNS1_11target_archE908ELNS1_3gpuE7ELNS1_3repE0EEENS1_30default_config_static_selectorELNS0_4arch9wavefront6targetE0EEEvSK_.has_dyn_sized_stack, 0
	.set _ZN7rocprim17ROCPRIM_400000_NS6detail17trampoline_kernelINS0_14default_configENS1_22reduce_config_selectorIN6thrust23THRUST_200600_302600_NS5tupleIblNS6_9null_typeES8_S8_S8_S8_S8_S8_S8_EEEEZNS1_11reduce_implILb1ES3_PS9_SC_S9_NS6_11hip_rocprim9__find_if7functorIS9_EEEE10hipError_tPvRmT1_T2_T3_mT4_P12ihipStream_tbEUlT_E1_NS1_11comp_targetILNS1_3genE3ELNS1_11target_archE908ELNS1_3gpuE7ELNS1_3repE0EEENS1_30default_config_static_selectorELNS0_4arch9wavefront6targetE0EEEvSK_.has_recursion, 0
	.set _ZN7rocprim17ROCPRIM_400000_NS6detail17trampoline_kernelINS0_14default_configENS1_22reduce_config_selectorIN6thrust23THRUST_200600_302600_NS5tupleIblNS6_9null_typeES8_S8_S8_S8_S8_S8_S8_EEEEZNS1_11reduce_implILb1ES3_PS9_SC_S9_NS6_11hip_rocprim9__find_if7functorIS9_EEEE10hipError_tPvRmT1_T2_T3_mT4_P12ihipStream_tbEUlT_E1_NS1_11comp_targetILNS1_3genE3ELNS1_11target_archE908ELNS1_3gpuE7ELNS1_3repE0EEENS1_30default_config_static_selectorELNS0_4arch9wavefront6targetE0EEEvSK_.has_indirect_call, 0
	.section	.AMDGPU.csdata,"",@progbits
; Kernel info:
; codeLenInByte = 0
; TotalNumSgprs: 0
; NumVgprs: 0
; ScratchSize: 0
; MemoryBound: 0
; FloatMode: 240
; IeeeMode: 1
; LDSByteSize: 0 bytes/workgroup (compile time only)
; SGPRBlocks: 0
; VGPRBlocks: 0
; NumSGPRsForWavesPerEU: 1
; NumVGPRsForWavesPerEU: 1
; Occupancy: 16
; WaveLimiterHint : 0
; COMPUTE_PGM_RSRC2:SCRATCH_EN: 0
; COMPUTE_PGM_RSRC2:USER_SGPR: 6
; COMPUTE_PGM_RSRC2:TRAP_HANDLER: 0
; COMPUTE_PGM_RSRC2:TGID_X_EN: 1
; COMPUTE_PGM_RSRC2:TGID_Y_EN: 0
; COMPUTE_PGM_RSRC2:TGID_Z_EN: 0
; COMPUTE_PGM_RSRC2:TIDIG_COMP_CNT: 0
	.section	.text._ZN7rocprim17ROCPRIM_400000_NS6detail17trampoline_kernelINS0_14default_configENS1_22reduce_config_selectorIN6thrust23THRUST_200600_302600_NS5tupleIblNS6_9null_typeES8_S8_S8_S8_S8_S8_S8_EEEEZNS1_11reduce_implILb1ES3_PS9_SC_S9_NS6_11hip_rocprim9__find_if7functorIS9_EEEE10hipError_tPvRmT1_T2_T3_mT4_P12ihipStream_tbEUlT_E1_NS1_11comp_targetILNS1_3genE2ELNS1_11target_archE906ELNS1_3gpuE6ELNS1_3repE0EEENS1_30default_config_static_selectorELNS0_4arch9wavefront6targetE0EEEvSK_,"axG",@progbits,_ZN7rocprim17ROCPRIM_400000_NS6detail17trampoline_kernelINS0_14default_configENS1_22reduce_config_selectorIN6thrust23THRUST_200600_302600_NS5tupleIblNS6_9null_typeES8_S8_S8_S8_S8_S8_S8_EEEEZNS1_11reduce_implILb1ES3_PS9_SC_S9_NS6_11hip_rocprim9__find_if7functorIS9_EEEE10hipError_tPvRmT1_T2_T3_mT4_P12ihipStream_tbEUlT_E1_NS1_11comp_targetILNS1_3genE2ELNS1_11target_archE906ELNS1_3gpuE6ELNS1_3repE0EEENS1_30default_config_static_selectorELNS0_4arch9wavefront6targetE0EEEvSK_,comdat
	.protected	_ZN7rocprim17ROCPRIM_400000_NS6detail17trampoline_kernelINS0_14default_configENS1_22reduce_config_selectorIN6thrust23THRUST_200600_302600_NS5tupleIblNS6_9null_typeES8_S8_S8_S8_S8_S8_S8_EEEEZNS1_11reduce_implILb1ES3_PS9_SC_S9_NS6_11hip_rocprim9__find_if7functorIS9_EEEE10hipError_tPvRmT1_T2_T3_mT4_P12ihipStream_tbEUlT_E1_NS1_11comp_targetILNS1_3genE2ELNS1_11target_archE906ELNS1_3gpuE6ELNS1_3repE0EEENS1_30default_config_static_selectorELNS0_4arch9wavefront6targetE0EEEvSK_ ; -- Begin function _ZN7rocprim17ROCPRIM_400000_NS6detail17trampoline_kernelINS0_14default_configENS1_22reduce_config_selectorIN6thrust23THRUST_200600_302600_NS5tupleIblNS6_9null_typeES8_S8_S8_S8_S8_S8_S8_EEEEZNS1_11reduce_implILb1ES3_PS9_SC_S9_NS6_11hip_rocprim9__find_if7functorIS9_EEEE10hipError_tPvRmT1_T2_T3_mT4_P12ihipStream_tbEUlT_E1_NS1_11comp_targetILNS1_3genE2ELNS1_11target_archE906ELNS1_3gpuE6ELNS1_3repE0EEENS1_30default_config_static_selectorELNS0_4arch9wavefront6targetE0EEEvSK_
	.globl	_ZN7rocprim17ROCPRIM_400000_NS6detail17trampoline_kernelINS0_14default_configENS1_22reduce_config_selectorIN6thrust23THRUST_200600_302600_NS5tupleIblNS6_9null_typeES8_S8_S8_S8_S8_S8_S8_EEEEZNS1_11reduce_implILb1ES3_PS9_SC_S9_NS6_11hip_rocprim9__find_if7functorIS9_EEEE10hipError_tPvRmT1_T2_T3_mT4_P12ihipStream_tbEUlT_E1_NS1_11comp_targetILNS1_3genE2ELNS1_11target_archE906ELNS1_3gpuE6ELNS1_3repE0EEENS1_30default_config_static_selectorELNS0_4arch9wavefront6targetE0EEEvSK_
	.p2align	8
	.type	_ZN7rocprim17ROCPRIM_400000_NS6detail17trampoline_kernelINS0_14default_configENS1_22reduce_config_selectorIN6thrust23THRUST_200600_302600_NS5tupleIblNS6_9null_typeES8_S8_S8_S8_S8_S8_S8_EEEEZNS1_11reduce_implILb1ES3_PS9_SC_S9_NS6_11hip_rocprim9__find_if7functorIS9_EEEE10hipError_tPvRmT1_T2_T3_mT4_P12ihipStream_tbEUlT_E1_NS1_11comp_targetILNS1_3genE2ELNS1_11target_archE906ELNS1_3gpuE6ELNS1_3repE0EEENS1_30default_config_static_selectorELNS0_4arch9wavefront6targetE0EEEvSK_,@function
_ZN7rocprim17ROCPRIM_400000_NS6detail17trampoline_kernelINS0_14default_configENS1_22reduce_config_selectorIN6thrust23THRUST_200600_302600_NS5tupleIblNS6_9null_typeES8_S8_S8_S8_S8_S8_S8_EEEEZNS1_11reduce_implILb1ES3_PS9_SC_S9_NS6_11hip_rocprim9__find_if7functorIS9_EEEE10hipError_tPvRmT1_T2_T3_mT4_P12ihipStream_tbEUlT_E1_NS1_11comp_targetILNS1_3genE2ELNS1_11target_archE906ELNS1_3gpuE6ELNS1_3repE0EEENS1_30default_config_static_selectorELNS0_4arch9wavefront6targetE0EEEvSK_: ; @_ZN7rocprim17ROCPRIM_400000_NS6detail17trampoline_kernelINS0_14default_configENS1_22reduce_config_selectorIN6thrust23THRUST_200600_302600_NS5tupleIblNS6_9null_typeES8_S8_S8_S8_S8_S8_S8_EEEEZNS1_11reduce_implILb1ES3_PS9_SC_S9_NS6_11hip_rocprim9__find_if7functorIS9_EEEE10hipError_tPvRmT1_T2_T3_mT4_P12ihipStream_tbEUlT_E1_NS1_11comp_targetILNS1_3genE2ELNS1_11target_archE906ELNS1_3gpuE6ELNS1_3repE0EEENS1_30default_config_static_selectorELNS0_4arch9wavefront6targetE0EEEvSK_
; %bb.0:
	.section	.rodata,"a",@progbits
	.p2align	6, 0x0
	.amdhsa_kernel _ZN7rocprim17ROCPRIM_400000_NS6detail17trampoline_kernelINS0_14default_configENS1_22reduce_config_selectorIN6thrust23THRUST_200600_302600_NS5tupleIblNS6_9null_typeES8_S8_S8_S8_S8_S8_S8_EEEEZNS1_11reduce_implILb1ES3_PS9_SC_S9_NS6_11hip_rocprim9__find_if7functorIS9_EEEE10hipError_tPvRmT1_T2_T3_mT4_P12ihipStream_tbEUlT_E1_NS1_11comp_targetILNS1_3genE2ELNS1_11target_archE906ELNS1_3gpuE6ELNS1_3repE0EEENS1_30default_config_static_selectorELNS0_4arch9wavefront6targetE0EEEvSK_
		.amdhsa_group_segment_fixed_size 0
		.amdhsa_private_segment_fixed_size 0
		.amdhsa_kernarg_size 56
		.amdhsa_user_sgpr_count 6
		.amdhsa_user_sgpr_private_segment_buffer 1
		.amdhsa_user_sgpr_dispatch_ptr 0
		.amdhsa_user_sgpr_queue_ptr 0
		.amdhsa_user_sgpr_kernarg_segment_ptr 1
		.amdhsa_user_sgpr_dispatch_id 0
		.amdhsa_user_sgpr_flat_scratch_init 0
		.amdhsa_user_sgpr_private_segment_size 0
		.amdhsa_wavefront_size32 1
		.amdhsa_uses_dynamic_stack 0
		.amdhsa_system_sgpr_private_segment_wavefront_offset 0
		.amdhsa_system_sgpr_workgroup_id_x 1
		.amdhsa_system_sgpr_workgroup_id_y 0
		.amdhsa_system_sgpr_workgroup_id_z 0
		.amdhsa_system_sgpr_workgroup_info 0
		.amdhsa_system_vgpr_workitem_id 0
		.amdhsa_next_free_vgpr 1
		.amdhsa_next_free_sgpr 1
		.amdhsa_reserve_vcc 0
		.amdhsa_reserve_flat_scratch 0
		.amdhsa_float_round_mode_32 0
		.amdhsa_float_round_mode_16_64 0
		.amdhsa_float_denorm_mode_32 3
		.amdhsa_float_denorm_mode_16_64 3
		.amdhsa_dx10_clamp 1
		.amdhsa_ieee_mode 1
		.amdhsa_fp16_overflow 0
		.amdhsa_workgroup_processor_mode 1
		.amdhsa_memory_ordered 1
		.amdhsa_forward_progress 1
		.amdhsa_shared_vgpr_count 0
		.amdhsa_exception_fp_ieee_invalid_op 0
		.amdhsa_exception_fp_denorm_src 0
		.amdhsa_exception_fp_ieee_div_zero 0
		.amdhsa_exception_fp_ieee_overflow 0
		.amdhsa_exception_fp_ieee_underflow 0
		.amdhsa_exception_fp_ieee_inexact 0
		.amdhsa_exception_int_div_zero 0
	.end_amdhsa_kernel
	.section	.text._ZN7rocprim17ROCPRIM_400000_NS6detail17trampoline_kernelINS0_14default_configENS1_22reduce_config_selectorIN6thrust23THRUST_200600_302600_NS5tupleIblNS6_9null_typeES8_S8_S8_S8_S8_S8_S8_EEEEZNS1_11reduce_implILb1ES3_PS9_SC_S9_NS6_11hip_rocprim9__find_if7functorIS9_EEEE10hipError_tPvRmT1_T2_T3_mT4_P12ihipStream_tbEUlT_E1_NS1_11comp_targetILNS1_3genE2ELNS1_11target_archE906ELNS1_3gpuE6ELNS1_3repE0EEENS1_30default_config_static_selectorELNS0_4arch9wavefront6targetE0EEEvSK_,"axG",@progbits,_ZN7rocprim17ROCPRIM_400000_NS6detail17trampoline_kernelINS0_14default_configENS1_22reduce_config_selectorIN6thrust23THRUST_200600_302600_NS5tupleIblNS6_9null_typeES8_S8_S8_S8_S8_S8_S8_EEEEZNS1_11reduce_implILb1ES3_PS9_SC_S9_NS6_11hip_rocprim9__find_if7functorIS9_EEEE10hipError_tPvRmT1_T2_T3_mT4_P12ihipStream_tbEUlT_E1_NS1_11comp_targetILNS1_3genE2ELNS1_11target_archE906ELNS1_3gpuE6ELNS1_3repE0EEENS1_30default_config_static_selectorELNS0_4arch9wavefront6targetE0EEEvSK_,comdat
.Lfunc_end32:
	.size	_ZN7rocprim17ROCPRIM_400000_NS6detail17trampoline_kernelINS0_14default_configENS1_22reduce_config_selectorIN6thrust23THRUST_200600_302600_NS5tupleIblNS6_9null_typeES8_S8_S8_S8_S8_S8_S8_EEEEZNS1_11reduce_implILb1ES3_PS9_SC_S9_NS6_11hip_rocprim9__find_if7functorIS9_EEEE10hipError_tPvRmT1_T2_T3_mT4_P12ihipStream_tbEUlT_E1_NS1_11comp_targetILNS1_3genE2ELNS1_11target_archE906ELNS1_3gpuE6ELNS1_3repE0EEENS1_30default_config_static_selectorELNS0_4arch9wavefront6targetE0EEEvSK_, .Lfunc_end32-_ZN7rocprim17ROCPRIM_400000_NS6detail17trampoline_kernelINS0_14default_configENS1_22reduce_config_selectorIN6thrust23THRUST_200600_302600_NS5tupleIblNS6_9null_typeES8_S8_S8_S8_S8_S8_S8_EEEEZNS1_11reduce_implILb1ES3_PS9_SC_S9_NS6_11hip_rocprim9__find_if7functorIS9_EEEE10hipError_tPvRmT1_T2_T3_mT4_P12ihipStream_tbEUlT_E1_NS1_11comp_targetILNS1_3genE2ELNS1_11target_archE906ELNS1_3gpuE6ELNS1_3repE0EEENS1_30default_config_static_selectorELNS0_4arch9wavefront6targetE0EEEvSK_
                                        ; -- End function
	.set _ZN7rocprim17ROCPRIM_400000_NS6detail17trampoline_kernelINS0_14default_configENS1_22reduce_config_selectorIN6thrust23THRUST_200600_302600_NS5tupleIblNS6_9null_typeES8_S8_S8_S8_S8_S8_S8_EEEEZNS1_11reduce_implILb1ES3_PS9_SC_S9_NS6_11hip_rocprim9__find_if7functorIS9_EEEE10hipError_tPvRmT1_T2_T3_mT4_P12ihipStream_tbEUlT_E1_NS1_11comp_targetILNS1_3genE2ELNS1_11target_archE906ELNS1_3gpuE6ELNS1_3repE0EEENS1_30default_config_static_selectorELNS0_4arch9wavefront6targetE0EEEvSK_.num_vgpr, 0
	.set _ZN7rocprim17ROCPRIM_400000_NS6detail17trampoline_kernelINS0_14default_configENS1_22reduce_config_selectorIN6thrust23THRUST_200600_302600_NS5tupleIblNS6_9null_typeES8_S8_S8_S8_S8_S8_S8_EEEEZNS1_11reduce_implILb1ES3_PS9_SC_S9_NS6_11hip_rocprim9__find_if7functorIS9_EEEE10hipError_tPvRmT1_T2_T3_mT4_P12ihipStream_tbEUlT_E1_NS1_11comp_targetILNS1_3genE2ELNS1_11target_archE906ELNS1_3gpuE6ELNS1_3repE0EEENS1_30default_config_static_selectorELNS0_4arch9wavefront6targetE0EEEvSK_.num_agpr, 0
	.set _ZN7rocprim17ROCPRIM_400000_NS6detail17trampoline_kernelINS0_14default_configENS1_22reduce_config_selectorIN6thrust23THRUST_200600_302600_NS5tupleIblNS6_9null_typeES8_S8_S8_S8_S8_S8_S8_EEEEZNS1_11reduce_implILb1ES3_PS9_SC_S9_NS6_11hip_rocprim9__find_if7functorIS9_EEEE10hipError_tPvRmT1_T2_T3_mT4_P12ihipStream_tbEUlT_E1_NS1_11comp_targetILNS1_3genE2ELNS1_11target_archE906ELNS1_3gpuE6ELNS1_3repE0EEENS1_30default_config_static_selectorELNS0_4arch9wavefront6targetE0EEEvSK_.numbered_sgpr, 0
	.set _ZN7rocprim17ROCPRIM_400000_NS6detail17trampoline_kernelINS0_14default_configENS1_22reduce_config_selectorIN6thrust23THRUST_200600_302600_NS5tupleIblNS6_9null_typeES8_S8_S8_S8_S8_S8_S8_EEEEZNS1_11reduce_implILb1ES3_PS9_SC_S9_NS6_11hip_rocprim9__find_if7functorIS9_EEEE10hipError_tPvRmT1_T2_T3_mT4_P12ihipStream_tbEUlT_E1_NS1_11comp_targetILNS1_3genE2ELNS1_11target_archE906ELNS1_3gpuE6ELNS1_3repE0EEENS1_30default_config_static_selectorELNS0_4arch9wavefront6targetE0EEEvSK_.num_named_barrier, 0
	.set _ZN7rocprim17ROCPRIM_400000_NS6detail17trampoline_kernelINS0_14default_configENS1_22reduce_config_selectorIN6thrust23THRUST_200600_302600_NS5tupleIblNS6_9null_typeES8_S8_S8_S8_S8_S8_S8_EEEEZNS1_11reduce_implILb1ES3_PS9_SC_S9_NS6_11hip_rocprim9__find_if7functorIS9_EEEE10hipError_tPvRmT1_T2_T3_mT4_P12ihipStream_tbEUlT_E1_NS1_11comp_targetILNS1_3genE2ELNS1_11target_archE906ELNS1_3gpuE6ELNS1_3repE0EEENS1_30default_config_static_selectorELNS0_4arch9wavefront6targetE0EEEvSK_.private_seg_size, 0
	.set _ZN7rocprim17ROCPRIM_400000_NS6detail17trampoline_kernelINS0_14default_configENS1_22reduce_config_selectorIN6thrust23THRUST_200600_302600_NS5tupleIblNS6_9null_typeES8_S8_S8_S8_S8_S8_S8_EEEEZNS1_11reduce_implILb1ES3_PS9_SC_S9_NS6_11hip_rocprim9__find_if7functorIS9_EEEE10hipError_tPvRmT1_T2_T3_mT4_P12ihipStream_tbEUlT_E1_NS1_11comp_targetILNS1_3genE2ELNS1_11target_archE906ELNS1_3gpuE6ELNS1_3repE0EEENS1_30default_config_static_selectorELNS0_4arch9wavefront6targetE0EEEvSK_.uses_vcc, 0
	.set _ZN7rocprim17ROCPRIM_400000_NS6detail17trampoline_kernelINS0_14default_configENS1_22reduce_config_selectorIN6thrust23THRUST_200600_302600_NS5tupleIblNS6_9null_typeES8_S8_S8_S8_S8_S8_S8_EEEEZNS1_11reduce_implILb1ES3_PS9_SC_S9_NS6_11hip_rocprim9__find_if7functorIS9_EEEE10hipError_tPvRmT1_T2_T3_mT4_P12ihipStream_tbEUlT_E1_NS1_11comp_targetILNS1_3genE2ELNS1_11target_archE906ELNS1_3gpuE6ELNS1_3repE0EEENS1_30default_config_static_selectorELNS0_4arch9wavefront6targetE0EEEvSK_.uses_flat_scratch, 0
	.set _ZN7rocprim17ROCPRIM_400000_NS6detail17trampoline_kernelINS0_14default_configENS1_22reduce_config_selectorIN6thrust23THRUST_200600_302600_NS5tupleIblNS6_9null_typeES8_S8_S8_S8_S8_S8_S8_EEEEZNS1_11reduce_implILb1ES3_PS9_SC_S9_NS6_11hip_rocprim9__find_if7functorIS9_EEEE10hipError_tPvRmT1_T2_T3_mT4_P12ihipStream_tbEUlT_E1_NS1_11comp_targetILNS1_3genE2ELNS1_11target_archE906ELNS1_3gpuE6ELNS1_3repE0EEENS1_30default_config_static_selectorELNS0_4arch9wavefront6targetE0EEEvSK_.has_dyn_sized_stack, 0
	.set _ZN7rocprim17ROCPRIM_400000_NS6detail17trampoline_kernelINS0_14default_configENS1_22reduce_config_selectorIN6thrust23THRUST_200600_302600_NS5tupleIblNS6_9null_typeES8_S8_S8_S8_S8_S8_S8_EEEEZNS1_11reduce_implILb1ES3_PS9_SC_S9_NS6_11hip_rocprim9__find_if7functorIS9_EEEE10hipError_tPvRmT1_T2_T3_mT4_P12ihipStream_tbEUlT_E1_NS1_11comp_targetILNS1_3genE2ELNS1_11target_archE906ELNS1_3gpuE6ELNS1_3repE0EEENS1_30default_config_static_selectorELNS0_4arch9wavefront6targetE0EEEvSK_.has_recursion, 0
	.set _ZN7rocprim17ROCPRIM_400000_NS6detail17trampoline_kernelINS0_14default_configENS1_22reduce_config_selectorIN6thrust23THRUST_200600_302600_NS5tupleIblNS6_9null_typeES8_S8_S8_S8_S8_S8_S8_EEEEZNS1_11reduce_implILb1ES3_PS9_SC_S9_NS6_11hip_rocprim9__find_if7functorIS9_EEEE10hipError_tPvRmT1_T2_T3_mT4_P12ihipStream_tbEUlT_E1_NS1_11comp_targetILNS1_3genE2ELNS1_11target_archE906ELNS1_3gpuE6ELNS1_3repE0EEENS1_30default_config_static_selectorELNS0_4arch9wavefront6targetE0EEEvSK_.has_indirect_call, 0
	.section	.AMDGPU.csdata,"",@progbits
; Kernel info:
; codeLenInByte = 0
; TotalNumSgprs: 0
; NumVgprs: 0
; ScratchSize: 0
; MemoryBound: 0
; FloatMode: 240
; IeeeMode: 1
; LDSByteSize: 0 bytes/workgroup (compile time only)
; SGPRBlocks: 0
; VGPRBlocks: 0
; NumSGPRsForWavesPerEU: 1
; NumVGPRsForWavesPerEU: 1
; Occupancy: 16
; WaveLimiterHint : 0
; COMPUTE_PGM_RSRC2:SCRATCH_EN: 0
; COMPUTE_PGM_RSRC2:USER_SGPR: 6
; COMPUTE_PGM_RSRC2:TRAP_HANDLER: 0
; COMPUTE_PGM_RSRC2:TGID_X_EN: 1
; COMPUTE_PGM_RSRC2:TGID_Y_EN: 0
; COMPUTE_PGM_RSRC2:TGID_Z_EN: 0
; COMPUTE_PGM_RSRC2:TIDIG_COMP_CNT: 0
	.section	.text._ZN7rocprim17ROCPRIM_400000_NS6detail17trampoline_kernelINS0_14default_configENS1_22reduce_config_selectorIN6thrust23THRUST_200600_302600_NS5tupleIblNS6_9null_typeES8_S8_S8_S8_S8_S8_S8_EEEEZNS1_11reduce_implILb1ES3_PS9_SC_S9_NS6_11hip_rocprim9__find_if7functorIS9_EEEE10hipError_tPvRmT1_T2_T3_mT4_P12ihipStream_tbEUlT_E1_NS1_11comp_targetILNS1_3genE10ELNS1_11target_archE1201ELNS1_3gpuE5ELNS1_3repE0EEENS1_30default_config_static_selectorELNS0_4arch9wavefront6targetE0EEEvSK_,"axG",@progbits,_ZN7rocprim17ROCPRIM_400000_NS6detail17trampoline_kernelINS0_14default_configENS1_22reduce_config_selectorIN6thrust23THRUST_200600_302600_NS5tupleIblNS6_9null_typeES8_S8_S8_S8_S8_S8_S8_EEEEZNS1_11reduce_implILb1ES3_PS9_SC_S9_NS6_11hip_rocprim9__find_if7functorIS9_EEEE10hipError_tPvRmT1_T2_T3_mT4_P12ihipStream_tbEUlT_E1_NS1_11comp_targetILNS1_3genE10ELNS1_11target_archE1201ELNS1_3gpuE5ELNS1_3repE0EEENS1_30default_config_static_selectorELNS0_4arch9wavefront6targetE0EEEvSK_,comdat
	.protected	_ZN7rocprim17ROCPRIM_400000_NS6detail17trampoline_kernelINS0_14default_configENS1_22reduce_config_selectorIN6thrust23THRUST_200600_302600_NS5tupleIblNS6_9null_typeES8_S8_S8_S8_S8_S8_S8_EEEEZNS1_11reduce_implILb1ES3_PS9_SC_S9_NS6_11hip_rocprim9__find_if7functorIS9_EEEE10hipError_tPvRmT1_T2_T3_mT4_P12ihipStream_tbEUlT_E1_NS1_11comp_targetILNS1_3genE10ELNS1_11target_archE1201ELNS1_3gpuE5ELNS1_3repE0EEENS1_30default_config_static_selectorELNS0_4arch9wavefront6targetE0EEEvSK_ ; -- Begin function _ZN7rocprim17ROCPRIM_400000_NS6detail17trampoline_kernelINS0_14default_configENS1_22reduce_config_selectorIN6thrust23THRUST_200600_302600_NS5tupleIblNS6_9null_typeES8_S8_S8_S8_S8_S8_S8_EEEEZNS1_11reduce_implILb1ES3_PS9_SC_S9_NS6_11hip_rocprim9__find_if7functorIS9_EEEE10hipError_tPvRmT1_T2_T3_mT4_P12ihipStream_tbEUlT_E1_NS1_11comp_targetILNS1_3genE10ELNS1_11target_archE1201ELNS1_3gpuE5ELNS1_3repE0EEENS1_30default_config_static_selectorELNS0_4arch9wavefront6targetE0EEEvSK_
	.globl	_ZN7rocprim17ROCPRIM_400000_NS6detail17trampoline_kernelINS0_14default_configENS1_22reduce_config_selectorIN6thrust23THRUST_200600_302600_NS5tupleIblNS6_9null_typeES8_S8_S8_S8_S8_S8_S8_EEEEZNS1_11reduce_implILb1ES3_PS9_SC_S9_NS6_11hip_rocprim9__find_if7functorIS9_EEEE10hipError_tPvRmT1_T2_T3_mT4_P12ihipStream_tbEUlT_E1_NS1_11comp_targetILNS1_3genE10ELNS1_11target_archE1201ELNS1_3gpuE5ELNS1_3repE0EEENS1_30default_config_static_selectorELNS0_4arch9wavefront6targetE0EEEvSK_
	.p2align	8
	.type	_ZN7rocprim17ROCPRIM_400000_NS6detail17trampoline_kernelINS0_14default_configENS1_22reduce_config_selectorIN6thrust23THRUST_200600_302600_NS5tupleIblNS6_9null_typeES8_S8_S8_S8_S8_S8_S8_EEEEZNS1_11reduce_implILb1ES3_PS9_SC_S9_NS6_11hip_rocprim9__find_if7functorIS9_EEEE10hipError_tPvRmT1_T2_T3_mT4_P12ihipStream_tbEUlT_E1_NS1_11comp_targetILNS1_3genE10ELNS1_11target_archE1201ELNS1_3gpuE5ELNS1_3repE0EEENS1_30default_config_static_selectorELNS0_4arch9wavefront6targetE0EEEvSK_,@function
_ZN7rocprim17ROCPRIM_400000_NS6detail17trampoline_kernelINS0_14default_configENS1_22reduce_config_selectorIN6thrust23THRUST_200600_302600_NS5tupleIblNS6_9null_typeES8_S8_S8_S8_S8_S8_S8_EEEEZNS1_11reduce_implILb1ES3_PS9_SC_S9_NS6_11hip_rocprim9__find_if7functorIS9_EEEE10hipError_tPvRmT1_T2_T3_mT4_P12ihipStream_tbEUlT_E1_NS1_11comp_targetILNS1_3genE10ELNS1_11target_archE1201ELNS1_3gpuE5ELNS1_3repE0EEENS1_30default_config_static_selectorELNS0_4arch9wavefront6targetE0EEEvSK_: ; @_ZN7rocprim17ROCPRIM_400000_NS6detail17trampoline_kernelINS0_14default_configENS1_22reduce_config_selectorIN6thrust23THRUST_200600_302600_NS5tupleIblNS6_9null_typeES8_S8_S8_S8_S8_S8_S8_EEEEZNS1_11reduce_implILb1ES3_PS9_SC_S9_NS6_11hip_rocprim9__find_if7functorIS9_EEEE10hipError_tPvRmT1_T2_T3_mT4_P12ihipStream_tbEUlT_E1_NS1_11comp_targetILNS1_3genE10ELNS1_11target_archE1201ELNS1_3gpuE5ELNS1_3repE0EEENS1_30default_config_static_selectorELNS0_4arch9wavefront6targetE0EEEvSK_
; %bb.0:
	.section	.rodata,"a",@progbits
	.p2align	6, 0x0
	.amdhsa_kernel _ZN7rocprim17ROCPRIM_400000_NS6detail17trampoline_kernelINS0_14default_configENS1_22reduce_config_selectorIN6thrust23THRUST_200600_302600_NS5tupleIblNS6_9null_typeES8_S8_S8_S8_S8_S8_S8_EEEEZNS1_11reduce_implILb1ES3_PS9_SC_S9_NS6_11hip_rocprim9__find_if7functorIS9_EEEE10hipError_tPvRmT1_T2_T3_mT4_P12ihipStream_tbEUlT_E1_NS1_11comp_targetILNS1_3genE10ELNS1_11target_archE1201ELNS1_3gpuE5ELNS1_3repE0EEENS1_30default_config_static_selectorELNS0_4arch9wavefront6targetE0EEEvSK_
		.amdhsa_group_segment_fixed_size 0
		.amdhsa_private_segment_fixed_size 0
		.amdhsa_kernarg_size 56
		.amdhsa_user_sgpr_count 6
		.amdhsa_user_sgpr_private_segment_buffer 1
		.amdhsa_user_sgpr_dispatch_ptr 0
		.amdhsa_user_sgpr_queue_ptr 0
		.amdhsa_user_sgpr_kernarg_segment_ptr 1
		.amdhsa_user_sgpr_dispatch_id 0
		.amdhsa_user_sgpr_flat_scratch_init 0
		.amdhsa_user_sgpr_private_segment_size 0
		.amdhsa_wavefront_size32 1
		.amdhsa_uses_dynamic_stack 0
		.amdhsa_system_sgpr_private_segment_wavefront_offset 0
		.amdhsa_system_sgpr_workgroup_id_x 1
		.amdhsa_system_sgpr_workgroup_id_y 0
		.amdhsa_system_sgpr_workgroup_id_z 0
		.amdhsa_system_sgpr_workgroup_info 0
		.amdhsa_system_vgpr_workitem_id 0
		.amdhsa_next_free_vgpr 1
		.amdhsa_next_free_sgpr 1
		.amdhsa_reserve_vcc 0
		.amdhsa_reserve_flat_scratch 0
		.amdhsa_float_round_mode_32 0
		.amdhsa_float_round_mode_16_64 0
		.amdhsa_float_denorm_mode_32 3
		.amdhsa_float_denorm_mode_16_64 3
		.amdhsa_dx10_clamp 1
		.amdhsa_ieee_mode 1
		.amdhsa_fp16_overflow 0
		.amdhsa_workgroup_processor_mode 1
		.amdhsa_memory_ordered 1
		.amdhsa_forward_progress 1
		.amdhsa_shared_vgpr_count 0
		.amdhsa_exception_fp_ieee_invalid_op 0
		.amdhsa_exception_fp_denorm_src 0
		.amdhsa_exception_fp_ieee_div_zero 0
		.amdhsa_exception_fp_ieee_overflow 0
		.amdhsa_exception_fp_ieee_underflow 0
		.amdhsa_exception_fp_ieee_inexact 0
		.amdhsa_exception_int_div_zero 0
	.end_amdhsa_kernel
	.section	.text._ZN7rocprim17ROCPRIM_400000_NS6detail17trampoline_kernelINS0_14default_configENS1_22reduce_config_selectorIN6thrust23THRUST_200600_302600_NS5tupleIblNS6_9null_typeES8_S8_S8_S8_S8_S8_S8_EEEEZNS1_11reduce_implILb1ES3_PS9_SC_S9_NS6_11hip_rocprim9__find_if7functorIS9_EEEE10hipError_tPvRmT1_T2_T3_mT4_P12ihipStream_tbEUlT_E1_NS1_11comp_targetILNS1_3genE10ELNS1_11target_archE1201ELNS1_3gpuE5ELNS1_3repE0EEENS1_30default_config_static_selectorELNS0_4arch9wavefront6targetE0EEEvSK_,"axG",@progbits,_ZN7rocprim17ROCPRIM_400000_NS6detail17trampoline_kernelINS0_14default_configENS1_22reduce_config_selectorIN6thrust23THRUST_200600_302600_NS5tupleIblNS6_9null_typeES8_S8_S8_S8_S8_S8_S8_EEEEZNS1_11reduce_implILb1ES3_PS9_SC_S9_NS6_11hip_rocprim9__find_if7functorIS9_EEEE10hipError_tPvRmT1_T2_T3_mT4_P12ihipStream_tbEUlT_E1_NS1_11comp_targetILNS1_3genE10ELNS1_11target_archE1201ELNS1_3gpuE5ELNS1_3repE0EEENS1_30default_config_static_selectorELNS0_4arch9wavefront6targetE0EEEvSK_,comdat
.Lfunc_end33:
	.size	_ZN7rocprim17ROCPRIM_400000_NS6detail17trampoline_kernelINS0_14default_configENS1_22reduce_config_selectorIN6thrust23THRUST_200600_302600_NS5tupleIblNS6_9null_typeES8_S8_S8_S8_S8_S8_S8_EEEEZNS1_11reduce_implILb1ES3_PS9_SC_S9_NS6_11hip_rocprim9__find_if7functorIS9_EEEE10hipError_tPvRmT1_T2_T3_mT4_P12ihipStream_tbEUlT_E1_NS1_11comp_targetILNS1_3genE10ELNS1_11target_archE1201ELNS1_3gpuE5ELNS1_3repE0EEENS1_30default_config_static_selectorELNS0_4arch9wavefront6targetE0EEEvSK_, .Lfunc_end33-_ZN7rocprim17ROCPRIM_400000_NS6detail17trampoline_kernelINS0_14default_configENS1_22reduce_config_selectorIN6thrust23THRUST_200600_302600_NS5tupleIblNS6_9null_typeES8_S8_S8_S8_S8_S8_S8_EEEEZNS1_11reduce_implILb1ES3_PS9_SC_S9_NS6_11hip_rocprim9__find_if7functorIS9_EEEE10hipError_tPvRmT1_T2_T3_mT4_P12ihipStream_tbEUlT_E1_NS1_11comp_targetILNS1_3genE10ELNS1_11target_archE1201ELNS1_3gpuE5ELNS1_3repE0EEENS1_30default_config_static_selectorELNS0_4arch9wavefront6targetE0EEEvSK_
                                        ; -- End function
	.set _ZN7rocprim17ROCPRIM_400000_NS6detail17trampoline_kernelINS0_14default_configENS1_22reduce_config_selectorIN6thrust23THRUST_200600_302600_NS5tupleIblNS6_9null_typeES8_S8_S8_S8_S8_S8_S8_EEEEZNS1_11reduce_implILb1ES3_PS9_SC_S9_NS6_11hip_rocprim9__find_if7functorIS9_EEEE10hipError_tPvRmT1_T2_T3_mT4_P12ihipStream_tbEUlT_E1_NS1_11comp_targetILNS1_3genE10ELNS1_11target_archE1201ELNS1_3gpuE5ELNS1_3repE0EEENS1_30default_config_static_selectorELNS0_4arch9wavefront6targetE0EEEvSK_.num_vgpr, 0
	.set _ZN7rocprim17ROCPRIM_400000_NS6detail17trampoline_kernelINS0_14default_configENS1_22reduce_config_selectorIN6thrust23THRUST_200600_302600_NS5tupleIblNS6_9null_typeES8_S8_S8_S8_S8_S8_S8_EEEEZNS1_11reduce_implILb1ES3_PS9_SC_S9_NS6_11hip_rocprim9__find_if7functorIS9_EEEE10hipError_tPvRmT1_T2_T3_mT4_P12ihipStream_tbEUlT_E1_NS1_11comp_targetILNS1_3genE10ELNS1_11target_archE1201ELNS1_3gpuE5ELNS1_3repE0EEENS1_30default_config_static_selectorELNS0_4arch9wavefront6targetE0EEEvSK_.num_agpr, 0
	.set _ZN7rocprim17ROCPRIM_400000_NS6detail17trampoline_kernelINS0_14default_configENS1_22reduce_config_selectorIN6thrust23THRUST_200600_302600_NS5tupleIblNS6_9null_typeES8_S8_S8_S8_S8_S8_S8_EEEEZNS1_11reduce_implILb1ES3_PS9_SC_S9_NS6_11hip_rocprim9__find_if7functorIS9_EEEE10hipError_tPvRmT1_T2_T3_mT4_P12ihipStream_tbEUlT_E1_NS1_11comp_targetILNS1_3genE10ELNS1_11target_archE1201ELNS1_3gpuE5ELNS1_3repE0EEENS1_30default_config_static_selectorELNS0_4arch9wavefront6targetE0EEEvSK_.numbered_sgpr, 0
	.set _ZN7rocprim17ROCPRIM_400000_NS6detail17trampoline_kernelINS0_14default_configENS1_22reduce_config_selectorIN6thrust23THRUST_200600_302600_NS5tupleIblNS6_9null_typeES8_S8_S8_S8_S8_S8_S8_EEEEZNS1_11reduce_implILb1ES3_PS9_SC_S9_NS6_11hip_rocprim9__find_if7functorIS9_EEEE10hipError_tPvRmT1_T2_T3_mT4_P12ihipStream_tbEUlT_E1_NS1_11comp_targetILNS1_3genE10ELNS1_11target_archE1201ELNS1_3gpuE5ELNS1_3repE0EEENS1_30default_config_static_selectorELNS0_4arch9wavefront6targetE0EEEvSK_.num_named_barrier, 0
	.set _ZN7rocprim17ROCPRIM_400000_NS6detail17trampoline_kernelINS0_14default_configENS1_22reduce_config_selectorIN6thrust23THRUST_200600_302600_NS5tupleIblNS6_9null_typeES8_S8_S8_S8_S8_S8_S8_EEEEZNS1_11reduce_implILb1ES3_PS9_SC_S9_NS6_11hip_rocprim9__find_if7functorIS9_EEEE10hipError_tPvRmT1_T2_T3_mT4_P12ihipStream_tbEUlT_E1_NS1_11comp_targetILNS1_3genE10ELNS1_11target_archE1201ELNS1_3gpuE5ELNS1_3repE0EEENS1_30default_config_static_selectorELNS0_4arch9wavefront6targetE0EEEvSK_.private_seg_size, 0
	.set _ZN7rocprim17ROCPRIM_400000_NS6detail17trampoline_kernelINS0_14default_configENS1_22reduce_config_selectorIN6thrust23THRUST_200600_302600_NS5tupleIblNS6_9null_typeES8_S8_S8_S8_S8_S8_S8_EEEEZNS1_11reduce_implILb1ES3_PS9_SC_S9_NS6_11hip_rocprim9__find_if7functorIS9_EEEE10hipError_tPvRmT1_T2_T3_mT4_P12ihipStream_tbEUlT_E1_NS1_11comp_targetILNS1_3genE10ELNS1_11target_archE1201ELNS1_3gpuE5ELNS1_3repE0EEENS1_30default_config_static_selectorELNS0_4arch9wavefront6targetE0EEEvSK_.uses_vcc, 0
	.set _ZN7rocprim17ROCPRIM_400000_NS6detail17trampoline_kernelINS0_14default_configENS1_22reduce_config_selectorIN6thrust23THRUST_200600_302600_NS5tupleIblNS6_9null_typeES8_S8_S8_S8_S8_S8_S8_EEEEZNS1_11reduce_implILb1ES3_PS9_SC_S9_NS6_11hip_rocprim9__find_if7functorIS9_EEEE10hipError_tPvRmT1_T2_T3_mT4_P12ihipStream_tbEUlT_E1_NS1_11comp_targetILNS1_3genE10ELNS1_11target_archE1201ELNS1_3gpuE5ELNS1_3repE0EEENS1_30default_config_static_selectorELNS0_4arch9wavefront6targetE0EEEvSK_.uses_flat_scratch, 0
	.set _ZN7rocprim17ROCPRIM_400000_NS6detail17trampoline_kernelINS0_14default_configENS1_22reduce_config_selectorIN6thrust23THRUST_200600_302600_NS5tupleIblNS6_9null_typeES8_S8_S8_S8_S8_S8_S8_EEEEZNS1_11reduce_implILb1ES3_PS9_SC_S9_NS6_11hip_rocprim9__find_if7functorIS9_EEEE10hipError_tPvRmT1_T2_T3_mT4_P12ihipStream_tbEUlT_E1_NS1_11comp_targetILNS1_3genE10ELNS1_11target_archE1201ELNS1_3gpuE5ELNS1_3repE0EEENS1_30default_config_static_selectorELNS0_4arch9wavefront6targetE0EEEvSK_.has_dyn_sized_stack, 0
	.set _ZN7rocprim17ROCPRIM_400000_NS6detail17trampoline_kernelINS0_14default_configENS1_22reduce_config_selectorIN6thrust23THRUST_200600_302600_NS5tupleIblNS6_9null_typeES8_S8_S8_S8_S8_S8_S8_EEEEZNS1_11reduce_implILb1ES3_PS9_SC_S9_NS6_11hip_rocprim9__find_if7functorIS9_EEEE10hipError_tPvRmT1_T2_T3_mT4_P12ihipStream_tbEUlT_E1_NS1_11comp_targetILNS1_3genE10ELNS1_11target_archE1201ELNS1_3gpuE5ELNS1_3repE0EEENS1_30default_config_static_selectorELNS0_4arch9wavefront6targetE0EEEvSK_.has_recursion, 0
	.set _ZN7rocprim17ROCPRIM_400000_NS6detail17trampoline_kernelINS0_14default_configENS1_22reduce_config_selectorIN6thrust23THRUST_200600_302600_NS5tupleIblNS6_9null_typeES8_S8_S8_S8_S8_S8_S8_EEEEZNS1_11reduce_implILb1ES3_PS9_SC_S9_NS6_11hip_rocprim9__find_if7functorIS9_EEEE10hipError_tPvRmT1_T2_T3_mT4_P12ihipStream_tbEUlT_E1_NS1_11comp_targetILNS1_3genE10ELNS1_11target_archE1201ELNS1_3gpuE5ELNS1_3repE0EEENS1_30default_config_static_selectorELNS0_4arch9wavefront6targetE0EEEvSK_.has_indirect_call, 0
	.section	.AMDGPU.csdata,"",@progbits
; Kernel info:
; codeLenInByte = 0
; TotalNumSgprs: 0
; NumVgprs: 0
; ScratchSize: 0
; MemoryBound: 0
; FloatMode: 240
; IeeeMode: 1
; LDSByteSize: 0 bytes/workgroup (compile time only)
; SGPRBlocks: 0
; VGPRBlocks: 0
; NumSGPRsForWavesPerEU: 1
; NumVGPRsForWavesPerEU: 1
; Occupancy: 16
; WaveLimiterHint : 0
; COMPUTE_PGM_RSRC2:SCRATCH_EN: 0
; COMPUTE_PGM_RSRC2:USER_SGPR: 6
; COMPUTE_PGM_RSRC2:TRAP_HANDLER: 0
; COMPUTE_PGM_RSRC2:TGID_X_EN: 1
; COMPUTE_PGM_RSRC2:TGID_Y_EN: 0
; COMPUTE_PGM_RSRC2:TGID_Z_EN: 0
; COMPUTE_PGM_RSRC2:TIDIG_COMP_CNT: 0
	.section	.text._ZN7rocprim17ROCPRIM_400000_NS6detail17trampoline_kernelINS0_14default_configENS1_22reduce_config_selectorIN6thrust23THRUST_200600_302600_NS5tupleIblNS6_9null_typeES8_S8_S8_S8_S8_S8_S8_EEEEZNS1_11reduce_implILb1ES3_PS9_SC_S9_NS6_11hip_rocprim9__find_if7functorIS9_EEEE10hipError_tPvRmT1_T2_T3_mT4_P12ihipStream_tbEUlT_E1_NS1_11comp_targetILNS1_3genE10ELNS1_11target_archE1200ELNS1_3gpuE4ELNS1_3repE0EEENS1_30default_config_static_selectorELNS0_4arch9wavefront6targetE0EEEvSK_,"axG",@progbits,_ZN7rocprim17ROCPRIM_400000_NS6detail17trampoline_kernelINS0_14default_configENS1_22reduce_config_selectorIN6thrust23THRUST_200600_302600_NS5tupleIblNS6_9null_typeES8_S8_S8_S8_S8_S8_S8_EEEEZNS1_11reduce_implILb1ES3_PS9_SC_S9_NS6_11hip_rocprim9__find_if7functorIS9_EEEE10hipError_tPvRmT1_T2_T3_mT4_P12ihipStream_tbEUlT_E1_NS1_11comp_targetILNS1_3genE10ELNS1_11target_archE1200ELNS1_3gpuE4ELNS1_3repE0EEENS1_30default_config_static_selectorELNS0_4arch9wavefront6targetE0EEEvSK_,comdat
	.protected	_ZN7rocprim17ROCPRIM_400000_NS6detail17trampoline_kernelINS0_14default_configENS1_22reduce_config_selectorIN6thrust23THRUST_200600_302600_NS5tupleIblNS6_9null_typeES8_S8_S8_S8_S8_S8_S8_EEEEZNS1_11reduce_implILb1ES3_PS9_SC_S9_NS6_11hip_rocprim9__find_if7functorIS9_EEEE10hipError_tPvRmT1_T2_T3_mT4_P12ihipStream_tbEUlT_E1_NS1_11comp_targetILNS1_3genE10ELNS1_11target_archE1200ELNS1_3gpuE4ELNS1_3repE0EEENS1_30default_config_static_selectorELNS0_4arch9wavefront6targetE0EEEvSK_ ; -- Begin function _ZN7rocprim17ROCPRIM_400000_NS6detail17trampoline_kernelINS0_14default_configENS1_22reduce_config_selectorIN6thrust23THRUST_200600_302600_NS5tupleIblNS6_9null_typeES8_S8_S8_S8_S8_S8_S8_EEEEZNS1_11reduce_implILb1ES3_PS9_SC_S9_NS6_11hip_rocprim9__find_if7functorIS9_EEEE10hipError_tPvRmT1_T2_T3_mT4_P12ihipStream_tbEUlT_E1_NS1_11comp_targetILNS1_3genE10ELNS1_11target_archE1200ELNS1_3gpuE4ELNS1_3repE0EEENS1_30default_config_static_selectorELNS0_4arch9wavefront6targetE0EEEvSK_
	.globl	_ZN7rocprim17ROCPRIM_400000_NS6detail17trampoline_kernelINS0_14default_configENS1_22reduce_config_selectorIN6thrust23THRUST_200600_302600_NS5tupleIblNS6_9null_typeES8_S8_S8_S8_S8_S8_S8_EEEEZNS1_11reduce_implILb1ES3_PS9_SC_S9_NS6_11hip_rocprim9__find_if7functorIS9_EEEE10hipError_tPvRmT1_T2_T3_mT4_P12ihipStream_tbEUlT_E1_NS1_11comp_targetILNS1_3genE10ELNS1_11target_archE1200ELNS1_3gpuE4ELNS1_3repE0EEENS1_30default_config_static_selectorELNS0_4arch9wavefront6targetE0EEEvSK_
	.p2align	8
	.type	_ZN7rocprim17ROCPRIM_400000_NS6detail17trampoline_kernelINS0_14default_configENS1_22reduce_config_selectorIN6thrust23THRUST_200600_302600_NS5tupleIblNS6_9null_typeES8_S8_S8_S8_S8_S8_S8_EEEEZNS1_11reduce_implILb1ES3_PS9_SC_S9_NS6_11hip_rocprim9__find_if7functorIS9_EEEE10hipError_tPvRmT1_T2_T3_mT4_P12ihipStream_tbEUlT_E1_NS1_11comp_targetILNS1_3genE10ELNS1_11target_archE1200ELNS1_3gpuE4ELNS1_3repE0EEENS1_30default_config_static_selectorELNS0_4arch9wavefront6targetE0EEEvSK_,@function
_ZN7rocprim17ROCPRIM_400000_NS6detail17trampoline_kernelINS0_14default_configENS1_22reduce_config_selectorIN6thrust23THRUST_200600_302600_NS5tupleIblNS6_9null_typeES8_S8_S8_S8_S8_S8_S8_EEEEZNS1_11reduce_implILb1ES3_PS9_SC_S9_NS6_11hip_rocprim9__find_if7functorIS9_EEEE10hipError_tPvRmT1_T2_T3_mT4_P12ihipStream_tbEUlT_E1_NS1_11comp_targetILNS1_3genE10ELNS1_11target_archE1200ELNS1_3gpuE4ELNS1_3repE0EEENS1_30default_config_static_selectorELNS0_4arch9wavefront6targetE0EEEvSK_: ; @_ZN7rocprim17ROCPRIM_400000_NS6detail17trampoline_kernelINS0_14default_configENS1_22reduce_config_selectorIN6thrust23THRUST_200600_302600_NS5tupleIblNS6_9null_typeES8_S8_S8_S8_S8_S8_S8_EEEEZNS1_11reduce_implILb1ES3_PS9_SC_S9_NS6_11hip_rocprim9__find_if7functorIS9_EEEE10hipError_tPvRmT1_T2_T3_mT4_P12ihipStream_tbEUlT_E1_NS1_11comp_targetILNS1_3genE10ELNS1_11target_archE1200ELNS1_3gpuE4ELNS1_3repE0EEENS1_30default_config_static_selectorELNS0_4arch9wavefront6targetE0EEEvSK_
; %bb.0:
	.section	.rodata,"a",@progbits
	.p2align	6, 0x0
	.amdhsa_kernel _ZN7rocprim17ROCPRIM_400000_NS6detail17trampoline_kernelINS0_14default_configENS1_22reduce_config_selectorIN6thrust23THRUST_200600_302600_NS5tupleIblNS6_9null_typeES8_S8_S8_S8_S8_S8_S8_EEEEZNS1_11reduce_implILb1ES3_PS9_SC_S9_NS6_11hip_rocprim9__find_if7functorIS9_EEEE10hipError_tPvRmT1_T2_T3_mT4_P12ihipStream_tbEUlT_E1_NS1_11comp_targetILNS1_3genE10ELNS1_11target_archE1200ELNS1_3gpuE4ELNS1_3repE0EEENS1_30default_config_static_selectorELNS0_4arch9wavefront6targetE0EEEvSK_
		.amdhsa_group_segment_fixed_size 0
		.amdhsa_private_segment_fixed_size 0
		.amdhsa_kernarg_size 56
		.amdhsa_user_sgpr_count 6
		.amdhsa_user_sgpr_private_segment_buffer 1
		.amdhsa_user_sgpr_dispatch_ptr 0
		.amdhsa_user_sgpr_queue_ptr 0
		.amdhsa_user_sgpr_kernarg_segment_ptr 1
		.amdhsa_user_sgpr_dispatch_id 0
		.amdhsa_user_sgpr_flat_scratch_init 0
		.amdhsa_user_sgpr_private_segment_size 0
		.amdhsa_wavefront_size32 1
		.amdhsa_uses_dynamic_stack 0
		.amdhsa_system_sgpr_private_segment_wavefront_offset 0
		.amdhsa_system_sgpr_workgroup_id_x 1
		.amdhsa_system_sgpr_workgroup_id_y 0
		.amdhsa_system_sgpr_workgroup_id_z 0
		.amdhsa_system_sgpr_workgroup_info 0
		.amdhsa_system_vgpr_workitem_id 0
		.amdhsa_next_free_vgpr 1
		.amdhsa_next_free_sgpr 1
		.amdhsa_reserve_vcc 0
		.amdhsa_reserve_flat_scratch 0
		.amdhsa_float_round_mode_32 0
		.amdhsa_float_round_mode_16_64 0
		.amdhsa_float_denorm_mode_32 3
		.amdhsa_float_denorm_mode_16_64 3
		.amdhsa_dx10_clamp 1
		.amdhsa_ieee_mode 1
		.amdhsa_fp16_overflow 0
		.amdhsa_workgroup_processor_mode 1
		.amdhsa_memory_ordered 1
		.amdhsa_forward_progress 1
		.amdhsa_shared_vgpr_count 0
		.amdhsa_exception_fp_ieee_invalid_op 0
		.amdhsa_exception_fp_denorm_src 0
		.amdhsa_exception_fp_ieee_div_zero 0
		.amdhsa_exception_fp_ieee_overflow 0
		.amdhsa_exception_fp_ieee_underflow 0
		.amdhsa_exception_fp_ieee_inexact 0
		.amdhsa_exception_int_div_zero 0
	.end_amdhsa_kernel
	.section	.text._ZN7rocprim17ROCPRIM_400000_NS6detail17trampoline_kernelINS0_14default_configENS1_22reduce_config_selectorIN6thrust23THRUST_200600_302600_NS5tupleIblNS6_9null_typeES8_S8_S8_S8_S8_S8_S8_EEEEZNS1_11reduce_implILb1ES3_PS9_SC_S9_NS6_11hip_rocprim9__find_if7functorIS9_EEEE10hipError_tPvRmT1_T2_T3_mT4_P12ihipStream_tbEUlT_E1_NS1_11comp_targetILNS1_3genE10ELNS1_11target_archE1200ELNS1_3gpuE4ELNS1_3repE0EEENS1_30default_config_static_selectorELNS0_4arch9wavefront6targetE0EEEvSK_,"axG",@progbits,_ZN7rocprim17ROCPRIM_400000_NS6detail17trampoline_kernelINS0_14default_configENS1_22reduce_config_selectorIN6thrust23THRUST_200600_302600_NS5tupleIblNS6_9null_typeES8_S8_S8_S8_S8_S8_S8_EEEEZNS1_11reduce_implILb1ES3_PS9_SC_S9_NS6_11hip_rocprim9__find_if7functorIS9_EEEE10hipError_tPvRmT1_T2_T3_mT4_P12ihipStream_tbEUlT_E1_NS1_11comp_targetILNS1_3genE10ELNS1_11target_archE1200ELNS1_3gpuE4ELNS1_3repE0EEENS1_30default_config_static_selectorELNS0_4arch9wavefront6targetE0EEEvSK_,comdat
.Lfunc_end34:
	.size	_ZN7rocprim17ROCPRIM_400000_NS6detail17trampoline_kernelINS0_14default_configENS1_22reduce_config_selectorIN6thrust23THRUST_200600_302600_NS5tupleIblNS6_9null_typeES8_S8_S8_S8_S8_S8_S8_EEEEZNS1_11reduce_implILb1ES3_PS9_SC_S9_NS6_11hip_rocprim9__find_if7functorIS9_EEEE10hipError_tPvRmT1_T2_T3_mT4_P12ihipStream_tbEUlT_E1_NS1_11comp_targetILNS1_3genE10ELNS1_11target_archE1200ELNS1_3gpuE4ELNS1_3repE0EEENS1_30default_config_static_selectorELNS0_4arch9wavefront6targetE0EEEvSK_, .Lfunc_end34-_ZN7rocprim17ROCPRIM_400000_NS6detail17trampoline_kernelINS0_14default_configENS1_22reduce_config_selectorIN6thrust23THRUST_200600_302600_NS5tupleIblNS6_9null_typeES8_S8_S8_S8_S8_S8_S8_EEEEZNS1_11reduce_implILb1ES3_PS9_SC_S9_NS6_11hip_rocprim9__find_if7functorIS9_EEEE10hipError_tPvRmT1_T2_T3_mT4_P12ihipStream_tbEUlT_E1_NS1_11comp_targetILNS1_3genE10ELNS1_11target_archE1200ELNS1_3gpuE4ELNS1_3repE0EEENS1_30default_config_static_selectorELNS0_4arch9wavefront6targetE0EEEvSK_
                                        ; -- End function
	.set _ZN7rocprim17ROCPRIM_400000_NS6detail17trampoline_kernelINS0_14default_configENS1_22reduce_config_selectorIN6thrust23THRUST_200600_302600_NS5tupleIblNS6_9null_typeES8_S8_S8_S8_S8_S8_S8_EEEEZNS1_11reduce_implILb1ES3_PS9_SC_S9_NS6_11hip_rocprim9__find_if7functorIS9_EEEE10hipError_tPvRmT1_T2_T3_mT4_P12ihipStream_tbEUlT_E1_NS1_11comp_targetILNS1_3genE10ELNS1_11target_archE1200ELNS1_3gpuE4ELNS1_3repE0EEENS1_30default_config_static_selectorELNS0_4arch9wavefront6targetE0EEEvSK_.num_vgpr, 0
	.set _ZN7rocprim17ROCPRIM_400000_NS6detail17trampoline_kernelINS0_14default_configENS1_22reduce_config_selectorIN6thrust23THRUST_200600_302600_NS5tupleIblNS6_9null_typeES8_S8_S8_S8_S8_S8_S8_EEEEZNS1_11reduce_implILb1ES3_PS9_SC_S9_NS6_11hip_rocprim9__find_if7functorIS9_EEEE10hipError_tPvRmT1_T2_T3_mT4_P12ihipStream_tbEUlT_E1_NS1_11comp_targetILNS1_3genE10ELNS1_11target_archE1200ELNS1_3gpuE4ELNS1_3repE0EEENS1_30default_config_static_selectorELNS0_4arch9wavefront6targetE0EEEvSK_.num_agpr, 0
	.set _ZN7rocprim17ROCPRIM_400000_NS6detail17trampoline_kernelINS0_14default_configENS1_22reduce_config_selectorIN6thrust23THRUST_200600_302600_NS5tupleIblNS6_9null_typeES8_S8_S8_S8_S8_S8_S8_EEEEZNS1_11reduce_implILb1ES3_PS9_SC_S9_NS6_11hip_rocprim9__find_if7functorIS9_EEEE10hipError_tPvRmT1_T2_T3_mT4_P12ihipStream_tbEUlT_E1_NS1_11comp_targetILNS1_3genE10ELNS1_11target_archE1200ELNS1_3gpuE4ELNS1_3repE0EEENS1_30default_config_static_selectorELNS0_4arch9wavefront6targetE0EEEvSK_.numbered_sgpr, 0
	.set _ZN7rocprim17ROCPRIM_400000_NS6detail17trampoline_kernelINS0_14default_configENS1_22reduce_config_selectorIN6thrust23THRUST_200600_302600_NS5tupleIblNS6_9null_typeES8_S8_S8_S8_S8_S8_S8_EEEEZNS1_11reduce_implILb1ES3_PS9_SC_S9_NS6_11hip_rocprim9__find_if7functorIS9_EEEE10hipError_tPvRmT1_T2_T3_mT4_P12ihipStream_tbEUlT_E1_NS1_11comp_targetILNS1_3genE10ELNS1_11target_archE1200ELNS1_3gpuE4ELNS1_3repE0EEENS1_30default_config_static_selectorELNS0_4arch9wavefront6targetE0EEEvSK_.num_named_barrier, 0
	.set _ZN7rocprim17ROCPRIM_400000_NS6detail17trampoline_kernelINS0_14default_configENS1_22reduce_config_selectorIN6thrust23THRUST_200600_302600_NS5tupleIblNS6_9null_typeES8_S8_S8_S8_S8_S8_S8_EEEEZNS1_11reduce_implILb1ES3_PS9_SC_S9_NS6_11hip_rocprim9__find_if7functorIS9_EEEE10hipError_tPvRmT1_T2_T3_mT4_P12ihipStream_tbEUlT_E1_NS1_11comp_targetILNS1_3genE10ELNS1_11target_archE1200ELNS1_3gpuE4ELNS1_3repE0EEENS1_30default_config_static_selectorELNS0_4arch9wavefront6targetE0EEEvSK_.private_seg_size, 0
	.set _ZN7rocprim17ROCPRIM_400000_NS6detail17trampoline_kernelINS0_14default_configENS1_22reduce_config_selectorIN6thrust23THRUST_200600_302600_NS5tupleIblNS6_9null_typeES8_S8_S8_S8_S8_S8_S8_EEEEZNS1_11reduce_implILb1ES3_PS9_SC_S9_NS6_11hip_rocprim9__find_if7functorIS9_EEEE10hipError_tPvRmT1_T2_T3_mT4_P12ihipStream_tbEUlT_E1_NS1_11comp_targetILNS1_3genE10ELNS1_11target_archE1200ELNS1_3gpuE4ELNS1_3repE0EEENS1_30default_config_static_selectorELNS0_4arch9wavefront6targetE0EEEvSK_.uses_vcc, 0
	.set _ZN7rocprim17ROCPRIM_400000_NS6detail17trampoline_kernelINS0_14default_configENS1_22reduce_config_selectorIN6thrust23THRUST_200600_302600_NS5tupleIblNS6_9null_typeES8_S8_S8_S8_S8_S8_S8_EEEEZNS1_11reduce_implILb1ES3_PS9_SC_S9_NS6_11hip_rocprim9__find_if7functorIS9_EEEE10hipError_tPvRmT1_T2_T3_mT4_P12ihipStream_tbEUlT_E1_NS1_11comp_targetILNS1_3genE10ELNS1_11target_archE1200ELNS1_3gpuE4ELNS1_3repE0EEENS1_30default_config_static_selectorELNS0_4arch9wavefront6targetE0EEEvSK_.uses_flat_scratch, 0
	.set _ZN7rocprim17ROCPRIM_400000_NS6detail17trampoline_kernelINS0_14default_configENS1_22reduce_config_selectorIN6thrust23THRUST_200600_302600_NS5tupleIblNS6_9null_typeES8_S8_S8_S8_S8_S8_S8_EEEEZNS1_11reduce_implILb1ES3_PS9_SC_S9_NS6_11hip_rocprim9__find_if7functorIS9_EEEE10hipError_tPvRmT1_T2_T3_mT4_P12ihipStream_tbEUlT_E1_NS1_11comp_targetILNS1_3genE10ELNS1_11target_archE1200ELNS1_3gpuE4ELNS1_3repE0EEENS1_30default_config_static_selectorELNS0_4arch9wavefront6targetE0EEEvSK_.has_dyn_sized_stack, 0
	.set _ZN7rocprim17ROCPRIM_400000_NS6detail17trampoline_kernelINS0_14default_configENS1_22reduce_config_selectorIN6thrust23THRUST_200600_302600_NS5tupleIblNS6_9null_typeES8_S8_S8_S8_S8_S8_S8_EEEEZNS1_11reduce_implILb1ES3_PS9_SC_S9_NS6_11hip_rocprim9__find_if7functorIS9_EEEE10hipError_tPvRmT1_T2_T3_mT4_P12ihipStream_tbEUlT_E1_NS1_11comp_targetILNS1_3genE10ELNS1_11target_archE1200ELNS1_3gpuE4ELNS1_3repE0EEENS1_30default_config_static_selectorELNS0_4arch9wavefront6targetE0EEEvSK_.has_recursion, 0
	.set _ZN7rocprim17ROCPRIM_400000_NS6detail17trampoline_kernelINS0_14default_configENS1_22reduce_config_selectorIN6thrust23THRUST_200600_302600_NS5tupleIblNS6_9null_typeES8_S8_S8_S8_S8_S8_S8_EEEEZNS1_11reduce_implILb1ES3_PS9_SC_S9_NS6_11hip_rocprim9__find_if7functorIS9_EEEE10hipError_tPvRmT1_T2_T3_mT4_P12ihipStream_tbEUlT_E1_NS1_11comp_targetILNS1_3genE10ELNS1_11target_archE1200ELNS1_3gpuE4ELNS1_3repE0EEENS1_30default_config_static_selectorELNS0_4arch9wavefront6targetE0EEEvSK_.has_indirect_call, 0
	.section	.AMDGPU.csdata,"",@progbits
; Kernel info:
; codeLenInByte = 0
; TotalNumSgprs: 0
; NumVgprs: 0
; ScratchSize: 0
; MemoryBound: 0
; FloatMode: 240
; IeeeMode: 1
; LDSByteSize: 0 bytes/workgroup (compile time only)
; SGPRBlocks: 0
; VGPRBlocks: 0
; NumSGPRsForWavesPerEU: 1
; NumVGPRsForWavesPerEU: 1
; Occupancy: 16
; WaveLimiterHint : 0
; COMPUTE_PGM_RSRC2:SCRATCH_EN: 0
; COMPUTE_PGM_RSRC2:USER_SGPR: 6
; COMPUTE_PGM_RSRC2:TRAP_HANDLER: 0
; COMPUTE_PGM_RSRC2:TGID_X_EN: 1
; COMPUTE_PGM_RSRC2:TGID_Y_EN: 0
; COMPUTE_PGM_RSRC2:TGID_Z_EN: 0
; COMPUTE_PGM_RSRC2:TIDIG_COMP_CNT: 0
	.section	.text._ZN7rocprim17ROCPRIM_400000_NS6detail17trampoline_kernelINS0_14default_configENS1_22reduce_config_selectorIN6thrust23THRUST_200600_302600_NS5tupleIblNS6_9null_typeES8_S8_S8_S8_S8_S8_S8_EEEEZNS1_11reduce_implILb1ES3_PS9_SC_S9_NS6_11hip_rocprim9__find_if7functorIS9_EEEE10hipError_tPvRmT1_T2_T3_mT4_P12ihipStream_tbEUlT_E1_NS1_11comp_targetILNS1_3genE9ELNS1_11target_archE1100ELNS1_3gpuE3ELNS1_3repE0EEENS1_30default_config_static_selectorELNS0_4arch9wavefront6targetE0EEEvSK_,"axG",@progbits,_ZN7rocprim17ROCPRIM_400000_NS6detail17trampoline_kernelINS0_14default_configENS1_22reduce_config_selectorIN6thrust23THRUST_200600_302600_NS5tupleIblNS6_9null_typeES8_S8_S8_S8_S8_S8_S8_EEEEZNS1_11reduce_implILb1ES3_PS9_SC_S9_NS6_11hip_rocprim9__find_if7functorIS9_EEEE10hipError_tPvRmT1_T2_T3_mT4_P12ihipStream_tbEUlT_E1_NS1_11comp_targetILNS1_3genE9ELNS1_11target_archE1100ELNS1_3gpuE3ELNS1_3repE0EEENS1_30default_config_static_selectorELNS0_4arch9wavefront6targetE0EEEvSK_,comdat
	.protected	_ZN7rocprim17ROCPRIM_400000_NS6detail17trampoline_kernelINS0_14default_configENS1_22reduce_config_selectorIN6thrust23THRUST_200600_302600_NS5tupleIblNS6_9null_typeES8_S8_S8_S8_S8_S8_S8_EEEEZNS1_11reduce_implILb1ES3_PS9_SC_S9_NS6_11hip_rocprim9__find_if7functorIS9_EEEE10hipError_tPvRmT1_T2_T3_mT4_P12ihipStream_tbEUlT_E1_NS1_11comp_targetILNS1_3genE9ELNS1_11target_archE1100ELNS1_3gpuE3ELNS1_3repE0EEENS1_30default_config_static_selectorELNS0_4arch9wavefront6targetE0EEEvSK_ ; -- Begin function _ZN7rocprim17ROCPRIM_400000_NS6detail17trampoline_kernelINS0_14default_configENS1_22reduce_config_selectorIN6thrust23THRUST_200600_302600_NS5tupleIblNS6_9null_typeES8_S8_S8_S8_S8_S8_S8_EEEEZNS1_11reduce_implILb1ES3_PS9_SC_S9_NS6_11hip_rocprim9__find_if7functorIS9_EEEE10hipError_tPvRmT1_T2_T3_mT4_P12ihipStream_tbEUlT_E1_NS1_11comp_targetILNS1_3genE9ELNS1_11target_archE1100ELNS1_3gpuE3ELNS1_3repE0EEENS1_30default_config_static_selectorELNS0_4arch9wavefront6targetE0EEEvSK_
	.globl	_ZN7rocprim17ROCPRIM_400000_NS6detail17trampoline_kernelINS0_14default_configENS1_22reduce_config_selectorIN6thrust23THRUST_200600_302600_NS5tupleIblNS6_9null_typeES8_S8_S8_S8_S8_S8_S8_EEEEZNS1_11reduce_implILb1ES3_PS9_SC_S9_NS6_11hip_rocprim9__find_if7functorIS9_EEEE10hipError_tPvRmT1_T2_T3_mT4_P12ihipStream_tbEUlT_E1_NS1_11comp_targetILNS1_3genE9ELNS1_11target_archE1100ELNS1_3gpuE3ELNS1_3repE0EEENS1_30default_config_static_selectorELNS0_4arch9wavefront6targetE0EEEvSK_
	.p2align	8
	.type	_ZN7rocprim17ROCPRIM_400000_NS6detail17trampoline_kernelINS0_14default_configENS1_22reduce_config_selectorIN6thrust23THRUST_200600_302600_NS5tupleIblNS6_9null_typeES8_S8_S8_S8_S8_S8_S8_EEEEZNS1_11reduce_implILb1ES3_PS9_SC_S9_NS6_11hip_rocprim9__find_if7functorIS9_EEEE10hipError_tPvRmT1_T2_T3_mT4_P12ihipStream_tbEUlT_E1_NS1_11comp_targetILNS1_3genE9ELNS1_11target_archE1100ELNS1_3gpuE3ELNS1_3repE0EEENS1_30default_config_static_selectorELNS0_4arch9wavefront6targetE0EEEvSK_,@function
_ZN7rocprim17ROCPRIM_400000_NS6detail17trampoline_kernelINS0_14default_configENS1_22reduce_config_selectorIN6thrust23THRUST_200600_302600_NS5tupleIblNS6_9null_typeES8_S8_S8_S8_S8_S8_S8_EEEEZNS1_11reduce_implILb1ES3_PS9_SC_S9_NS6_11hip_rocprim9__find_if7functorIS9_EEEE10hipError_tPvRmT1_T2_T3_mT4_P12ihipStream_tbEUlT_E1_NS1_11comp_targetILNS1_3genE9ELNS1_11target_archE1100ELNS1_3gpuE3ELNS1_3repE0EEENS1_30default_config_static_selectorELNS0_4arch9wavefront6targetE0EEEvSK_: ; @_ZN7rocprim17ROCPRIM_400000_NS6detail17trampoline_kernelINS0_14default_configENS1_22reduce_config_selectorIN6thrust23THRUST_200600_302600_NS5tupleIblNS6_9null_typeES8_S8_S8_S8_S8_S8_S8_EEEEZNS1_11reduce_implILb1ES3_PS9_SC_S9_NS6_11hip_rocprim9__find_if7functorIS9_EEEE10hipError_tPvRmT1_T2_T3_mT4_P12ihipStream_tbEUlT_E1_NS1_11comp_targetILNS1_3genE9ELNS1_11target_archE1100ELNS1_3gpuE3ELNS1_3repE0EEENS1_30default_config_static_selectorELNS0_4arch9wavefront6targetE0EEEvSK_
; %bb.0:
	.section	.rodata,"a",@progbits
	.p2align	6, 0x0
	.amdhsa_kernel _ZN7rocprim17ROCPRIM_400000_NS6detail17trampoline_kernelINS0_14default_configENS1_22reduce_config_selectorIN6thrust23THRUST_200600_302600_NS5tupleIblNS6_9null_typeES8_S8_S8_S8_S8_S8_S8_EEEEZNS1_11reduce_implILb1ES3_PS9_SC_S9_NS6_11hip_rocprim9__find_if7functorIS9_EEEE10hipError_tPvRmT1_T2_T3_mT4_P12ihipStream_tbEUlT_E1_NS1_11comp_targetILNS1_3genE9ELNS1_11target_archE1100ELNS1_3gpuE3ELNS1_3repE0EEENS1_30default_config_static_selectorELNS0_4arch9wavefront6targetE0EEEvSK_
		.amdhsa_group_segment_fixed_size 0
		.amdhsa_private_segment_fixed_size 0
		.amdhsa_kernarg_size 56
		.amdhsa_user_sgpr_count 6
		.amdhsa_user_sgpr_private_segment_buffer 1
		.amdhsa_user_sgpr_dispatch_ptr 0
		.amdhsa_user_sgpr_queue_ptr 0
		.amdhsa_user_sgpr_kernarg_segment_ptr 1
		.amdhsa_user_sgpr_dispatch_id 0
		.amdhsa_user_sgpr_flat_scratch_init 0
		.amdhsa_user_sgpr_private_segment_size 0
		.amdhsa_wavefront_size32 1
		.amdhsa_uses_dynamic_stack 0
		.amdhsa_system_sgpr_private_segment_wavefront_offset 0
		.amdhsa_system_sgpr_workgroup_id_x 1
		.amdhsa_system_sgpr_workgroup_id_y 0
		.amdhsa_system_sgpr_workgroup_id_z 0
		.amdhsa_system_sgpr_workgroup_info 0
		.amdhsa_system_vgpr_workitem_id 0
		.amdhsa_next_free_vgpr 1
		.amdhsa_next_free_sgpr 1
		.amdhsa_reserve_vcc 0
		.amdhsa_reserve_flat_scratch 0
		.amdhsa_float_round_mode_32 0
		.amdhsa_float_round_mode_16_64 0
		.amdhsa_float_denorm_mode_32 3
		.amdhsa_float_denorm_mode_16_64 3
		.amdhsa_dx10_clamp 1
		.amdhsa_ieee_mode 1
		.amdhsa_fp16_overflow 0
		.amdhsa_workgroup_processor_mode 1
		.amdhsa_memory_ordered 1
		.amdhsa_forward_progress 1
		.amdhsa_shared_vgpr_count 0
		.amdhsa_exception_fp_ieee_invalid_op 0
		.amdhsa_exception_fp_denorm_src 0
		.amdhsa_exception_fp_ieee_div_zero 0
		.amdhsa_exception_fp_ieee_overflow 0
		.amdhsa_exception_fp_ieee_underflow 0
		.amdhsa_exception_fp_ieee_inexact 0
		.amdhsa_exception_int_div_zero 0
	.end_amdhsa_kernel
	.section	.text._ZN7rocprim17ROCPRIM_400000_NS6detail17trampoline_kernelINS0_14default_configENS1_22reduce_config_selectorIN6thrust23THRUST_200600_302600_NS5tupleIblNS6_9null_typeES8_S8_S8_S8_S8_S8_S8_EEEEZNS1_11reduce_implILb1ES3_PS9_SC_S9_NS6_11hip_rocprim9__find_if7functorIS9_EEEE10hipError_tPvRmT1_T2_T3_mT4_P12ihipStream_tbEUlT_E1_NS1_11comp_targetILNS1_3genE9ELNS1_11target_archE1100ELNS1_3gpuE3ELNS1_3repE0EEENS1_30default_config_static_selectorELNS0_4arch9wavefront6targetE0EEEvSK_,"axG",@progbits,_ZN7rocprim17ROCPRIM_400000_NS6detail17trampoline_kernelINS0_14default_configENS1_22reduce_config_selectorIN6thrust23THRUST_200600_302600_NS5tupleIblNS6_9null_typeES8_S8_S8_S8_S8_S8_S8_EEEEZNS1_11reduce_implILb1ES3_PS9_SC_S9_NS6_11hip_rocprim9__find_if7functorIS9_EEEE10hipError_tPvRmT1_T2_T3_mT4_P12ihipStream_tbEUlT_E1_NS1_11comp_targetILNS1_3genE9ELNS1_11target_archE1100ELNS1_3gpuE3ELNS1_3repE0EEENS1_30default_config_static_selectorELNS0_4arch9wavefront6targetE0EEEvSK_,comdat
.Lfunc_end35:
	.size	_ZN7rocprim17ROCPRIM_400000_NS6detail17trampoline_kernelINS0_14default_configENS1_22reduce_config_selectorIN6thrust23THRUST_200600_302600_NS5tupleIblNS6_9null_typeES8_S8_S8_S8_S8_S8_S8_EEEEZNS1_11reduce_implILb1ES3_PS9_SC_S9_NS6_11hip_rocprim9__find_if7functorIS9_EEEE10hipError_tPvRmT1_T2_T3_mT4_P12ihipStream_tbEUlT_E1_NS1_11comp_targetILNS1_3genE9ELNS1_11target_archE1100ELNS1_3gpuE3ELNS1_3repE0EEENS1_30default_config_static_selectorELNS0_4arch9wavefront6targetE0EEEvSK_, .Lfunc_end35-_ZN7rocprim17ROCPRIM_400000_NS6detail17trampoline_kernelINS0_14default_configENS1_22reduce_config_selectorIN6thrust23THRUST_200600_302600_NS5tupleIblNS6_9null_typeES8_S8_S8_S8_S8_S8_S8_EEEEZNS1_11reduce_implILb1ES3_PS9_SC_S9_NS6_11hip_rocprim9__find_if7functorIS9_EEEE10hipError_tPvRmT1_T2_T3_mT4_P12ihipStream_tbEUlT_E1_NS1_11comp_targetILNS1_3genE9ELNS1_11target_archE1100ELNS1_3gpuE3ELNS1_3repE0EEENS1_30default_config_static_selectorELNS0_4arch9wavefront6targetE0EEEvSK_
                                        ; -- End function
	.set _ZN7rocprim17ROCPRIM_400000_NS6detail17trampoline_kernelINS0_14default_configENS1_22reduce_config_selectorIN6thrust23THRUST_200600_302600_NS5tupleIblNS6_9null_typeES8_S8_S8_S8_S8_S8_S8_EEEEZNS1_11reduce_implILb1ES3_PS9_SC_S9_NS6_11hip_rocprim9__find_if7functorIS9_EEEE10hipError_tPvRmT1_T2_T3_mT4_P12ihipStream_tbEUlT_E1_NS1_11comp_targetILNS1_3genE9ELNS1_11target_archE1100ELNS1_3gpuE3ELNS1_3repE0EEENS1_30default_config_static_selectorELNS0_4arch9wavefront6targetE0EEEvSK_.num_vgpr, 0
	.set _ZN7rocprim17ROCPRIM_400000_NS6detail17trampoline_kernelINS0_14default_configENS1_22reduce_config_selectorIN6thrust23THRUST_200600_302600_NS5tupleIblNS6_9null_typeES8_S8_S8_S8_S8_S8_S8_EEEEZNS1_11reduce_implILb1ES3_PS9_SC_S9_NS6_11hip_rocprim9__find_if7functorIS9_EEEE10hipError_tPvRmT1_T2_T3_mT4_P12ihipStream_tbEUlT_E1_NS1_11comp_targetILNS1_3genE9ELNS1_11target_archE1100ELNS1_3gpuE3ELNS1_3repE0EEENS1_30default_config_static_selectorELNS0_4arch9wavefront6targetE0EEEvSK_.num_agpr, 0
	.set _ZN7rocprim17ROCPRIM_400000_NS6detail17trampoline_kernelINS0_14default_configENS1_22reduce_config_selectorIN6thrust23THRUST_200600_302600_NS5tupleIblNS6_9null_typeES8_S8_S8_S8_S8_S8_S8_EEEEZNS1_11reduce_implILb1ES3_PS9_SC_S9_NS6_11hip_rocprim9__find_if7functorIS9_EEEE10hipError_tPvRmT1_T2_T3_mT4_P12ihipStream_tbEUlT_E1_NS1_11comp_targetILNS1_3genE9ELNS1_11target_archE1100ELNS1_3gpuE3ELNS1_3repE0EEENS1_30default_config_static_selectorELNS0_4arch9wavefront6targetE0EEEvSK_.numbered_sgpr, 0
	.set _ZN7rocprim17ROCPRIM_400000_NS6detail17trampoline_kernelINS0_14default_configENS1_22reduce_config_selectorIN6thrust23THRUST_200600_302600_NS5tupleIblNS6_9null_typeES8_S8_S8_S8_S8_S8_S8_EEEEZNS1_11reduce_implILb1ES3_PS9_SC_S9_NS6_11hip_rocprim9__find_if7functorIS9_EEEE10hipError_tPvRmT1_T2_T3_mT4_P12ihipStream_tbEUlT_E1_NS1_11comp_targetILNS1_3genE9ELNS1_11target_archE1100ELNS1_3gpuE3ELNS1_3repE0EEENS1_30default_config_static_selectorELNS0_4arch9wavefront6targetE0EEEvSK_.num_named_barrier, 0
	.set _ZN7rocprim17ROCPRIM_400000_NS6detail17trampoline_kernelINS0_14default_configENS1_22reduce_config_selectorIN6thrust23THRUST_200600_302600_NS5tupleIblNS6_9null_typeES8_S8_S8_S8_S8_S8_S8_EEEEZNS1_11reduce_implILb1ES3_PS9_SC_S9_NS6_11hip_rocprim9__find_if7functorIS9_EEEE10hipError_tPvRmT1_T2_T3_mT4_P12ihipStream_tbEUlT_E1_NS1_11comp_targetILNS1_3genE9ELNS1_11target_archE1100ELNS1_3gpuE3ELNS1_3repE0EEENS1_30default_config_static_selectorELNS0_4arch9wavefront6targetE0EEEvSK_.private_seg_size, 0
	.set _ZN7rocprim17ROCPRIM_400000_NS6detail17trampoline_kernelINS0_14default_configENS1_22reduce_config_selectorIN6thrust23THRUST_200600_302600_NS5tupleIblNS6_9null_typeES8_S8_S8_S8_S8_S8_S8_EEEEZNS1_11reduce_implILb1ES3_PS9_SC_S9_NS6_11hip_rocprim9__find_if7functorIS9_EEEE10hipError_tPvRmT1_T2_T3_mT4_P12ihipStream_tbEUlT_E1_NS1_11comp_targetILNS1_3genE9ELNS1_11target_archE1100ELNS1_3gpuE3ELNS1_3repE0EEENS1_30default_config_static_selectorELNS0_4arch9wavefront6targetE0EEEvSK_.uses_vcc, 0
	.set _ZN7rocprim17ROCPRIM_400000_NS6detail17trampoline_kernelINS0_14default_configENS1_22reduce_config_selectorIN6thrust23THRUST_200600_302600_NS5tupleIblNS6_9null_typeES8_S8_S8_S8_S8_S8_S8_EEEEZNS1_11reduce_implILb1ES3_PS9_SC_S9_NS6_11hip_rocprim9__find_if7functorIS9_EEEE10hipError_tPvRmT1_T2_T3_mT4_P12ihipStream_tbEUlT_E1_NS1_11comp_targetILNS1_3genE9ELNS1_11target_archE1100ELNS1_3gpuE3ELNS1_3repE0EEENS1_30default_config_static_selectorELNS0_4arch9wavefront6targetE0EEEvSK_.uses_flat_scratch, 0
	.set _ZN7rocprim17ROCPRIM_400000_NS6detail17trampoline_kernelINS0_14default_configENS1_22reduce_config_selectorIN6thrust23THRUST_200600_302600_NS5tupleIblNS6_9null_typeES8_S8_S8_S8_S8_S8_S8_EEEEZNS1_11reduce_implILb1ES3_PS9_SC_S9_NS6_11hip_rocprim9__find_if7functorIS9_EEEE10hipError_tPvRmT1_T2_T3_mT4_P12ihipStream_tbEUlT_E1_NS1_11comp_targetILNS1_3genE9ELNS1_11target_archE1100ELNS1_3gpuE3ELNS1_3repE0EEENS1_30default_config_static_selectorELNS0_4arch9wavefront6targetE0EEEvSK_.has_dyn_sized_stack, 0
	.set _ZN7rocprim17ROCPRIM_400000_NS6detail17trampoline_kernelINS0_14default_configENS1_22reduce_config_selectorIN6thrust23THRUST_200600_302600_NS5tupleIblNS6_9null_typeES8_S8_S8_S8_S8_S8_S8_EEEEZNS1_11reduce_implILb1ES3_PS9_SC_S9_NS6_11hip_rocprim9__find_if7functorIS9_EEEE10hipError_tPvRmT1_T2_T3_mT4_P12ihipStream_tbEUlT_E1_NS1_11comp_targetILNS1_3genE9ELNS1_11target_archE1100ELNS1_3gpuE3ELNS1_3repE0EEENS1_30default_config_static_selectorELNS0_4arch9wavefront6targetE0EEEvSK_.has_recursion, 0
	.set _ZN7rocprim17ROCPRIM_400000_NS6detail17trampoline_kernelINS0_14default_configENS1_22reduce_config_selectorIN6thrust23THRUST_200600_302600_NS5tupleIblNS6_9null_typeES8_S8_S8_S8_S8_S8_S8_EEEEZNS1_11reduce_implILb1ES3_PS9_SC_S9_NS6_11hip_rocprim9__find_if7functorIS9_EEEE10hipError_tPvRmT1_T2_T3_mT4_P12ihipStream_tbEUlT_E1_NS1_11comp_targetILNS1_3genE9ELNS1_11target_archE1100ELNS1_3gpuE3ELNS1_3repE0EEENS1_30default_config_static_selectorELNS0_4arch9wavefront6targetE0EEEvSK_.has_indirect_call, 0
	.section	.AMDGPU.csdata,"",@progbits
; Kernel info:
; codeLenInByte = 0
; TotalNumSgprs: 0
; NumVgprs: 0
; ScratchSize: 0
; MemoryBound: 0
; FloatMode: 240
; IeeeMode: 1
; LDSByteSize: 0 bytes/workgroup (compile time only)
; SGPRBlocks: 0
; VGPRBlocks: 0
; NumSGPRsForWavesPerEU: 1
; NumVGPRsForWavesPerEU: 1
; Occupancy: 16
; WaveLimiterHint : 0
; COMPUTE_PGM_RSRC2:SCRATCH_EN: 0
; COMPUTE_PGM_RSRC2:USER_SGPR: 6
; COMPUTE_PGM_RSRC2:TRAP_HANDLER: 0
; COMPUTE_PGM_RSRC2:TGID_X_EN: 1
; COMPUTE_PGM_RSRC2:TGID_Y_EN: 0
; COMPUTE_PGM_RSRC2:TGID_Z_EN: 0
; COMPUTE_PGM_RSRC2:TIDIG_COMP_CNT: 0
	.section	.text._ZN7rocprim17ROCPRIM_400000_NS6detail17trampoline_kernelINS0_14default_configENS1_22reduce_config_selectorIN6thrust23THRUST_200600_302600_NS5tupleIblNS6_9null_typeES8_S8_S8_S8_S8_S8_S8_EEEEZNS1_11reduce_implILb1ES3_PS9_SC_S9_NS6_11hip_rocprim9__find_if7functorIS9_EEEE10hipError_tPvRmT1_T2_T3_mT4_P12ihipStream_tbEUlT_E1_NS1_11comp_targetILNS1_3genE8ELNS1_11target_archE1030ELNS1_3gpuE2ELNS1_3repE0EEENS1_30default_config_static_selectorELNS0_4arch9wavefront6targetE0EEEvSK_,"axG",@progbits,_ZN7rocprim17ROCPRIM_400000_NS6detail17trampoline_kernelINS0_14default_configENS1_22reduce_config_selectorIN6thrust23THRUST_200600_302600_NS5tupleIblNS6_9null_typeES8_S8_S8_S8_S8_S8_S8_EEEEZNS1_11reduce_implILb1ES3_PS9_SC_S9_NS6_11hip_rocprim9__find_if7functorIS9_EEEE10hipError_tPvRmT1_T2_T3_mT4_P12ihipStream_tbEUlT_E1_NS1_11comp_targetILNS1_3genE8ELNS1_11target_archE1030ELNS1_3gpuE2ELNS1_3repE0EEENS1_30default_config_static_selectorELNS0_4arch9wavefront6targetE0EEEvSK_,comdat
	.protected	_ZN7rocprim17ROCPRIM_400000_NS6detail17trampoline_kernelINS0_14default_configENS1_22reduce_config_selectorIN6thrust23THRUST_200600_302600_NS5tupleIblNS6_9null_typeES8_S8_S8_S8_S8_S8_S8_EEEEZNS1_11reduce_implILb1ES3_PS9_SC_S9_NS6_11hip_rocprim9__find_if7functorIS9_EEEE10hipError_tPvRmT1_T2_T3_mT4_P12ihipStream_tbEUlT_E1_NS1_11comp_targetILNS1_3genE8ELNS1_11target_archE1030ELNS1_3gpuE2ELNS1_3repE0EEENS1_30default_config_static_selectorELNS0_4arch9wavefront6targetE0EEEvSK_ ; -- Begin function _ZN7rocprim17ROCPRIM_400000_NS6detail17trampoline_kernelINS0_14default_configENS1_22reduce_config_selectorIN6thrust23THRUST_200600_302600_NS5tupleIblNS6_9null_typeES8_S8_S8_S8_S8_S8_S8_EEEEZNS1_11reduce_implILb1ES3_PS9_SC_S9_NS6_11hip_rocprim9__find_if7functorIS9_EEEE10hipError_tPvRmT1_T2_T3_mT4_P12ihipStream_tbEUlT_E1_NS1_11comp_targetILNS1_3genE8ELNS1_11target_archE1030ELNS1_3gpuE2ELNS1_3repE0EEENS1_30default_config_static_selectorELNS0_4arch9wavefront6targetE0EEEvSK_
	.globl	_ZN7rocprim17ROCPRIM_400000_NS6detail17trampoline_kernelINS0_14default_configENS1_22reduce_config_selectorIN6thrust23THRUST_200600_302600_NS5tupleIblNS6_9null_typeES8_S8_S8_S8_S8_S8_S8_EEEEZNS1_11reduce_implILb1ES3_PS9_SC_S9_NS6_11hip_rocprim9__find_if7functorIS9_EEEE10hipError_tPvRmT1_T2_T3_mT4_P12ihipStream_tbEUlT_E1_NS1_11comp_targetILNS1_3genE8ELNS1_11target_archE1030ELNS1_3gpuE2ELNS1_3repE0EEENS1_30default_config_static_selectorELNS0_4arch9wavefront6targetE0EEEvSK_
	.p2align	8
	.type	_ZN7rocprim17ROCPRIM_400000_NS6detail17trampoline_kernelINS0_14default_configENS1_22reduce_config_selectorIN6thrust23THRUST_200600_302600_NS5tupleIblNS6_9null_typeES8_S8_S8_S8_S8_S8_S8_EEEEZNS1_11reduce_implILb1ES3_PS9_SC_S9_NS6_11hip_rocprim9__find_if7functorIS9_EEEE10hipError_tPvRmT1_T2_T3_mT4_P12ihipStream_tbEUlT_E1_NS1_11comp_targetILNS1_3genE8ELNS1_11target_archE1030ELNS1_3gpuE2ELNS1_3repE0EEENS1_30default_config_static_selectorELNS0_4arch9wavefront6targetE0EEEvSK_,@function
_ZN7rocprim17ROCPRIM_400000_NS6detail17trampoline_kernelINS0_14default_configENS1_22reduce_config_selectorIN6thrust23THRUST_200600_302600_NS5tupleIblNS6_9null_typeES8_S8_S8_S8_S8_S8_S8_EEEEZNS1_11reduce_implILb1ES3_PS9_SC_S9_NS6_11hip_rocprim9__find_if7functorIS9_EEEE10hipError_tPvRmT1_T2_T3_mT4_P12ihipStream_tbEUlT_E1_NS1_11comp_targetILNS1_3genE8ELNS1_11target_archE1030ELNS1_3gpuE2ELNS1_3repE0EEENS1_30default_config_static_selectorELNS0_4arch9wavefront6targetE0EEEvSK_: ; @_ZN7rocprim17ROCPRIM_400000_NS6detail17trampoline_kernelINS0_14default_configENS1_22reduce_config_selectorIN6thrust23THRUST_200600_302600_NS5tupleIblNS6_9null_typeES8_S8_S8_S8_S8_S8_S8_EEEEZNS1_11reduce_implILb1ES3_PS9_SC_S9_NS6_11hip_rocprim9__find_if7functorIS9_EEEE10hipError_tPvRmT1_T2_T3_mT4_P12ihipStream_tbEUlT_E1_NS1_11comp_targetILNS1_3genE8ELNS1_11target_archE1030ELNS1_3gpuE2ELNS1_3repE0EEENS1_30default_config_static_selectorELNS0_4arch9wavefront6targetE0EEEvSK_
; %bb.0:
	s_clause 0x3
	s_load_dword s19, s[4:5], 0x4
	s_load_dwordx4 s[12:15], s[4:5], 0x8
	s_load_dword s18, s[4:5], 0x20
	s_load_dwordx2 s[16:17], s[4:5], 0x28
	s_waitcnt lgkmcnt(0)
	s_cmp_lt_i32 s19, 4
	s_cbranch_scc1 .LBB36_45
; %bb.1:
	s_cmp_gt_i32 s19, 7
	s_cbranch_scc0 .LBB36_46
; %bb.2:
	s_cmp_eq_u32 s19, 8
	s_mov_b32 s20, 0
	s_cbranch_scc0 .LBB36_47
; %bb.3:
	s_mov_b32 s7, 0
	s_lshl_b32 s2, s6, 11
	s_mov_b32 s3, s7
	s_lshr_b64 s[8:9], s[14:15], 11
	s_lshl_b64 s[0:1], s[2:3], 4
	s_add_u32 s10, s12, s0
	s_addc_u32 s11, s13, s1
	s_cmp_lg_u64 s[8:9], s[6:7]
	s_cbranch_scc0 .LBB36_76
; %bb.4:
	v_lshlrev_b32_e32 v7, 4, v0
	v_add_co_u32 v8, s0, s10, v7
	v_add_co_ci_u32_e64 v19, null, s11, 0, s0
	v_add_co_u32 v1, vcc_lo, 0x1000, v8
	v_add_co_ci_u32_e64 v2, null, 0, v19, vcc_lo
	v_add_co_u32 v3, vcc_lo, 0x2000, v8
	v_add_co_ci_u32_e64 v4, null, 0, v19, vcc_lo
	;; [unrolled: 2-line block ×3, first 2 shown]
	s_clause 0x7
	global_load_ubyte v25, v7, s[10:11]
	global_load_dwordx2 v[15:16], v7, s[10:11] offset:8
	global_load_ubyte v26, v[1:2], off
	global_load_dwordx2 v[17:18], v[1:2], off offset:8
	global_load_ubyte v24, v[3:4], off
	global_load_dwordx2 v[11:12], v[3:4], off offset:8
	global_load_ubyte v23, v[5:6], off
	global_load_dwordx2 v[9:10], v[5:6], off offset:8
	v_add_co_u32 v1, vcc_lo, 0x4000, v8
	v_add_co_ci_u32_e64 v2, null, 0, v19, vcc_lo
	v_add_co_u32 v3, vcc_lo, 0x5000, v8
	v_add_co_ci_u32_e64 v4, null, 0, v19, vcc_lo
	;; [unrolled: 2-line block ×4, first 2 shown]
	s_clause 0x7
	global_load_ubyte v22, v[1:2], off
	global_load_dwordx2 v[7:8], v[1:2], off offset:8
	global_load_ubyte v21, v[3:4], off
	global_load_dwordx2 v[5:6], v[3:4], off offset:8
	;; [unrolled: 2-line block ×4, first 2 shown]
	s_waitcnt vmcnt(13)
	v_and_b32_e32 v13, v26, v25
	v_and_b32_e32 v13, 1, v13
	v_cmp_eq_u32_e32 vcc_lo, 1, v13
                                        ; implicit-def: $vgpr13_vgpr14
	s_and_saveexec_b32 s0, vcc_lo
	s_xor_b32 s0, exec_lo, s0
	s_cbranch_execz .LBB36_6
; %bb.5:
	s_waitcnt vmcnt(12)
	v_cmp_lt_i64_e32 vcc_lo, v[17:18], v[15:16]
                                        ; implicit-def: $vgpr25
                                        ; implicit-def: $vgpr26
	v_cndmask_b32_e32 v14, v16, v18, vcc_lo
	v_cndmask_b32_e32 v13, v15, v17, vcc_lo
                                        ; implicit-def: $vgpr17_vgpr18
                                        ; implicit-def: $vgpr15_vgpr16
.LBB36_6:
	s_or_saveexec_b32 s0, s0
	s_mov_b32 s1, -1
	s_xor_b32 exec_lo, exec_lo, s0
	s_cbranch_execz .LBB36_8
; %bb.7:
	v_and_b32_e32 v13, 1, v25
	v_or_b32_e32 v14, v26, v25
	v_mov_b32_e32 v25, 0
	v_cmp_eq_u32_e32 vcc_lo, 1, v13
	v_cmp_ne_u16_sdwa s1, v14, v25 src0_sel:BYTE_0 src1_sel:DWORD
	s_waitcnt vmcnt(12)
	v_cndmask_b32_e32 v14, v18, v16, vcc_lo
	v_cndmask_b32_e32 v13, v17, v15, vcc_lo
	s_orn2_b32 s1, s1, exec_lo
.LBB36_8:
	s_or_b32 exec_lo, exec_lo, s0
	s_waitcnt vmcnt(11)
	v_and_b32_e32 v15, 1, v24
	v_cmp_eq_u32_e32 vcc_lo, 1, v15
                                        ; implicit-def: $vgpr15_vgpr16
	s_and_b32 s0, s1, vcc_lo
	s_xor_b32 s3, s0, -1
                                        ; implicit-def: $sgpr0
	s_and_saveexec_b32 s8, s3
	s_xor_b32 s3, exec_lo, s8
	s_cbranch_execz .LBB36_10
; %bb.9:
	s_waitcnt vmcnt(10)
	v_cndmask_b32_e64 v16, v12, v14, s1
	v_cndmask_b32_e64 v15, v11, v13, s1
	s_or_b32 s0, s1, vcc_lo
                                        ; implicit-def: $vgpr11_vgpr12
                                        ; implicit-def: $vgpr13_vgpr14
.LBB36_10:
	s_andn2_saveexec_b32 s1, s3
	s_cbranch_execz .LBB36_12
; %bb.11:
	s_waitcnt vmcnt(10)
	v_cmp_lt_i64_e32 vcc_lo, v[11:12], v[13:14]
	s_or_b32 s0, s0, exec_lo
	v_cndmask_b32_e32 v16, v14, v12, vcc_lo
	v_cndmask_b32_e32 v15, v13, v11, vcc_lo
.LBB36_12:
	s_or_b32 exec_lo, exec_lo, s1
	s_waitcnt vmcnt(9)
	v_and_b32_e32 v11, 1, v23
	v_cmp_eq_u32_e32 vcc_lo, 1, v11
                                        ; implicit-def: $vgpr11_vgpr12
	s_and_b32 s1, s0, vcc_lo
	s_xor_b32 s3, s1, -1
                                        ; implicit-def: $sgpr1
	s_and_saveexec_b32 s8, s3
	s_xor_b32 s3, exec_lo, s8
	s_cbranch_execz .LBB36_14
; %bb.13:
	s_waitcnt vmcnt(8)
	v_cndmask_b32_e64 v12, v10, v16, s0
	v_cndmask_b32_e64 v11, v9, v15, s0
	s_or_b32 s1, s0, vcc_lo
                                        ; implicit-def: $vgpr9_vgpr10
                                        ; implicit-def: $vgpr15_vgpr16
.LBB36_14:
	s_andn2_saveexec_b32 s0, s3
	s_cbranch_execz .LBB36_16
; %bb.15:
	s_waitcnt vmcnt(8)
	v_cmp_lt_i64_e32 vcc_lo, v[9:10], v[15:16]
	s_or_b32 s1, s1, exec_lo
	v_cndmask_b32_e32 v12, v16, v10, vcc_lo
	v_cndmask_b32_e32 v11, v15, v9, vcc_lo
.LBB36_16:
	s_or_b32 exec_lo, exec_lo, s0
	s_waitcnt vmcnt(7)
	v_and_b32_e32 v9, 1, v22
	v_cmp_eq_u32_e32 vcc_lo, 1, v9
                                        ; implicit-def: $vgpr9_vgpr10
	s_and_b32 s0, s1, vcc_lo
	s_xor_b32 s3, s0, -1
                                        ; implicit-def: $sgpr0
	s_and_saveexec_b32 s8, s3
	s_xor_b32 s3, exec_lo, s8
	s_cbranch_execz .LBB36_18
; %bb.17:
	s_waitcnt vmcnt(6)
	v_cndmask_b32_e64 v10, v8, v12, s1
	v_cndmask_b32_e64 v9, v7, v11, s1
	s_or_b32 s0, s1, vcc_lo
                                        ; implicit-def: $vgpr7_vgpr8
                                        ; implicit-def: $vgpr11_vgpr12
.LBB36_18:
	s_andn2_saveexec_b32 s1, s3
	s_cbranch_execz .LBB36_20
; %bb.19:
	s_waitcnt vmcnt(6)
	v_cmp_lt_i64_e32 vcc_lo, v[7:8], v[11:12]
	s_or_b32 s0, s0, exec_lo
	v_cndmask_b32_e32 v10, v12, v8, vcc_lo
	v_cndmask_b32_e32 v9, v11, v7, vcc_lo
.LBB36_20:
	s_or_b32 exec_lo, exec_lo, s1
	s_waitcnt vmcnt(5)
	v_and_b32_e32 v7, 1, v21
	v_cmp_eq_u32_e32 vcc_lo, 1, v7
                                        ; implicit-def: $vgpr7_vgpr8
	s_and_b32 s1, s0, vcc_lo
	s_xor_b32 s3, s1, -1
                                        ; implicit-def: $sgpr1
	s_and_saveexec_b32 s8, s3
	s_xor_b32 s3, exec_lo, s8
	s_cbranch_execz .LBB36_22
; %bb.21:
	s_waitcnt vmcnt(4)
	v_cndmask_b32_e64 v8, v6, v10, s0
	v_cndmask_b32_e64 v7, v5, v9, s0
	s_or_b32 s1, s0, vcc_lo
                                        ; implicit-def: $vgpr5_vgpr6
                                        ; implicit-def: $vgpr9_vgpr10
.LBB36_22:
	s_andn2_saveexec_b32 s0, s3
	s_cbranch_execz .LBB36_24
; %bb.23:
	s_waitcnt vmcnt(4)
	v_cmp_lt_i64_e32 vcc_lo, v[5:6], v[9:10]
	s_or_b32 s1, s1, exec_lo
	v_cndmask_b32_e32 v8, v10, v6, vcc_lo
	v_cndmask_b32_e32 v7, v9, v5, vcc_lo
.LBB36_24:
	s_or_b32 exec_lo, exec_lo, s0
	s_waitcnt vmcnt(3)
	v_and_b32_e32 v5, 1, v20
                                        ; implicit-def: $sgpr3
	v_cmp_eq_u32_e32 vcc_lo, 1, v5
                                        ; implicit-def: $vgpr5_vgpr6
	s_and_b32 s0, s1, vcc_lo
	s_xor_b32 s0, s0, -1
	s_and_saveexec_b32 s8, s0
	s_xor_b32 s0, exec_lo, s8
	s_cbranch_execz .LBB36_26
; %bb.25:
	s_waitcnt vmcnt(2)
	v_cndmask_b32_e64 v6, v4, v8, s1
	v_cndmask_b32_e64 v5, v3, v7, s1
	s_or_b32 s3, s1, vcc_lo
                                        ; implicit-def: $vgpr3_vgpr4
                                        ; implicit-def: $vgpr7_vgpr8
.LBB36_26:
	s_andn2_saveexec_b32 s0, s0
	s_cbranch_execz .LBB36_28
; %bb.27:
	s_waitcnt vmcnt(2)
	v_cmp_lt_i64_e32 vcc_lo, v[3:4], v[7:8]
	s_or_b32 s3, s3, exec_lo
	v_cndmask_b32_e32 v6, v8, v4, vcc_lo
	v_cndmask_b32_e32 v5, v7, v3, vcc_lo
.LBB36_28:
	s_or_b32 exec_lo, exec_lo, s0
	s_waitcnt vmcnt(1)
	v_and_b32_e32 v3, 1, v19
	s_waitcnt vmcnt(0)
	v_cmp_lt_i64_e32 vcc_lo, v[1:2], v[5:6]
	v_cmp_eq_u32_e64 s0, 1, v3
	s_and_b32 vcc_lo, s0, vcc_lo
	v_cndmask_b32_e32 v3, v5, v1, vcc_lo
	v_cndmask_b32_e32 v4, v6, v2, vcc_lo
	v_cndmask_b32_e64 v5, v19, 1, s3
	v_cndmask_b32_e64 v1, v1, v3, s3
	;; [unrolled: 1-line block ×3, first 2 shown]
	v_and_b32_e32 v6, 0xff, v5
	v_and_b32_e32 v5, 1, v5
	v_mov_b32_dpp v3, v1 quad_perm:[1,0,3,2] row_mask:0xf bank_mask:0xf
	v_mov_b32_dpp v4, v2 quad_perm:[1,0,3,2] row_mask:0xf bank_mask:0xf
	;; [unrolled: 1-line block ×3, first 2 shown]
	v_cmp_eq_u32_e64 s0, 1, v5
	v_cmp_lt_i64_e32 vcc_lo, v[1:2], v[3:4]
	v_and_b32_e32 v5, 1, v7
	s_and_b32 vcc_lo, s0, vcc_lo
	v_cndmask_b32_e32 v3, v3, v1, vcc_lo
	v_cndmask_b32_e32 v4, v4, v2, vcc_lo
	v_cmp_eq_u32_e32 vcc_lo, 1, v5
	v_cndmask_b32_e32 v2, v2, v4, vcc_lo
	v_cndmask_b32_e32 v1, v1, v3, vcc_lo
	v_cndmask_b32_e64 v5, v6, 1, vcc_lo
	v_mov_b32_dpp v4, v2 quad_perm:[2,3,0,1] row_mask:0xf bank_mask:0xf
	v_mov_b32_dpp v3, v1 quad_perm:[2,3,0,1] row_mask:0xf bank_mask:0xf
	v_and_b32_e32 v7, 1, v5
	v_mov_b32_dpp v6, v5 quad_perm:[2,3,0,1] row_mask:0xf bank_mask:0xf
	v_cmp_lt_i64_e32 vcc_lo, v[1:2], v[3:4]
	v_cmp_eq_u32_e64 s0, 1, v7
	v_and_b32_e32 v6, 1, v6
	s_and_b32 vcc_lo, s0, vcc_lo
	v_cmp_eq_u32_e64 s1, 1, v6
	v_cndmask_b32_e32 v3, v3, v1, vcc_lo
	v_cndmask_b32_e32 v4, v4, v2, vcc_lo
	v_cndmask_b32_e64 v5, v5, 1, s1
	v_cndmask_b32_e64 v1, v1, v3, s1
	;; [unrolled: 1-line block ×3, first 2 shown]
	v_and_b32_e32 v7, 1, v5
	v_mov_b32_dpp v3, v1 row_ror:4 row_mask:0xf bank_mask:0xf
	v_mov_b32_dpp v4, v2 row_ror:4 row_mask:0xf bank_mask:0xf
	v_mov_b32_dpp v6, v5 row_ror:4 row_mask:0xf bank_mask:0xf
	v_cmp_eq_u32_e64 s0, 1, v7
	v_cmp_lt_i64_e32 vcc_lo, v[1:2], v[3:4]
	v_and_b32_e32 v6, 1, v6
	s_and_b32 vcc_lo, s0, vcc_lo
	v_cmp_eq_u32_e64 s1, 1, v6
	v_cndmask_b32_e32 v3, v3, v1, vcc_lo
	v_cndmask_b32_e32 v4, v4, v2, vcc_lo
	v_cndmask_b32_e64 v5, v5, 1, s1
	v_cndmask_b32_e64 v1, v1, v3, s1
	v_cndmask_b32_e64 v2, v2, v4, s1
	v_and_b32_e32 v7, 1, v5
	v_mov_b32_dpp v3, v1 row_ror:8 row_mask:0xf bank_mask:0xf
	v_mov_b32_dpp v4, v2 row_ror:8 row_mask:0xf bank_mask:0xf
	v_mov_b32_dpp v6, v5 row_ror:8 row_mask:0xf bank_mask:0xf
	v_cmp_eq_u32_e64 s0, 1, v7
	v_cmp_lt_i64_e32 vcc_lo, v[1:2], v[3:4]
	v_and_b32_e32 v6, 1, v6
	s_and_b32 vcc_lo, s0, vcc_lo
	v_cmp_eq_u32_e64 s1, 1, v6
	v_cndmask_b32_e32 v3, v3, v1, vcc_lo
	v_cndmask_b32_e32 v4, v4, v2, vcc_lo
	v_cndmask_b32_e64 v5, v5, 1, s1
	v_cndmask_b32_e64 v1, v1, v3, s1
	;; [unrolled: 1-line block ×3, first 2 shown]
	ds_swizzle_b32 v6, v5 offset:swizzle(BROADCAST,32,15)
	ds_swizzle_b32 v3, v1 offset:swizzle(BROADCAST,32,15)
	;; [unrolled: 1-line block ×3, first 2 shown]
	v_and_b32_e32 v7, 1, v5
	v_cmp_eq_u32_e64 s0, 1, v7
	v_mbcnt_lo_u32_b32 v7, -1, 0
	s_waitcnt lgkmcnt(2)
	v_and_b32_e32 v6, 1, v6
	s_waitcnt lgkmcnt(0)
	v_cmp_lt_i64_e32 vcc_lo, v[1:2], v[3:4]
	v_cmp_eq_u32_e64 s1, 1, v6
	v_mov_b32_e32 v6, 0
	s_and_b32 vcc_lo, s0, vcc_lo
	s_mov_b32 s0, exec_lo
	v_cndmask_b32_e32 v3, v3, v1, vcc_lo
	v_cndmask_b32_e32 v4, v4, v2, vcc_lo
	v_cndmask_b32_e64 v5, v5, 1, s1
	v_cndmask_b32_e64 v1, v1, v3, s1
	;; [unrolled: 1-line block ×3, first 2 shown]
	ds_bpermute_b32 v17, v6, v5 offset:124
	ds_bpermute_b32 v1, v6, v1 offset:124
	ds_bpermute_b32 v2, v6, v2 offset:124
	v_cmpx_eq_u32_e32 0, v7
	s_xor_b32 s0, exec_lo, s0
	s_cbranch_execz .LBB36_30
; %bb.29:
	v_lshrrev_b32_e32 v3, 1, v0
	v_and_b32_e32 v3, 0x70, v3
	s_waitcnt lgkmcnt(2)
	ds_write_b8 v3, v17 offset:384
	s_waitcnt lgkmcnt(1)
	ds_write_b64 v3, v[1:2] offset:392
.LBB36_30:
	s_or_b32 exec_lo, exec_lo, s0
	s_mov_b32 s0, exec_lo
	s_waitcnt lgkmcnt(0)
	s_barrier
	buffer_gl0_inv
	v_cmpx_gt_u32_e32 32, v0
	s_cbranch_execz .LBB36_44
; %bb.31:
	v_and_b32_e32 v8, 7, v7
	v_lshlrev_b32_e32 v1, 4, v8
	v_cmp_ne_u32_e32 vcc_lo, 7, v8
	ds_read_u8 v10, v1 offset:384
	ds_read_b64 v[3:4], v1 offset:392
	v_add_co_ci_u32_e64 v2, null, 0, v7, vcc_lo
	v_lshlrev_b32_e32 v2, 2, v2
	s_waitcnt lgkmcnt(1)
	v_and_b32_e32 v1, 0xff, v10
	s_waitcnt lgkmcnt(0)
	ds_bpermute_b32 v5, v2, v3
	ds_bpermute_b32 v6, v2, v4
	;; [unrolled: 1-line block ×3, first 2 shown]
	s_waitcnt lgkmcnt(0)
	v_and_b32_e32 v1, v10, v11
	v_and_b32_e32 v1, 1, v1
	v_cmp_eq_u32_e32 vcc_lo, 1, v1
                                        ; implicit-def: $vgpr1_vgpr2
	s_and_saveexec_b32 s1, vcc_lo
	s_xor_b32 s1, exec_lo, s1
; %bb.32:
	v_cmp_lt_i64_e32 vcc_lo, v[5:6], v[3:4]
                                        ; implicit-def: $vgpr10
                                        ; implicit-def: $vgpr11
	v_cndmask_b32_e32 v2, v4, v6, vcc_lo
	v_cndmask_b32_e32 v1, v3, v5, vcc_lo
                                        ; implicit-def: $vgpr5_vgpr6
                                        ; implicit-def: $vgpr3_vgpr4
; %bb.33:
	s_or_saveexec_b32 s1, s1
	v_mov_b32_e32 v9, 1
	s_xor_b32 exec_lo, exec_lo, s1
; %bb.34:
	v_and_b32_e32 v1, 1, v10
	v_and_b32_e32 v9, 0xff, v11
	v_cmp_eq_u32_e32 vcc_lo, 1, v1
	v_cndmask_b32_e32 v2, v6, v4, vcc_lo
	v_cndmask_b32_e32 v1, v5, v3, vcc_lo
	v_cndmask_b32_e64 v9, v9, 1, vcc_lo
; %bb.35:
	s_or_b32 exec_lo, exec_lo, s1
	v_cmp_gt_u32_e32 vcc_lo, 6, v8
	v_cndmask_b32_e64 v3, 0, 2, vcc_lo
	v_add_lshl_u32 v3, v3, v7, 2
	ds_bpermute_b32 v8, v3, v9
	ds_bpermute_b32 v5, v3, v1
	;; [unrolled: 1-line block ×3, first 2 shown]
	s_waitcnt lgkmcnt(2)
	v_and_b32_e32 v3, v9, v8
	v_and_b32_e32 v3, 1, v3
	v_cmp_eq_u32_e32 vcc_lo, 1, v3
                                        ; implicit-def: $vgpr3_vgpr4
	s_and_saveexec_b32 s1, vcc_lo
	s_xor_b32 s1, exec_lo, s1
	s_cbranch_execz .LBB36_37
; %bb.36:
	s_waitcnt lgkmcnt(0)
	v_cmp_lt_i64_e32 vcc_lo, v[5:6], v[1:2]
                                        ; implicit-def: $vgpr9
                                        ; implicit-def: $vgpr8
	v_cndmask_b32_e32 v4, v2, v6, vcc_lo
	v_cndmask_b32_e32 v3, v1, v5, vcc_lo
                                        ; implicit-def: $vgpr5_vgpr6
                                        ; implicit-def: $vgpr1_vgpr2
.LBB36_37:
	s_or_saveexec_b32 s1, s1
	v_lshlrev_b32_e32 v10, 2, v7
	v_mov_b32_e32 v7, 1
	s_xor_b32 exec_lo, exec_lo, s1
	s_cbranch_execz .LBB36_39
; %bb.38:
	v_and_b32_e32 v3, 1, v9
	v_and_b32_e32 v7, 0xff, v8
	v_cmp_eq_u32_e32 vcc_lo, 1, v3
	s_waitcnt lgkmcnt(0)
	v_cndmask_b32_e32 v4, v6, v2, vcc_lo
	v_cndmask_b32_e32 v3, v5, v1, vcc_lo
	v_cndmask_b32_e64 v7, v7, 1, vcc_lo
.LBB36_39:
	s_or_b32 exec_lo, exec_lo, s1
	v_or_b32_e32 v1, 16, v10
	ds_bpermute_b32 v8, v1, v7
	s_waitcnt lgkmcnt(2)
	ds_bpermute_b32 v5, v1, v3
	s_waitcnt lgkmcnt(2)
	;; [unrolled: 2-line block ×3, first 2 shown]
	v_and_b32_e32 v1, v7, v8
	v_and_b32_e32 v1, 1, v1
	v_cmp_eq_u32_e32 vcc_lo, 1, v1
                                        ; implicit-def: $vgpr1_vgpr2
	s_and_saveexec_b32 s1, vcc_lo
	s_xor_b32 s1, exec_lo, s1
	s_cbranch_execz .LBB36_41
; %bb.40:
	s_waitcnt lgkmcnt(0)
	v_cmp_lt_i64_e32 vcc_lo, v[5:6], v[3:4]
                                        ; implicit-def: $vgpr7
                                        ; implicit-def: $vgpr8
	v_cndmask_b32_e32 v2, v4, v6, vcc_lo
	v_cndmask_b32_e32 v1, v3, v5, vcc_lo
                                        ; implicit-def: $vgpr5_vgpr6
                                        ; implicit-def: $vgpr3_vgpr4
.LBB36_41:
	s_or_saveexec_b32 s1, s1
	v_mov_b32_e32 v17, 1
	s_xor_b32 exec_lo, exec_lo, s1
	s_cbranch_execz .LBB36_43
; %bb.42:
	v_and_b32_e32 v1, 1, v7
	v_cmp_eq_u32_e32 vcc_lo, 1, v1
	s_waitcnt lgkmcnt(0)
	v_cndmask_b32_e32 v2, v6, v4, vcc_lo
	v_cndmask_b32_e32 v1, v5, v3, vcc_lo
	v_cndmask_b32_e64 v17, v8, 1, vcc_lo
.LBB36_43:
	s_or_b32 exec_lo, exec_lo, s1
.LBB36_44:
	s_or_b32 exec_lo, exec_lo, s0
	s_branch .LBB36_199
.LBB36_45:
	s_mov_b32 s10, 0
                                        ; implicit-def: $vgpr3_vgpr4
                                        ; implicit-def: $vgpr5
                                        ; implicit-def: $vgpr1_vgpr2
	s_cbranch_execnz .LBB36_279
	s_branch .LBB36_384
.LBB36_46:
	s_mov_b32 s20, -1
.LBB36_47:
	s_mov_b32 s10, 0
                                        ; implicit-def: $vgpr3_vgpr4
                                        ; implicit-def: $vgpr5
                                        ; implicit-def: $vgpr1_vgpr2
	s_and_b32 vcc_lo, exec_lo, s20
	s_cbranch_vccz .LBB36_204
.LBB36_48:
	s_cmp_eq_u32 s19, 4
	s_cbranch_scc0 .LBB36_75
; %bb.49:
	s_mov_b32 s7, 0
	s_lshl_b32 s8, s6, 10
	s_mov_b32 s9, s7
	s_lshr_b64 s[20:21], s[14:15], 10
	s_lshl_b64 s[0:1], s[8:9], 4
	s_add_u32 s2, s12, s0
	s_addc_u32 s3, s13, s1
	s_cmp_lg_u64 s[20:21], s[6:7]
	s_cbranch_scc0 .LBB36_99
; %bb.50:
	v_lshlrev_b32_e32 v7, 4, v0
	s_waitcnt lgkmcnt(1)
	v_add_co_u32 v5, s0, s2, v7
	s_waitcnt lgkmcnt(0)
	v_add_co_ci_u32_e64 v6, null, s3, 0, s0
	v_add_co_u32 v1, vcc_lo, 0x1000, v5
	v_add_co_ci_u32_e64 v2, null, 0, v6, vcc_lo
	v_add_co_u32 v3, vcc_lo, 0x2000, v5
	s_clause 0x1
	global_load_ubyte v13, v7, s[2:3]
	global_load_ubyte v14, v[1:2], off
	v_add_co_ci_u32_e64 v4, null, 0, v6, vcc_lo
	v_add_co_u32 v5, vcc_lo, 0x3000, v5
	v_add_co_ci_u32_e64 v6, null, 0, v6, vcc_lo
	s_clause 0x5
	global_load_dwordx2 v[9:10], v7, s[2:3] offset:8
	global_load_dwordx2 v[7:8], v[1:2], off offset:8
	global_load_ubyte v12, v[3:4], off
	global_load_dwordx2 v[3:4], v[3:4], off offset:8
	global_load_ubyte v11, v[5:6], off
	global_load_dwordx2 v[1:2], v[5:6], off offset:8
	s_waitcnt vmcnt(6)
	v_and_b32_e32 v5, v14, v13
	v_and_b32_e32 v5, 1, v5
	v_cmp_eq_u32_e32 vcc_lo, 1, v5
                                        ; implicit-def: $vgpr5_vgpr6
	s_and_saveexec_b32 s0, vcc_lo
	s_xor_b32 s0, exec_lo, s0
	s_cbranch_execz .LBB36_52
; %bb.51:
	s_waitcnt vmcnt(4)
	v_cmp_lt_i64_e32 vcc_lo, v[7:8], v[9:10]
                                        ; implicit-def: $vgpr13
                                        ; implicit-def: $vgpr14
	v_cndmask_b32_e32 v6, v10, v8, vcc_lo
	v_cndmask_b32_e32 v5, v9, v7, vcc_lo
                                        ; implicit-def: $vgpr7_vgpr8
                                        ; implicit-def: $vgpr9_vgpr10
.LBB36_52:
	s_or_saveexec_b32 s0, s0
	s_mov_b32 s9, -1
	s_xor_b32 exec_lo, exec_lo, s0
	s_cbranch_execz .LBB36_54
; %bb.53:
	v_and_b32_e32 v5, 1, v13
	v_or_b32_e32 v6, v14, v13
	v_mov_b32_e32 v13, 0
	v_cmp_eq_u32_e32 vcc_lo, 1, v5
	v_cmp_ne_u16_sdwa s1, v6, v13 src0_sel:BYTE_0 src1_sel:DWORD
	s_waitcnt vmcnt(4)
	v_cndmask_b32_e32 v6, v8, v10, vcc_lo
	v_cndmask_b32_e32 v5, v7, v9, vcc_lo
	s_orn2_b32 s9, s1, exec_lo
.LBB36_54:
	s_or_b32 exec_lo, exec_lo, s0
	s_waitcnt vmcnt(3)
	v_and_b32_e32 v7, 1, v12
                                        ; implicit-def: $sgpr1
	v_cmp_eq_u32_e32 vcc_lo, 1, v7
                                        ; implicit-def: $vgpr7_vgpr8
	s_and_b32 s0, s9, vcc_lo
	s_xor_b32 s0, s0, -1
	s_and_saveexec_b32 s11, s0
	s_xor_b32 s0, exec_lo, s11
	s_cbranch_execz .LBB36_56
; %bb.55:
	s_waitcnt vmcnt(2)
	v_cndmask_b32_e64 v8, v4, v6, s9
	v_cndmask_b32_e64 v7, v3, v5, s9
	s_or_b32 s1, s9, vcc_lo
                                        ; implicit-def: $vgpr3_vgpr4
                                        ; implicit-def: $vgpr5_vgpr6
.LBB36_56:
	s_andn2_saveexec_b32 s0, s0
	s_cbranch_execz .LBB36_58
; %bb.57:
	s_waitcnt vmcnt(2)
	v_cmp_lt_i64_e32 vcc_lo, v[3:4], v[5:6]
	s_or_b32 s1, s1, exec_lo
	v_cndmask_b32_e32 v8, v6, v4, vcc_lo
	v_cndmask_b32_e32 v7, v5, v3, vcc_lo
.LBB36_58:
	s_or_b32 exec_lo, exec_lo, s0
	s_waitcnt vmcnt(1)
	v_and_b32_e32 v3, 1, v11
	s_waitcnt vmcnt(0)
	v_cmp_lt_i64_e32 vcc_lo, v[1:2], v[7:8]
	v_cndmask_b32_e64 v5, v11, 1, s1
	v_cmp_eq_u32_e64 s0, 1, v3
	v_and_b32_e32 v6, 0xff, v5
	v_and_b32_e32 v5, 1, v5
	s_and_b32 vcc_lo, s0, vcc_lo
	v_cndmask_b32_e32 v3, v7, v1, vcc_lo
	v_cndmask_b32_e32 v4, v8, v2, vcc_lo
	v_mov_b32_dpp v7, v6 quad_perm:[1,0,3,2] row_mask:0xf bank_mask:0xf
	v_cmp_eq_u32_e64 s0, 1, v5
	v_cndmask_b32_e64 v1, v1, v3, s1
	v_cndmask_b32_e64 v2, v2, v4, s1
	v_and_b32_e32 v5, 1, v7
	v_mov_b32_dpp v3, v1 quad_perm:[1,0,3,2] row_mask:0xf bank_mask:0xf
	v_mov_b32_dpp v4, v2 quad_perm:[1,0,3,2] row_mask:0xf bank_mask:0xf
	v_cmp_lt_i64_e32 vcc_lo, v[1:2], v[3:4]
	s_and_b32 vcc_lo, s0, vcc_lo
	v_cndmask_b32_e32 v3, v3, v1, vcc_lo
	v_cndmask_b32_e32 v4, v4, v2, vcc_lo
	v_cmp_eq_u32_e32 vcc_lo, 1, v5
	v_cndmask_b32_e32 v2, v2, v4, vcc_lo
	v_cndmask_b32_e32 v1, v1, v3, vcc_lo
	v_cndmask_b32_e64 v5, v6, 1, vcc_lo
	v_mov_b32_dpp v4, v2 quad_perm:[2,3,0,1] row_mask:0xf bank_mask:0xf
	v_mov_b32_dpp v3, v1 quad_perm:[2,3,0,1] row_mask:0xf bank_mask:0xf
	v_and_b32_e32 v7, 1, v5
	v_mov_b32_dpp v6, v5 quad_perm:[2,3,0,1] row_mask:0xf bank_mask:0xf
	v_cmp_lt_i64_e32 vcc_lo, v[1:2], v[3:4]
	v_cmp_eq_u32_e64 s0, 1, v7
	v_and_b32_e32 v6, 1, v6
	s_and_b32 vcc_lo, s0, vcc_lo
	v_cmp_eq_u32_e64 s1, 1, v6
	v_cndmask_b32_e32 v3, v3, v1, vcc_lo
	v_cndmask_b32_e32 v4, v4, v2, vcc_lo
	v_cndmask_b32_e64 v5, v5, 1, s1
	v_cndmask_b32_e64 v1, v1, v3, s1
	;; [unrolled: 1-line block ×3, first 2 shown]
	v_and_b32_e32 v7, 1, v5
	v_mov_b32_dpp v3, v1 row_ror:4 row_mask:0xf bank_mask:0xf
	v_mov_b32_dpp v4, v2 row_ror:4 row_mask:0xf bank_mask:0xf
	;; [unrolled: 1-line block ×3, first 2 shown]
	v_cmp_eq_u32_e64 s0, 1, v7
	v_cmp_lt_i64_e32 vcc_lo, v[1:2], v[3:4]
	v_and_b32_e32 v6, 1, v6
	s_and_b32 vcc_lo, s0, vcc_lo
	v_cmp_eq_u32_e64 s1, 1, v6
	v_cndmask_b32_e32 v3, v3, v1, vcc_lo
	v_cndmask_b32_e32 v4, v4, v2, vcc_lo
	v_cndmask_b32_e64 v5, v5, 1, s1
	v_cndmask_b32_e64 v1, v1, v3, s1
	;; [unrolled: 1-line block ×3, first 2 shown]
	v_and_b32_e32 v7, 1, v5
	v_mov_b32_dpp v3, v1 row_ror:8 row_mask:0xf bank_mask:0xf
	v_mov_b32_dpp v4, v2 row_ror:8 row_mask:0xf bank_mask:0xf
	;; [unrolled: 1-line block ×3, first 2 shown]
	v_cmp_eq_u32_e64 s0, 1, v7
	v_cmp_lt_i64_e32 vcc_lo, v[1:2], v[3:4]
	v_and_b32_e32 v6, 1, v6
	s_and_b32 vcc_lo, s0, vcc_lo
	v_cmp_eq_u32_e64 s1, 1, v6
	v_cndmask_b32_e32 v3, v3, v1, vcc_lo
	v_cndmask_b32_e32 v4, v4, v2, vcc_lo
	v_cndmask_b32_e64 v5, v5, 1, s1
	v_cndmask_b32_e64 v1, v1, v3, s1
	;; [unrolled: 1-line block ×3, first 2 shown]
	ds_swizzle_b32 v6, v5 offset:swizzle(BROADCAST,32,15)
	ds_swizzle_b32 v3, v1 offset:swizzle(BROADCAST,32,15)
	;; [unrolled: 1-line block ×3, first 2 shown]
	v_and_b32_e32 v7, 1, v5
	v_cmp_eq_u32_e64 s0, 1, v7
	v_mbcnt_lo_u32_b32 v7, -1, 0
	s_waitcnt lgkmcnt(2)
	v_and_b32_e32 v6, 1, v6
	s_waitcnt lgkmcnt(0)
	v_cmp_lt_i64_e32 vcc_lo, v[1:2], v[3:4]
	v_cmp_eq_u32_e64 s1, 1, v6
	v_mov_b32_e32 v6, 0
	s_and_b32 vcc_lo, s0, vcc_lo
	s_mov_b32 s0, exec_lo
	v_cndmask_b32_e32 v3, v3, v1, vcc_lo
	v_cndmask_b32_e32 v4, v4, v2, vcc_lo
	v_cndmask_b32_e64 v5, v5, 1, s1
	v_cndmask_b32_e64 v1, v1, v3, s1
	;; [unrolled: 1-line block ×3, first 2 shown]
	ds_bpermute_b32 v9, v6, v5 offset:124
	ds_bpermute_b32 v1, v6, v1 offset:124
	;; [unrolled: 1-line block ×3, first 2 shown]
	v_cmpx_eq_u32_e32 0, v7
	s_xor_b32 s0, exec_lo, s0
	s_cbranch_execz .LBB36_60
; %bb.59:
	v_lshrrev_b32_e32 v3, 1, v0
	v_and_b32_e32 v3, 0x70, v3
	s_waitcnt lgkmcnt(2)
	ds_write_b8 v3, v9 offset:256
	s_waitcnt lgkmcnt(1)
	ds_write_b64 v3, v[1:2] offset:264
.LBB36_60:
	s_or_b32 exec_lo, exec_lo, s0
	s_mov_b32 s0, exec_lo
	s_waitcnt lgkmcnt(0)
	s_barrier
	buffer_gl0_inv
	v_cmpx_gt_u32_e32 32, v0
	s_cbranch_execz .LBB36_74
; %bb.61:
	v_and_b32_e32 v8, 7, v7
	v_lshlrev_b32_e32 v1, 4, v8
	v_cmp_ne_u32_e32 vcc_lo, 7, v8
	ds_read_u8 v10, v1 offset:256
	ds_read_b64 v[3:4], v1 offset:264
	v_add_co_ci_u32_e64 v2, null, 0, v7, vcc_lo
	v_lshlrev_b32_e32 v2, 2, v2
	s_waitcnt lgkmcnt(1)
	v_and_b32_e32 v1, 0xff, v10
	s_waitcnt lgkmcnt(0)
	ds_bpermute_b32 v5, v2, v3
	ds_bpermute_b32 v6, v2, v4
	;; [unrolled: 1-line block ×3, first 2 shown]
	s_waitcnt lgkmcnt(0)
	v_and_b32_e32 v1, v10, v11
	v_and_b32_e32 v1, 1, v1
	v_cmp_eq_u32_e32 vcc_lo, 1, v1
                                        ; implicit-def: $vgpr1_vgpr2
	s_and_saveexec_b32 s1, vcc_lo
	s_xor_b32 s1, exec_lo, s1
; %bb.62:
	v_cmp_lt_i64_e32 vcc_lo, v[5:6], v[3:4]
                                        ; implicit-def: $vgpr10
                                        ; implicit-def: $vgpr11
	v_cndmask_b32_e32 v2, v4, v6, vcc_lo
	v_cndmask_b32_e32 v1, v3, v5, vcc_lo
                                        ; implicit-def: $vgpr5_vgpr6
                                        ; implicit-def: $vgpr3_vgpr4
; %bb.63:
	s_or_saveexec_b32 s1, s1
	v_mov_b32_e32 v9, 1
	s_xor_b32 exec_lo, exec_lo, s1
; %bb.64:
	v_and_b32_e32 v1, 1, v10
	v_and_b32_e32 v9, 0xff, v11
	v_cmp_eq_u32_e32 vcc_lo, 1, v1
	v_cndmask_b32_e32 v2, v6, v4, vcc_lo
	v_cndmask_b32_e32 v1, v5, v3, vcc_lo
	v_cndmask_b32_e64 v9, v9, 1, vcc_lo
; %bb.65:
	s_or_b32 exec_lo, exec_lo, s1
	v_cmp_gt_u32_e32 vcc_lo, 6, v8
	v_cndmask_b32_e64 v3, 0, 2, vcc_lo
	v_add_lshl_u32 v3, v3, v7, 2
	ds_bpermute_b32 v8, v3, v9
	ds_bpermute_b32 v5, v3, v1
	;; [unrolled: 1-line block ×3, first 2 shown]
	s_waitcnt lgkmcnt(2)
	v_and_b32_e32 v3, v9, v8
	v_and_b32_e32 v3, 1, v3
	v_cmp_eq_u32_e32 vcc_lo, 1, v3
                                        ; implicit-def: $vgpr3_vgpr4
	s_and_saveexec_b32 s1, vcc_lo
	s_xor_b32 s1, exec_lo, s1
	s_cbranch_execz .LBB36_67
; %bb.66:
	s_waitcnt lgkmcnt(0)
	v_cmp_lt_i64_e32 vcc_lo, v[5:6], v[1:2]
                                        ; implicit-def: $vgpr9
                                        ; implicit-def: $vgpr8
	v_cndmask_b32_e32 v4, v2, v6, vcc_lo
	v_cndmask_b32_e32 v3, v1, v5, vcc_lo
                                        ; implicit-def: $vgpr5_vgpr6
                                        ; implicit-def: $vgpr1_vgpr2
.LBB36_67:
	s_or_saveexec_b32 s1, s1
	v_lshlrev_b32_e32 v10, 2, v7
	v_mov_b32_e32 v7, 1
	s_xor_b32 exec_lo, exec_lo, s1
	s_cbranch_execz .LBB36_69
; %bb.68:
	v_and_b32_e32 v3, 1, v9
	v_and_b32_e32 v7, 0xff, v8
	v_cmp_eq_u32_e32 vcc_lo, 1, v3
	s_waitcnt lgkmcnt(0)
	v_cndmask_b32_e32 v4, v6, v2, vcc_lo
	v_cndmask_b32_e32 v3, v5, v1, vcc_lo
	v_cndmask_b32_e64 v7, v7, 1, vcc_lo
.LBB36_69:
	s_or_b32 exec_lo, exec_lo, s1
	v_or_b32_e32 v1, 16, v10
	ds_bpermute_b32 v8, v1, v7
	s_waitcnt lgkmcnt(2)
	ds_bpermute_b32 v5, v1, v3
	s_waitcnt lgkmcnt(2)
	;; [unrolled: 2-line block ×3, first 2 shown]
	v_and_b32_e32 v1, v7, v8
	v_and_b32_e32 v1, 1, v1
	v_cmp_eq_u32_e32 vcc_lo, 1, v1
                                        ; implicit-def: $vgpr1_vgpr2
	s_and_saveexec_b32 s1, vcc_lo
	s_xor_b32 s1, exec_lo, s1
	s_cbranch_execz .LBB36_71
; %bb.70:
	s_waitcnt lgkmcnt(0)
	v_cmp_lt_i64_e32 vcc_lo, v[5:6], v[3:4]
                                        ; implicit-def: $vgpr7
                                        ; implicit-def: $vgpr8
	v_cndmask_b32_e32 v2, v4, v6, vcc_lo
	v_cndmask_b32_e32 v1, v3, v5, vcc_lo
                                        ; implicit-def: $vgpr5_vgpr6
                                        ; implicit-def: $vgpr3_vgpr4
.LBB36_71:
	s_or_saveexec_b32 s1, s1
	v_mov_b32_e32 v9, 1
	s_xor_b32 exec_lo, exec_lo, s1
	s_cbranch_execz .LBB36_73
; %bb.72:
	v_and_b32_e32 v1, 1, v7
	v_cmp_eq_u32_e32 vcc_lo, 1, v1
	s_waitcnt lgkmcnt(0)
	v_cndmask_b32_e32 v2, v6, v4, vcc_lo
	v_cndmask_b32_e32 v1, v5, v3, vcc_lo
	v_cndmask_b32_e64 v9, v8, 1, vcc_lo
.LBB36_73:
	s_or_b32 exec_lo, exec_lo, s1
.LBB36_74:
	s_or_b32 exec_lo, exec_lo, s0
	s_branch .LBB36_274
.LBB36_75:
                                        ; implicit-def: $vgpr3_vgpr4
                                        ; implicit-def: $vgpr5
                                        ; implicit-def: $vgpr1_vgpr2
	s_branch .LBB36_384
.LBB36_76:
                                        ; implicit-def: $vgpr1_vgpr2
                                        ; implicit-def: $vgpr17
	s_cbranch_execz .LBB36_199
; %bb.77:
	v_mov_b32_e32 v15, 0
	v_mov_b32_e32 v1, 0
	;; [unrolled: 1-line block ×6, first 2 shown]
	s_sub_i32 s21, s14, s2
	s_mov_b32 s0, exec_lo
	v_cmpx_gt_u32_e64 s21, v0
	s_cbranch_execz .LBB36_79
; %bb.78:
	v_lshlrev_b32_e32 v1, 4, v0
	s_clause 0x1
	global_load_ubyte v17, v1, s[10:11]
	global_load_dwordx2 v[1:2], v1, s[10:11] offset:8
.LBB36_79:
	s_or_b32 exec_lo, exec_lo, s0
	v_or_b32_e32 v3, 0x100, v0
	v_cmp_gt_u32_e64 s9, s21, v3
	s_and_saveexec_b32 s0, s9
	s_cbranch_execz .LBB36_81
; %bb.80:
	v_lshlrev_b32_e32 v3, 4, v3
	s_clause 0x1
	global_load_ubyte v24, v3, s[10:11]
	global_load_dwordx2 v[15:16], v3, s[10:11] offset:8
.LBB36_81:
	s_or_b32 exec_lo, exec_lo, s0
	v_or_b32_e32 v3, 0x200, v0
	v_mov_b32_e32 v11, 0
	v_mov_b32_e32 v13, 0
	;; [unrolled: 1-line block ×5, first 2 shown]
	v_cmp_gt_u32_e64 s8, s21, v3
	v_mov_b32_e32 v23, 0
	s_and_saveexec_b32 s0, s8
	s_cbranch_execz .LBB36_83
; %bb.82:
	v_lshlrev_b32_e32 v3, 4, v3
	s_clause 0x1
	global_load_ubyte v23, v3, s[10:11]
	global_load_dwordx2 v[13:14], v3, s[10:11] offset:8
.LBB36_83:
	s_or_b32 exec_lo, exec_lo, s0
	v_or_b32_e32 v3, 0x300, v0
	v_cmp_gt_u32_e64 s3, s21, v3
	s_and_saveexec_b32 s0, s3
	s_cbranch_execz .LBB36_85
; %bb.84:
	v_lshlrev_b32_e32 v3, 4, v3
	s_clause 0x1
	global_load_ubyte v22, v3, s[10:11]
	global_load_dwordx2 v[11:12], v3, s[10:11] offset:8
.LBB36_85:
	s_or_b32 exec_lo, exec_lo, s0
	v_or_b32_e32 v3, 0x400, v0
	v_mov_b32_e32 v7, 0
	v_mov_b32_e32 v9, 0
	;; [unrolled: 1-line block ×5, first 2 shown]
	v_cmp_gt_u32_e64 s2, s21, v3
	v_mov_b32_e32 v21, 0
	s_and_saveexec_b32 s0, s2
	s_cbranch_execz .LBB36_87
; %bb.86:
	v_lshlrev_b32_e32 v3, 4, v3
	s_clause 0x1
	global_load_ubyte v21, v3, s[10:11]
	global_load_dwordx2 v[9:10], v3, s[10:11] offset:8
.LBB36_87:
	s_or_b32 exec_lo, exec_lo, s0
	v_or_b32_e32 v3, 0x500, v0
	v_cmp_gt_u32_e64 s1, s21, v3
	s_and_saveexec_b32 s0, s1
	s_cbranch_execz .LBB36_89
; %bb.88:
	v_lshlrev_b32_e32 v3, 4, v3
	s_clause 0x1
	global_load_ubyte v20, v3, s[10:11]
	global_load_dwordx2 v[7:8], v3, s[10:11] offset:8
.LBB36_89:
	s_or_b32 exec_lo, exec_lo, s0
	v_or_b32_e32 v25, 0x600, v0
	v_mov_b32_e32 v3, 0
	s_waitcnt lgkmcnt(0)
	v_mov_b32_e32 v5, 0
	v_mov_b32_e32 v4, 0
	;; [unrolled: 1-line block ×4, first 2 shown]
	v_cmp_gt_u32_e64 s0, s21, v25
	v_mov_b32_e32 v19, 0
	s_and_saveexec_b32 s22, s0
	s_cbranch_execz .LBB36_91
; %bb.90:
	v_lshlrev_b32_e32 v5, 4, v25
	s_clause 0x1
	global_load_ubyte v19, v5, s[10:11]
	global_load_dwordx2 v[5:6], v5, s[10:11] offset:8
.LBB36_91:
	s_or_b32 exec_lo, exec_lo, s22
	v_or_b32_e32 v25, 0x700, v0
	v_cmp_gt_u32_e32 vcc_lo, s21, v25
	s_and_saveexec_b32 s22, vcc_lo
	s_cbranch_execnz .LBB36_110
; %bb.92:
	s_or_b32 exec_lo, exec_lo, s22
	s_and_saveexec_b32 s11, s9
	s_cbranch_execnz .LBB36_111
.LBB36_93:
	s_or_b32 exec_lo, exec_lo, s11
	s_and_saveexec_b32 s10, s8
	s_cbranch_execnz .LBB36_116
.LBB36_94:
	s_or_b32 exec_lo, exec_lo, s10
	s_and_saveexec_b32 s9, s3
	s_cbranch_execnz .LBB36_121
.LBB36_95:
	s_or_b32 exec_lo, exec_lo, s9
	s_and_saveexec_b32 s8, s2
	s_cbranch_execnz .LBB36_126
.LBB36_96:
	s_or_b32 exec_lo, exec_lo, s8
	s_and_saveexec_b32 s3, s1
	s_cbranch_execnz .LBB36_131
.LBB36_97:
	s_or_b32 exec_lo, exec_lo, s3
	s_and_saveexec_b32 s2, s0
	s_cbranch_execnz .LBB36_136
.LBB36_98:
	s_or_b32 exec_lo, exec_lo, s2
	s_and_saveexec_b32 s1, vcc_lo
	s_cbranch_execnz .LBB36_141
	s_branch .LBB36_146
.LBB36_99:
                                        ; implicit-def: $vgpr1_vgpr2
                                        ; implicit-def: $vgpr9
	s_cbranch_execz .LBB36_274
; %bb.100:
	v_mov_b32_e32 v7, 0
	v_mov_b32_e32 v1, 0
	;; [unrolled: 1-line block ×6, first 2 shown]
	s_sub_i32 s8, s14, s8
	s_mov_b32 s0, exec_lo
	v_cmpx_gt_u32_e64 s8, v0
	s_cbranch_execz .LBB36_102
; %bb.101:
	v_lshlrev_b32_e32 v1, 4, v0
	s_clause 0x1
	global_load_ubyte v9, v1, s[2:3]
	global_load_dwordx2 v[1:2], v1, s[2:3] offset:8
.LBB36_102:
	s_or_b32 exec_lo, exec_lo, s0
	s_waitcnt lgkmcnt(1)
	v_or_b32_e32 v3, 0x100, v0
	v_cmp_gt_u32_e64 s1, s8, v3
	s_and_saveexec_b32 s0, s1
	s_cbranch_execz .LBB36_104
; %bb.103:
	v_lshlrev_b32_e32 v3, 4, v3
	s_clause 0x1
	global_load_ubyte v12, v3, s[2:3]
	global_load_dwordx2 v[7:8], v3, s[2:3] offset:8
.LBB36_104:
	s_or_b32 exec_lo, exec_lo, s0
	v_or_b32_e32 v13, 0x200, v0
	s_waitcnt lgkmcnt(0)
	v_mov_b32_e32 v3, 0
	v_mov_b32_e32 v5, 0
	;; [unrolled: 1-line block ×5, first 2 shown]
	v_cmp_gt_u32_e64 s0, s8, v13
	v_mov_b32_e32 v11, 0
	s_and_saveexec_b32 s9, s0
	s_cbranch_execz .LBB36_106
; %bb.105:
	v_lshlrev_b32_e32 v5, 4, v13
	s_clause 0x1
	global_load_ubyte v11, v5, s[2:3]
	global_load_dwordx2 v[5:6], v5, s[2:3] offset:8
.LBB36_106:
	s_or_b32 exec_lo, exec_lo, s9
	v_or_b32_e32 v13, 0x300, v0
	v_cmp_gt_u32_e32 vcc_lo, s8, v13
	s_and_saveexec_b32 s9, vcc_lo
	s_cbranch_execnz .LBB36_205
; %bb.107:
	s_or_b32 exec_lo, exec_lo, s9
	s_and_saveexec_b32 s3, s1
	s_cbranch_execnz .LBB36_206
.LBB36_108:
	s_or_b32 exec_lo, exec_lo, s3
	s_and_saveexec_b32 s2, s0
	s_cbranch_execnz .LBB36_211
.LBB36_109:
	s_or_b32 exec_lo, exec_lo, s2
	s_and_saveexec_b32 s1, vcc_lo
	s_cbranch_execnz .LBB36_216
	s_branch .LBB36_221
.LBB36_110:
	v_lshlrev_b32_e32 v3, 4, v25
	s_clause 0x1
	global_load_ubyte v18, v3, s[10:11]
	global_load_dwordx2 v[3:4], v3, s[10:11] offset:8
	s_or_b32 exec_lo, exec_lo, s22
	s_and_saveexec_b32 s11, s9
	s_cbranch_execz .LBB36_93
.LBB36_111:
	s_waitcnt vmcnt(1)
	v_and_b32_e32 v17, 1, v17
	v_and_b32_e32 v25, 1, v24
	v_cmp_eq_u32_e64 s9, 1, v17
	v_cmp_eq_u32_e64 s10, 1, v25
                                        ; implicit-def: $vgpr17
	s_and_b32 s10, s9, s10
	s_xor_b32 s10, s10, -1
	s_and_saveexec_b32 s22, s10
	s_xor_b32 s10, exec_lo, s22
	s_cbranch_execz .LBB36_113
; %bb.112:
	v_and_b32_e32 v17, 0xff, v24
	s_waitcnt vmcnt(0)
	v_cndmask_b32_e64 v2, v16, v2, s9
	v_cndmask_b32_e64 v1, v15, v1, s9
                                        ; implicit-def: $vgpr15_vgpr16
	v_cndmask_b32_e64 v17, v17, 1, s9
.LBB36_113:
	s_andn2_saveexec_b32 s10, s10
	s_cbranch_execz .LBB36_115
; %bb.114:
	s_waitcnt vmcnt(0)
	v_cmp_lt_i64_e64 s9, v[15:16], v[1:2]
	v_mov_b32_e32 v17, 1
	v_cndmask_b32_e64 v2, v2, v16, s9
	v_cndmask_b32_e64 v1, v1, v15, s9
.LBB36_115:
	s_or_b32 exec_lo, exec_lo, s10
	s_or_b32 exec_lo, exec_lo, s11
	s_and_saveexec_b32 s10, s8
	s_cbranch_execz .LBB36_94
.LBB36_116:
	s_waitcnt vmcnt(0)
	v_and_b32_e32 v15, 1, v17
	v_and_b32_e32 v16, 1, v23
                                        ; implicit-def: $vgpr17
	v_cmp_eq_u32_e64 s8, 1, v15
	v_cmp_eq_u32_e64 s9, 1, v16
	s_and_b32 s9, s8, s9
	s_xor_b32 s9, s9, -1
	s_and_saveexec_b32 s11, s9
	s_xor_b32 s9, exec_lo, s11
; %bb.117:
	v_and_b32_e32 v15, 0xff, v23
	v_cndmask_b32_e64 v2, v14, v2, s8
	v_cndmask_b32_e64 v1, v13, v1, s8
                                        ; implicit-def: $vgpr13_vgpr14
	v_cndmask_b32_e64 v17, v15, 1, s8
; %bb.118:
	s_andn2_saveexec_b32 s9, s9
; %bb.119:
	v_cmp_lt_i64_e64 s8, v[13:14], v[1:2]
	v_mov_b32_e32 v17, 1
	v_cndmask_b32_e64 v2, v2, v14, s8
	v_cndmask_b32_e64 v1, v1, v13, s8
; %bb.120:
	s_or_b32 exec_lo, exec_lo, s9
	s_or_b32 exec_lo, exec_lo, s10
	s_and_saveexec_b32 s9, s3
	s_cbranch_execz .LBB36_95
.LBB36_121:
	s_waitcnt vmcnt(0)
	v_and_b32_e32 v13, 1, v17
	v_and_b32_e32 v14, 1, v22
                                        ; implicit-def: $vgpr17
	v_cmp_eq_u32_e64 s3, 1, v13
	v_cmp_eq_u32_e64 s8, 1, v14
	s_and_b32 s8, s3, s8
	s_xor_b32 s8, s8, -1
	s_and_saveexec_b32 s10, s8
	s_xor_b32 s8, exec_lo, s10
; %bb.122:
	v_and_b32_e32 v13, 0xff, v22
	v_cndmask_b32_e64 v2, v12, v2, s3
	v_cndmask_b32_e64 v1, v11, v1, s3
                                        ; implicit-def: $vgpr11_vgpr12
	v_cndmask_b32_e64 v17, v13, 1, s3
; %bb.123:
	s_andn2_saveexec_b32 s8, s8
; %bb.124:
	v_cmp_lt_i64_e64 s3, v[11:12], v[1:2]
	v_mov_b32_e32 v17, 1
	v_cndmask_b32_e64 v2, v2, v12, s3
	v_cndmask_b32_e64 v1, v1, v11, s3
; %bb.125:
	s_or_b32 exec_lo, exec_lo, s8
	s_or_b32 exec_lo, exec_lo, s9
	s_and_saveexec_b32 s8, s2
	s_cbranch_execz .LBB36_96
.LBB36_126:
	s_waitcnt vmcnt(0)
	v_and_b32_e32 v11, 1, v17
	v_and_b32_e32 v12, 1, v21
                                        ; implicit-def: $vgpr17
	v_cmp_eq_u32_e64 s2, 1, v11
	v_cmp_eq_u32_e64 s3, 1, v12
	s_and_b32 s3, s2, s3
	s_xor_b32 s3, s3, -1
	s_and_saveexec_b32 s9, s3
	s_xor_b32 s3, exec_lo, s9
; %bb.127:
	v_and_b32_e32 v11, 0xff, v21
	v_cndmask_b32_e64 v2, v10, v2, s2
	v_cndmask_b32_e64 v1, v9, v1, s2
                                        ; implicit-def: $vgpr9_vgpr10
	v_cndmask_b32_e64 v17, v11, 1, s2
; %bb.128:
	s_andn2_saveexec_b32 s3, s3
; %bb.129:
	v_cmp_lt_i64_e64 s2, v[9:10], v[1:2]
	v_mov_b32_e32 v17, 1
	v_cndmask_b32_e64 v2, v2, v10, s2
	v_cndmask_b32_e64 v1, v1, v9, s2
; %bb.130:
	s_or_b32 exec_lo, exec_lo, s3
	s_or_b32 exec_lo, exec_lo, s8
	s_and_saveexec_b32 s3, s1
	s_cbranch_execz .LBB36_97
.LBB36_131:
	s_waitcnt vmcnt(0)
	v_and_b32_e32 v9, 1, v17
	v_and_b32_e32 v10, 1, v20
                                        ; implicit-def: $vgpr17
	v_cmp_eq_u32_e64 s1, 1, v9
	v_cmp_eq_u32_e64 s2, 1, v10
	s_and_b32 s2, s1, s2
	s_xor_b32 s2, s2, -1
	s_and_saveexec_b32 s8, s2
	s_xor_b32 s2, exec_lo, s8
; %bb.132:
	v_and_b32_e32 v9, 0xff, v20
	v_cndmask_b32_e64 v2, v8, v2, s1
	v_cndmask_b32_e64 v1, v7, v1, s1
                                        ; implicit-def: $vgpr7_vgpr8
	v_cndmask_b32_e64 v17, v9, 1, s1
; %bb.133:
	s_andn2_saveexec_b32 s2, s2
; %bb.134:
	v_cmp_lt_i64_e64 s1, v[7:8], v[1:2]
	v_mov_b32_e32 v17, 1
	v_cndmask_b32_e64 v2, v2, v8, s1
	v_cndmask_b32_e64 v1, v1, v7, s1
; %bb.135:
	s_or_b32 exec_lo, exec_lo, s2
	s_or_b32 exec_lo, exec_lo, s3
	s_and_saveexec_b32 s2, s0
	s_cbranch_execz .LBB36_98
.LBB36_136:
	s_waitcnt vmcnt(0)
	v_and_b32_e32 v7, 1, v17
	v_and_b32_e32 v8, 1, v19
                                        ; implicit-def: $vgpr17
	v_cmp_eq_u32_e64 s0, 1, v7
	v_cmp_eq_u32_e64 s1, 1, v8
	s_and_b32 s1, s0, s1
	s_xor_b32 s1, s1, -1
	s_and_saveexec_b32 s3, s1
	s_xor_b32 s1, exec_lo, s3
; %bb.137:
	v_and_b32_e32 v7, 0xff, v19
	v_cndmask_b32_e64 v2, v6, v2, s0
	v_cndmask_b32_e64 v1, v5, v1, s0
                                        ; implicit-def: $vgpr5_vgpr6
	v_cndmask_b32_e64 v17, v7, 1, s0
; %bb.138:
	s_andn2_saveexec_b32 s1, s1
; %bb.139:
	v_cmp_lt_i64_e64 s0, v[5:6], v[1:2]
	v_mov_b32_e32 v17, 1
	v_cndmask_b32_e64 v2, v2, v6, s0
	v_cndmask_b32_e64 v1, v1, v5, s0
; %bb.140:
	s_or_b32 exec_lo, exec_lo, s1
	s_or_b32 exec_lo, exec_lo, s2
	s_and_saveexec_b32 s1, vcc_lo
	s_cbranch_execz .LBB36_146
.LBB36_141:
	s_waitcnt vmcnt(0)
	v_and_b32_e32 v5, 1, v17
	v_and_b32_e32 v6, 1, v18
                                        ; implicit-def: $vgpr17
	v_cmp_eq_u32_e32 vcc_lo, 1, v5
	v_cmp_eq_u32_e64 s0, 1, v6
	s_and_b32 s0, vcc_lo, s0
	s_xor_b32 s0, s0, -1
	s_and_saveexec_b32 s2, s0
	s_xor_b32 s0, exec_lo, s2
; %bb.142:
	v_and_b32_e32 v5, 0xff, v18
	v_cndmask_b32_e32 v2, v4, v2, vcc_lo
	v_cndmask_b32_e32 v1, v3, v1, vcc_lo
                                        ; implicit-def: $vgpr3_vgpr4
	v_cndmask_b32_e64 v17, v5, 1, vcc_lo
; %bb.143:
	s_andn2_saveexec_b32 s0, s0
; %bb.144:
	v_cmp_lt_i64_e32 vcc_lo, v[3:4], v[1:2]
	v_mov_b32_e32 v17, 1
	v_cndmask_b32_e32 v2, v2, v4, vcc_lo
	v_cndmask_b32_e32 v1, v1, v3, vcc_lo
; %bb.145:
	s_or_b32 exec_lo, exec_lo, s0
.LBB36_146:
	s_or_b32 exec_lo, exec_lo, s1
	s_waitcnt vmcnt(0)
	v_mbcnt_lo_u32_b32 v5, -1, 0
	v_and_b32_e32 v6, 0xe0, v0
	s_min_u32 s0, s21, 0x100
	s_mov_b32 s1, exec_lo
	v_cmp_ne_u32_e32 vcc_lo, 31, v5
	v_sub_nc_u32_e64 v6, s0, v6 clamp
	v_add_nc_u32_e32 v8, 1, v5
	v_add_co_ci_u32_e64 v3, null, 0, v5, vcc_lo
	v_lshlrev_b32_e32 v4, 2, v3
	ds_bpermute_b32 v7, v4, v17
	ds_bpermute_b32 v3, v4, v1
	;; [unrolled: 1-line block ×3, first 2 shown]
	v_cmpx_lt_u32_e64 v8, v6
	s_xor_b32 s1, exec_lo, s1
	s_cbranch_execz .LBB36_152
; %bb.147:
	s_waitcnt lgkmcnt(2)
	v_and_b32_e32 v8, v7, v17
	s_mov_b32 s2, exec_lo
	v_cmpx_ne_u32_e32 0, v8
	s_xor_b32 s2, exec_lo, s2
	s_cbranch_execz .LBB36_149
; %bb.148:
	s_waitcnt lgkmcnt(0)
	v_cmp_lt_i64_e32 vcc_lo, v[3:4], v[1:2]
                                        ; implicit-def: $vgpr17
                                        ; implicit-def: $vgpr7
	v_cndmask_b32_e32 v2, v2, v4, vcc_lo
	v_cndmask_b32_e32 v1, v1, v3, vcc_lo
                                        ; implicit-def: $vgpr3_vgpr4
.LBB36_149:
	s_or_saveexec_b32 s2, s2
	v_mov_b32_e32 v8, 1
	s_xor_b32 exec_lo, exec_lo, s2
	s_cbranch_execz .LBB36_151
; %bb.150:
	v_and_b32_e32 v8, 1, v17
	v_and_b32_e32 v7, 0xff, v7
	v_cmp_eq_u32_e32 vcc_lo, 1, v8
	s_waitcnt lgkmcnt(0)
	v_cndmask_b32_e32 v2, v4, v2, vcc_lo
	v_cndmask_b32_e32 v1, v3, v1, vcc_lo
	v_cndmask_b32_e64 v8, v7, 1, vcc_lo
.LBB36_151:
	s_or_b32 exec_lo, exec_lo, s2
	v_mov_b32_e32 v17, v8
.LBB36_152:
	s_or_b32 exec_lo, exec_lo, s1
	v_cmp_gt_u32_e32 vcc_lo, 30, v5
	v_add_nc_u32_e32 v8, 2, v5
	s_mov_b32 s1, exec_lo
	s_waitcnt lgkmcnt(1)
	v_cndmask_b32_e64 v3, 0, 2, vcc_lo
	s_waitcnt lgkmcnt(0)
	v_add_lshl_u32 v4, v3, v5, 2
	ds_bpermute_b32 v7, v4, v17
	ds_bpermute_b32 v3, v4, v1
	ds_bpermute_b32 v4, v4, v2
	v_cmpx_lt_u32_e64 v8, v6
	s_cbranch_execz .LBB36_158
; %bb.153:
	s_waitcnt lgkmcnt(2)
	v_and_b32_e32 v8, v17, v7
	s_mov_b32 s2, exec_lo
	v_and_b32_e32 v8, 1, v8
	v_cmpx_eq_u32_e32 1, v8
	s_xor_b32 s2, exec_lo, s2
	s_cbranch_execz .LBB36_155
; %bb.154:
	s_waitcnt lgkmcnt(0)
	v_cmp_lt_i64_e32 vcc_lo, v[3:4], v[1:2]
                                        ; implicit-def: $vgpr17
                                        ; implicit-def: $vgpr7
	v_cndmask_b32_e32 v2, v2, v4, vcc_lo
	v_cndmask_b32_e32 v1, v1, v3, vcc_lo
                                        ; implicit-def: $vgpr3_vgpr4
.LBB36_155:
	s_or_saveexec_b32 s2, s2
	v_mov_b32_e32 v8, 1
	s_xor_b32 exec_lo, exec_lo, s2
	s_cbranch_execz .LBB36_157
; %bb.156:
	v_and_b32_e32 v8, 1, v17
	v_and_b32_e32 v7, 0xff, v7
	v_cmp_eq_u32_e32 vcc_lo, 1, v8
	s_waitcnt lgkmcnt(0)
	v_cndmask_b32_e32 v2, v4, v2, vcc_lo
	v_cndmask_b32_e32 v1, v3, v1, vcc_lo
	v_cndmask_b32_e64 v8, v7, 1, vcc_lo
.LBB36_157:
	s_or_b32 exec_lo, exec_lo, s2
	v_mov_b32_e32 v17, v8
.LBB36_158:
	s_or_b32 exec_lo, exec_lo, s1
	v_cmp_gt_u32_e32 vcc_lo, 28, v5
	v_add_nc_u32_e32 v8, 4, v5
	s_mov_b32 s1, exec_lo
	s_waitcnt lgkmcnt(1)
	v_cndmask_b32_e64 v3, 0, 4, vcc_lo
	s_waitcnt lgkmcnt(0)
	v_add_lshl_u32 v4, v3, v5, 2
	ds_bpermute_b32 v7, v4, v17
	ds_bpermute_b32 v3, v4, v1
	ds_bpermute_b32 v4, v4, v2
	v_cmpx_lt_u32_e64 v8, v6
	s_cbranch_execz .LBB36_164
; %bb.159:
	s_waitcnt lgkmcnt(2)
	v_and_b32_e32 v8, v17, v7
	s_mov_b32 s2, exec_lo
	v_and_b32_e32 v8, 1, v8
	v_cmpx_eq_u32_e32 1, v8
	s_xor_b32 s2, exec_lo, s2
	s_cbranch_execz .LBB36_161
; %bb.160:
	s_waitcnt lgkmcnt(0)
	v_cmp_lt_i64_e32 vcc_lo, v[3:4], v[1:2]
                                        ; implicit-def: $vgpr17
                                        ; implicit-def: $vgpr7
	v_cndmask_b32_e32 v2, v2, v4, vcc_lo
	v_cndmask_b32_e32 v1, v1, v3, vcc_lo
                                        ; implicit-def: $vgpr3_vgpr4
.LBB36_161:
	s_or_saveexec_b32 s2, s2
	v_mov_b32_e32 v8, 1
	s_xor_b32 exec_lo, exec_lo, s2
	s_cbranch_execz .LBB36_163
; %bb.162:
	v_and_b32_e32 v8, 1, v17
	v_and_b32_e32 v7, 0xff, v7
	v_cmp_eq_u32_e32 vcc_lo, 1, v8
	s_waitcnt lgkmcnt(0)
	v_cndmask_b32_e32 v2, v4, v2, vcc_lo
	v_cndmask_b32_e32 v1, v3, v1, vcc_lo
	v_cndmask_b32_e64 v8, v7, 1, vcc_lo
.LBB36_163:
	s_or_b32 exec_lo, exec_lo, s2
	v_mov_b32_e32 v17, v8
.LBB36_164:
	;; [unrolled: 46-line block ×3, first 2 shown]
	s_or_b32 exec_lo, exec_lo, s1
	s_waitcnt lgkmcnt(2)
	v_lshlrev_b32_e32 v7, 2, v5
	v_add_nc_u32_e32 v9, 16, v5
	s_waitcnt lgkmcnt(0)
	v_or_b32_e32 v4, 64, v7
	v_cmp_lt_u32_e32 vcc_lo, v9, v6
	v_mov_b32_e32 v6, v17
	ds_bpermute_b32 v8, v4, v17
	ds_bpermute_b32 v3, v4, v1
	ds_bpermute_b32 v4, v4, v2
	s_and_saveexec_b32 s1, vcc_lo
	s_cbranch_execz .LBB36_176
; %bb.171:
	s_waitcnt lgkmcnt(2)
	v_and_b32_e32 v6, v17, v8
	s_mov_b32 s2, exec_lo
	v_and_b32_e32 v6, 1, v6
	v_cmpx_eq_u32_e32 1, v6
	s_xor_b32 s2, exec_lo, s2
	s_cbranch_execz .LBB36_173
; %bb.172:
	s_waitcnt lgkmcnt(0)
	v_cmp_lt_i64_e32 vcc_lo, v[3:4], v[1:2]
                                        ; implicit-def: $vgpr17
                                        ; implicit-def: $vgpr8
	v_cndmask_b32_e32 v2, v2, v4, vcc_lo
	v_cndmask_b32_e32 v1, v1, v3, vcc_lo
                                        ; implicit-def: $vgpr3_vgpr4
.LBB36_173:
	s_or_saveexec_b32 s2, s2
	v_mov_b32_e32 v6, 1
	s_xor_b32 exec_lo, exec_lo, s2
	s_cbranch_execz .LBB36_175
; %bb.174:
	v_and_b32_e32 v6, 1, v17
	v_cmp_eq_u32_e32 vcc_lo, 1, v6
	v_cndmask_b32_e64 v6, v8, 1, vcc_lo
	s_waitcnt lgkmcnt(0)
	v_cndmask_b32_e32 v2, v4, v2, vcc_lo
	v_cndmask_b32_e32 v1, v3, v1, vcc_lo
.LBB36_175:
	s_or_b32 exec_lo, exec_lo, s2
	v_and_b32_e32 v17, 0xff, v6
.LBB36_176:
	s_or_b32 exec_lo, exec_lo, s1
	s_mov_b32 s1, exec_lo
	v_cmpx_eq_u32_e32 0, v5
	s_cbranch_execz .LBB36_178
; %bb.177:
	s_waitcnt lgkmcnt(1)
	v_lshrrev_b32_e32 v3, 1, v0
	v_and_b32_e32 v3, 0x70, v3
	ds_write_b8 v3, v6 offset:512
	ds_write_b64 v3, v[1:2] offset:520
.LBB36_178:
	s_or_b32 exec_lo, exec_lo, s1
	s_mov_b32 s1, exec_lo
	s_waitcnt lgkmcnt(0)
	s_barrier
	buffer_gl0_inv
	v_cmpx_gt_u32_e32 8, v0
	s_cbranch_execz .LBB36_198
; %bb.179:
	v_lshlrev_b32_e32 v1, 4, v5
	v_and_b32_e32 v6, 7, v5
	s_add_i32 s0, s0, 31
	s_mov_b32 s2, exec_lo
	s_lshr_b32 s0, s0, 5
	ds_read_u8 v8, v1 offset:512
	ds_read_b64 v[1:2], v1 offset:520
	v_cmp_ne_u32_e32 vcc_lo, 7, v6
	v_add_nc_u32_e32 v10, 1, v6
	v_add_co_ci_u32_e64 v3, null, 0, v5, vcc_lo
	v_lshlrev_b32_e32 v4, 2, v3
	s_waitcnt lgkmcnt(1)
	v_and_b32_e32 v17, 0xff, v8
	s_waitcnt lgkmcnt(0)
	ds_bpermute_b32 v3, v4, v1
	ds_bpermute_b32 v9, v4, v17
	;; [unrolled: 1-line block ×3, first 2 shown]
	v_cmpx_gt_u32_e64 s0, v10
	s_cbranch_execz .LBB36_185
; %bb.180:
	s_waitcnt lgkmcnt(1)
	v_and_b32_e32 v10, v17, v9
	s_mov_b32 s3, exec_lo
	v_and_b32_e32 v10, 1, v10
	v_cmpx_eq_u32_e32 1, v10
	s_xor_b32 s3, exec_lo, s3
	s_cbranch_execz .LBB36_182
; %bb.181:
	s_waitcnt lgkmcnt(0)
	v_cmp_lt_i64_e32 vcc_lo, v[3:4], v[1:2]
                                        ; implicit-def: $vgpr8
                                        ; implicit-def: $vgpr9
	v_cndmask_b32_e32 v2, v2, v4, vcc_lo
	v_cndmask_b32_e32 v1, v1, v3, vcc_lo
                                        ; implicit-def: $vgpr3_vgpr4
.LBB36_182:
	s_or_saveexec_b32 s3, s3
	v_mov_b32_e32 v17, 1
	s_xor_b32 exec_lo, exec_lo, s3
	s_cbranch_execz .LBB36_184
; %bb.183:
	v_and_b32_e32 v8, 1, v8
	v_cmp_eq_u32_e32 vcc_lo, 1, v8
	v_and_b32_e32 v8, 0xff, v9
	s_waitcnt lgkmcnt(0)
	v_cndmask_b32_e32 v2, v4, v2, vcc_lo
	v_cndmask_b32_e32 v1, v3, v1, vcc_lo
	v_cndmask_b32_e64 v17, v8, 1, vcc_lo
.LBB36_184:
	s_or_b32 exec_lo, exec_lo, s3
.LBB36_185:
	s_or_b32 exec_lo, exec_lo, s2
	v_cmp_gt_u32_e32 vcc_lo, 6, v6
	v_add_nc_u32_e32 v8, 2, v6
	s_mov_b32 s2, exec_lo
	s_waitcnt lgkmcnt(2)
	v_cndmask_b32_e64 v3, 0, 2, vcc_lo
	s_waitcnt lgkmcnt(0)
	v_add_lshl_u32 v4, v3, v5, 2
	ds_bpermute_b32 v5, v4, v17
	ds_bpermute_b32 v3, v4, v1
	ds_bpermute_b32 v4, v4, v2
	v_cmpx_gt_u32_e64 s0, v8
	s_cbranch_execz .LBB36_191
; %bb.186:
	s_waitcnt lgkmcnt(2)
	v_and_b32_e32 v8, v17, v5
	s_mov_b32 s3, exec_lo
	v_and_b32_e32 v8, 1, v8
	v_cmpx_eq_u32_e32 1, v8
	s_xor_b32 s3, exec_lo, s3
	s_cbranch_execz .LBB36_188
; %bb.187:
	s_waitcnt lgkmcnt(0)
	v_cmp_lt_i64_e32 vcc_lo, v[3:4], v[1:2]
                                        ; implicit-def: $vgpr17
                                        ; implicit-def: $vgpr5
	v_cndmask_b32_e32 v2, v2, v4, vcc_lo
	v_cndmask_b32_e32 v1, v1, v3, vcc_lo
                                        ; implicit-def: $vgpr3_vgpr4
.LBB36_188:
	s_or_saveexec_b32 s3, s3
	v_mov_b32_e32 v8, 1
	s_xor_b32 exec_lo, exec_lo, s3
	s_cbranch_execz .LBB36_190
; %bb.189:
	v_and_b32_e32 v8, 1, v17
	v_and_b32_e32 v5, 0xff, v5
	v_cmp_eq_u32_e32 vcc_lo, 1, v8
	s_waitcnt lgkmcnt(0)
	v_cndmask_b32_e32 v2, v4, v2, vcc_lo
	v_cndmask_b32_e32 v1, v3, v1, vcc_lo
	v_cndmask_b32_e64 v8, v5, 1, vcc_lo
.LBB36_190:
	s_or_b32 exec_lo, exec_lo, s3
	v_mov_b32_e32 v17, v8
.LBB36_191:
	s_or_b32 exec_lo, exec_lo, s2
	s_waitcnt lgkmcnt(0)
	v_or_b32_e32 v4, 16, v7
	v_add_nc_u32_e32 v6, 4, v6
	ds_bpermute_b32 v5, v4, v17
	ds_bpermute_b32 v3, v4, v1
	;; [unrolled: 1-line block ×3, first 2 shown]
	v_cmp_gt_u32_e32 vcc_lo, s0, v6
	s_and_saveexec_b32 s0, vcc_lo
	s_cbranch_execz .LBB36_197
; %bb.192:
	s_waitcnt lgkmcnt(2)
	v_and_b32_e32 v6, v17, v5
	s_mov_b32 s2, exec_lo
	v_and_b32_e32 v6, 1, v6
	v_cmpx_eq_u32_e32 1, v6
	s_xor_b32 s2, exec_lo, s2
	s_cbranch_execz .LBB36_194
; %bb.193:
	s_waitcnt lgkmcnt(0)
	v_cmp_lt_i64_e32 vcc_lo, v[3:4], v[1:2]
                                        ; implicit-def: $vgpr17
                                        ; implicit-def: $vgpr5
	v_cndmask_b32_e32 v2, v2, v4, vcc_lo
	v_cndmask_b32_e32 v1, v1, v3, vcc_lo
                                        ; implicit-def: $vgpr3_vgpr4
.LBB36_194:
	s_or_saveexec_b32 s2, s2
	v_mov_b32_e32 v6, 1
	s_xor_b32 exec_lo, exec_lo, s2
	s_cbranch_execz .LBB36_196
; %bb.195:
	v_and_b32_e32 v6, 1, v17
	v_cmp_eq_u32_e32 vcc_lo, 1, v6
	s_waitcnt lgkmcnt(0)
	v_cndmask_b32_e32 v2, v4, v2, vcc_lo
	v_cndmask_b32_e32 v1, v3, v1, vcc_lo
	v_cndmask_b32_e64 v6, v5, 1, vcc_lo
.LBB36_196:
	s_or_b32 exec_lo, exec_lo, s2
	v_mov_b32_e32 v17, v6
.LBB36_197:
	s_or_b32 exec_lo, exec_lo, s0
.LBB36_198:
	s_or_b32 exec_lo, exec_lo, s1
.LBB36_199:
	s_mov_b32 s10, 0
                                        ; implicit-def: $vgpr3_vgpr4
                                        ; implicit-def: $vgpr5
	s_mov_b32 s0, exec_lo
	v_cmpx_eq_u32_e32 0, v0
	s_xor_b32 s2, exec_lo, s0
	s_cbranch_execz .LBB36_203
; %bb.200:
	s_waitcnt lgkmcnt(0)
	v_mov_b32_e32 v3, s16
	v_mov_b32_e32 v4, s17
	;; [unrolled: 1-line block ×3, first 2 shown]
	s_cmp_eq_u64 s[14:15], 0
	s_cbranch_scc1 .LBB36_202
; %bb.201:
	v_and_b32_e32 v3, 1, v17
	v_cmp_gt_i64_e32 vcc_lo, s[16:17], v[1:2]
	s_bitcmp1_b32 s18, 0
	s_cselect_b32 s1, -1, 0
	v_cmp_eq_u32_e64 s0, 1, v3
	v_cndmask_b32_e64 v5, v17, 1, s1
	s_and_b32 vcc_lo, s0, vcc_lo
	v_cndmask_b32_e32 v3, s16, v1, vcc_lo
	v_cndmask_b32_e32 v4, s17, v2, vcc_lo
	v_cndmask_b32_e64 v3, v1, v3, s1
	v_cndmask_b32_e64 v4, v2, v4, s1
.LBB36_202:
	s_mov_b32 s10, exec_lo
.LBB36_203:
	s_or_b32 exec_lo, exec_lo, s2
	v_mov_b32_e32 v1, s6
	v_mov_b32_e32 v2, s7
	s_and_b32 vcc_lo, exec_lo, s20
	s_cbranch_vccnz .LBB36_48
.LBB36_204:
	s_branch .LBB36_384
.LBB36_205:
	v_lshlrev_b32_e32 v3, 4, v13
	s_clause 0x1
	global_load_ubyte v10, v3, s[2:3]
	global_load_dwordx2 v[3:4], v3, s[2:3] offset:8
	s_or_b32 exec_lo, exec_lo, s9
	s_and_saveexec_b32 s3, s1
	s_cbranch_execz .LBB36_108
.LBB36_206:
	s_waitcnt vmcnt(1)
	v_and_b32_e32 v9, 1, v9
	v_and_b32_e32 v13, 1, v12
	v_cmp_eq_u32_e64 s1, 1, v9
	v_cmp_eq_u32_e64 s2, 1, v13
                                        ; implicit-def: $vgpr9
	s_and_b32 s2, s1, s2
	s_xor_b32 s2, s2, -1
	s_and_saveexec_b32 s9, s2
	s_xor_b32 s2, exec_lo, s9
	s_cbranch_execz .LBB36_208
; %bb.207:
	v_and_b32_e32 v9, 0xff, v12
	s_waitcnt vmcnt(0)
	v_cndmask_b32_e64 v2, v8, v2, s1
	v_cndmask_b32_e64 v1, v7, v1, s1
                                        ; implicit-def: $vgpr7_vgpr8
	v_cndmask_b32_e64 v9, v9, 1, s1
.LBB36_208:
	s_andn2_saveexec_b32 s2, s2
	s_cbranch_execz .LBB36_210
; %bb.209:
	s_waitcnt vmcnt(0)
	v_cmp_lt_i64_e64 s1, v[7:8], v[1:2]
	v_mov_b32_e32 v9, 1
	v_cndmask_b32_e64 v2, v2, v8, s1
	v_cndmask_b32_e64 v1, v1, v7, s1
.LBB36_210:
	s_or_b32 exec_lo, exec_lo, s2
	s_or_b32 exec_lo, exec_lo, s3
	s_and_saveexec_b32 s2, s0
	s_cbranch_execz .LBB36_109
.LBB36_211:
	s_waitcnt vmcnt(0)
	v_and_b32_e32 v7, 1, v9
	v_and_b32_e32 v8, 1, v11
                                        ; implicit-def: $vgpr9
	v_cmp_eq_u32_e64 s0, 1, v7
	v_cmp_eq_u32_e64 s1, 1, v8
	s_and_b32 s1, s0, s1
	s_xor_b32 s1, s1, -1
	s_and_saveexec_b32 s3, s1
	s_xor_b32 s1, exec_lo, s3
; %bb.212:
	v_and_b32_e32 v7, 0xff, v11
	v_cndmask_b32_e64 v2, v6, v2, s0
	v_cndmask_b32_e64 v1, v5, v1, s0
                                        ; implicit-def: $vgpr5_vgpr6
	v_cndmask_b32_e64 v9, v7, 1, s0
; %bb.213:
	s_andn2_saveexec_b32 s1, s1
; %bb.214:
	v_cmp_lt_i64_e64 s0, v[5:6], v[1:2]
	v_mov_b32_e32 v9, 1
	v_cndmask_b32_e64 v2, v2, v6, s0
	v_cndmask_b32_e64 v1, v1, v5, s0
; %bb.215:
	s_or_b32 exec_lo, exec_lo, s1
	s_or_b32 exec_lo, exec_lo, s2
	s_and_saveexec_b32 s1, vcc_lo
	s_cbranch_execz .LBB36_221
.LBB36_216:
	s_waitcnt vmcnt(0)
	v_and_b32_e32 v5, 1, v9
	v_and_b32_e32 v6, 1, v10
                                        ; implicit-def: $vgpr9
	v_cmp_eq_u32_e32 vcc_lo, 1, v5
	v_cmp_eq_u32_e64 s0, 1, v6
	s_and_b32 s0, vcc_lo, s0
	s_xor_b32 s0, s0, -1
	s_and_saveexec_b32 s2, s0
	s_xor_b32 s0, exec_lo, s2
; %bb.217:
	v_and_b32_e32 v5, 0xff, v10
	v_cndmask_b32_e32 v2, v4, v2, vcc_lo
	v_cndmask_b32_e32 v1, v3, v1, vcc_lo
                                        ; implicit-def: $vgpr3_vgpr4
	v_cndmask_b32_e64 v9, v5, 1, vcc_lo
; %bb.218:
	s_andn2_saveexec_b32 s0, s0
; %bb.219:
	v_cmp_lt_i64_e32 vcc_lo, v[3:4], v[1:2]
	v_mov_b32_e32 v9, 1
	v_cndmask_b32_e32 v2, v2, v4, vcc_lo
	v_cndmask_b32_e32 v1, v1, v3, vcc_lo
; %bb.220:
	s_or_b32 exec_lo, exec_lo, s0
.LBB36_221:
	s_or_b32 exec_lo, exec_lo, s1
	s_waitcnt vmcnt(0)
	v_mbcnt_lo_u32_b32 v5, -1, 0
	v_and_b32_e32 v6, 0xe0, v0
	s_min_u32 s0, s8, 0x100
	s_mov_b32 s1, exec_lo
	v_cmp_ne_u32_e32 vcc_lo, 31, v5
	v_sub_nc_u32_e64 v6, s0, v6 clamp
	v_add_nc_u32_e32 v8, 1, v5
	v_add_co_ci_u32_e64 v3, null, 0, v5, vcc_lo
	v_lshlrev_b32_e32 v4, 2, v3
	ds_bpermute_b32 v7, v4, v9
	ds_bpermute_b32 v3, v4, v1
	;; [unrolled: 1-line block ×3, first 2 shown]
	v_cmpx_lt_u32_e64 v8, v6
	s_xor_b32 s1, exec_lo, s1
	s_cbranch_execz .LBB36_227
; %bb.222:
	s_waitcnt lgkmcnt(2)
	v_and_b32_e32 v8, v7, v9
	s_mov_b32 s2, exec_lo
	v_cmpx_ne_u32_e32 0, v8
	s_xor_b32 s2, exec_lo, s2
	s_cbranch_execz .LBB36_224
; %bb.223:
	s_waitcnt lgkmcnt(0)
	v_cmp_lt_i64_e32 vcc_lo, v[3:4], v[1:2]
                                        ; implicit-def: $vgpr9
                                        ; implicit-def: $vgpr7
	v_cndmask_b32_e32 v2, v2, v4, vcc_lo
	v_cndmask_b32_e32 v1, v1, v3, vcc_lo
                                        ; implicit-def: $vgpr3_vgpr4
.LBB36_224:
	s_or_saveexec_b32 s2, s2
	v_mov_b32_e32 v8, 1
	s_xor_b32 exec_lo, exec_lo, s2
	s_cbranch_execz .LBB36_226
; %bb.225:
	v_and_b32_e32 v8, 1, v9
	v_and_b32_e32 v7, 0xff, v7
	v_cmp_eq_u32_e32 vcc_lo, 1, v8
	s_waitcnt lgkmcnt(0)
	v_cndmask_b32_e32 v2, v4, v2, vcc_lo
	v_cndmask_b32_e32 v1, v3, v1, vcc_lo
	v_cndmask_b32_e64 v8, v7, 1, vcc_lo
.LBB36_226:
	s_or_b32 exec_lo, exec_lo, s2
	v_mov_b32_e32 v9, v8
.LBB36_227:
	s_or_b32 exec_lo, exec_lo, s1
	v_cmp_gt_u32_e32 vcc_lo, 30, v5
	v_add_nc_u32_e32 v8, 2, v5
	s_mov_b32 s1, exec_lo
	s_waitcnt lgkmcnt(1)
	v_cndmask_b32_e64 v3, 0, 2, vcc_lo
	s_waitcnt lgkmcnt(0)
	v_add_lshl_u32 v4, v3, v5, 2
	ds_bpermute_b32 v7, v4, v9
	ds_bpermute_b32 v3, v4, v1
	ds_bpermute_b32 v4, v4, v2
	v_cmpx_lt_u32_e64 v8, v6
	s_cbranch_execz .LBB36_233
; %bb.228:
	s_waitcnt lgkmcnt(2)
	v_and_b32_e32 v8, v9, v7
	s_mov_b32 s2, exec_lo
	v_and_b32_e32 v8, 1, v8
	v_cmpx_eq_u32_e32 1, v8
	s_xor_b32 s2, exec_lo, s2
	s_cbranch_execz .LBB36_230
; %bb.229:
	s_waitcnt lgkmcnt(0)
	v_cmp_lt_i64_e32 vcc_lo, v[3:4], v[1:2]
                                        ; implicit-def: $vgpr9
                                        ; implicit-def: $vgpr7
	v_cndmask_b32_e32 v2, v2, v4, vcc_lo
	v_cndmask_b32_e32 v1, v1, v3, vcc_lo
                                        ; implicit-def: $vgpr3_vgpr4
.LBB36_230:
	s_or_saveexec_b32 s2, s2
	v_mov_b32_e32 v8, 1
	s_xor_b32 exec_lo, exec_lo, s2
	s_cbranch_execz .LBB36_232
; %bb.231:
	v_and_b32_e32 v8, 1, v9
	v_and_b32_e32 v7, 0xff, v7
	v_cmp_eq_u32_e32 vcc_lo, 1, v8
	s_waitcnt lgkmcnt(0)
	v_cndmask_b32_e32 v2, v4, v2, vcc_lo
	v_cndmask_b32_e32 v1, v3, v1, vcc_lo
	v_cndmask_b32_e64 v8, v7, 1, vcc_lo
.LBB36_232:
	s_or_b32 exec_lo, exec_lo, s2
	v_mov_b32_e32 v9, v8
.LBB36_233:
	s_or_b32 exec_lo, exec_lo, s1
	v_cmp_gt_u32_e32 vcc_lo, 28, v5
	v_add_nc_u32_e32 v8, 4, v5
	s_mov_b32 s1, exec_lo
	s_waitcnt lgkmcnt(1)
	v_cndmask_b32_e64 v3, 0, 4, vcc_lo
	s_waitcnt lgkmcnt(0)
	v_add_lshl_u32 v4, v3, v5, 2
	ds_bpermute_b32 v7, v4, v9
	ds_bpermute_b32 v3, v4, v1
	ds_bpermute_b32 v4, v4, v2
	v_cmpx_lt_u32_e64 v8, v6
	s_cbranch_execz .LBB36_239
; %bb.234:
	s_waitcnt lgkmcnt(2)
	v_and_b32_e32 v8, v9, v7
	s_mov_b32 s2, exec_lo
	v_and_b32_e32 v8, 1, v8
	v_cmpx_eq_u32_e32 1, v8
	s_xor_b32 s2, exec_lo, s2
	s_cbranch_execz .LBB36_236
; %bb.235:
	s_waitcnt lgkmcnt(0)
	v_cmp_lt_i64_e32 vcc_lo, v[3:4], v[1:2]
                                        ; implicit-def: $vgpr9
                                        ; implicit-def: $vgpr7
	v_cndmask_b32_e32 v2, v2, v4, vcc_lo
	v_cndmask_b32_e32 v1, v1, v3, vcc_lo
                                        ; implicit-def: $vgpr3_vgpr4
.LBB36_236:
	s_or_saveexec_b32 s2, s2
	v_mov_b32_e32 v8, 1
	s_xor_b32 exec_lo, exec_lo, s2
	s_cbranch_execz .LBB36_238
; %bb.237:
	v_and_b32_e32 v8, 1, v9
	v_and_b32_e32 v7, 0xff, v7
	v_cmp_eq_u32_e32 vcc_lo, 1, v8
	s_waitcnt lgkmcnt(0)
	v_cndmask_b32_e32 v2, v4, v2, vcc_lo
	v_cndmask_b32_e32 v1, v3, v1, vcc_lo
	v_cndmask_b32_e64 v8, v7, 1, vcc_lo
.LBB36_238:
	s_or_b32 exec_lo, exec_lo, s2
	v_mov_b32_e32 v9, v8
.LBB36_239:
	;; [unrolled: 46-line block ×3, first 2 shown]
	s_or_b32 exec_lo, exec_lo, s1
	s_waitcnt lgkmcnt(2)
	v_lshlrev_b32_e32 v7, 2, v5
	v_add_nc_u32_e32 v10, 16, v5
	s_waitcnt lgkmcnt(0)
	v_or_b32_e32 v4, 64, v7
	v_cmp_lt_u32_e32 vcc_lo, v10, v6
	v_mov_b32_e32 v6, v9
	ds_bpermute_b32 v8, v4, v9
	ds_bpermute_b32 v3, v4, v1
	;; [unrolled: 1-line block ×3, first 2 shown]
	s_and_saveexec_b32 s1, vcc_lo
	s_cbranch_execz .LBB36_251
; %bb.246:
	s_waitcnt lgkmcnt(2)
	v_and_b32_e32 v6, v9, v8
	s_mov_b32 s2, exec_lo
	v_and_b32_e32 v6, 1, v6
	v_cmpx_eq_u32_e32 1, v6
	s_xor_b32 s2, exec_lo, s2
	s_cbranch_execz .LBB36_248
; %bb.247:
	s_waitcnt lgkmcnt(0)
	v_cmp_lt_i64_e32 vcc_lo, v[3:4], v[1:2]
                                        ; implicit-def: $vgpr9
                                        ; implicit-def: $vgpr8
	v_cndmask_b32_e32 v2, v2, v4, vcc_lo
	v_cndmask_b32_e32 v1, v1, v3, vcc_lo
                                        ; implicit-def: $vgpr3_vgpr4
.LBB36_248:
	s_or_saveexec_b32 s2, s2
	v_mov_b32_e32 v6, 1
	s_xor_b32 exec_lo, exec_lo, s2
	s_cbranch_execz .LBB36_250
; %bb.249:
	v_and_b32_e32 v6, 1, v9
	v_cmp_eq_u32_e32 vcc_lo, 1, v6
	v_cndmask_b32_e64 v6, v8, 1, vcc_lo
	s_waitcnt lgkmcnt(0)
	v_cndmask_b32_e32 v2, v4, v2, vcc_lo
	v_cndmask_b32_e32 v1, v3, v1, vcc_lo
.LBB36_250:
	s_or_b32 exec_lo, exec_lo, s2
	v_and_b32_e32 v9, 0xff, v6
.LBB36_251:
	s_or_b32 exec_lo, exec_lo, s1
	s_mov_b32 s1, exec_lo
	v_cmpx_eq_u32_e32 0, v5
	s_cbranch_execz .LBB36_253
; %bb.252:
	s_waitcnt lgkmcnt(1)
	v_lshrrev_b32_e32 v3, 1, v0
	v_and_b32_e32 v3, 0x70, v3
	ds_write_b8 v3, v6 offset:512
	ds_write_b64 v3, v[1:2] offset:520
.LBB36_253:
	s_or_b32 exec_lo, exec_lo, s1
	s_mov_b32 s1, exec_lo
	s_waitcnt lgkmcnt(0)
	s_barrier
	buffer_gl0_inv
	v_cmpx_gt_u32_e32 8, v0
	s_cbranch_execz .LBB36_273
; %bb.254:
	v_lshlrev_b32_e32 v1, 4, v5
	v_and_b32_e32 v6, 7, v5
	s_add_i32 s0, s0, 31
	s_mov_b32 s2, exec_lo
	s_lshr_b32 s0, s0, 5
	ds_read_u8 v8, v1 offset:512
	ds_read_b64 v[1:2], v1 offset:520
	v_cmp_ne_u32_e32 vcc_lo, 7, v6
	v_add_nc_u32_e32 v11, 1, v6
	v_add_co_ci_u32_e64 v3, null, 0, v5, vcc_lo
	v_lshlrev_b32_e32 v4, 2, v3
	s_waitcnt lgkmcnt(1)
	v_and_b32_e32 v9, 0xff, v8
	s_waitcnt lgkmcnt(0)
	ds_bpermute_b32 v3, v4, v1
	ds_bpermute_b32 v10, v4, v9
	;; [unrolled: 1-line block ×3, first 2 shown]
	v_cmpx_gt_u32_e64 s0, v11
	s_cbranch_execz .LBB36_260
; %bb.255:
	s_waitcnt lgkmcnt(1)
	v_and_b32_e32 v9, v9, v10
	s_mov_b32 s3, exec_lo
	v_and_b32_e32 v9, 1, v9
	v_cmpx_eq_u32_e32 1, v9
	s_xor_b32 s3, exec_lo, s3
	s_cbranch_execz .LBB36_257
; %bb.256:
	s_waitcnt lgkmcnt(0)
	v_cmp_lt_i64_e32 vcc_lo, v[3:4], v[1:2]
                                        ; implicit-def: $vgpr8
                                        ; implicit-def: $vgpr10
	v_cndmask_b32_e32 v2, v2, v4, vcc_lo
	v_cndmask_b32_e32 v1, v1, v3, vcc_lo
                                        ; implicit-def: $vgpr3_vgpr4
.LBB36_257:
	s_or_saveexec_b32 s3, s3
	v_mov_b32_e32 v9, 1
	s_xor_b32 exec_lo, exec_lo, s3
	s_cbranch_execz .LBB36_259
; %bb.258:
	v_and_b32_e32 v8, 1, v8
	v_cmp_eq_u32_e32 vcc_lo, 1, v8
	v_and_b32_e32 v8, 0xff, v10
	s_waitcnt lgkmcnt(0)
	v_cndmask_b32_e32 v2, v4, v2, vcc_lo
	v_cndmask_b32_e32 v1, v3, v1, vcc_lo
	v_cndmask_b32_e64 v9, v8, 1, vcc_lo
.LBB36_259:
	s_or_b32 exec_lo, exec_lo, s3
.LBB36_260:
	s_or_b32 exec_lo, exec_lo, s2
	v_cmp_gt_u32_e32 vcc_lo, 6, v6
	v_add_nc_u32_e32 v8, 2, v6
	s_mov_b32 s2, exec_lo
	s_waitcnt lgkmcnt(2)
	v_cndmask_b32_e64 v3, 0, 2, vcc_lo
	s_waitcnt lgkmcnt(0)
	v_add_lshl_u32 v4, v3, v5, 2
	ds_bpermute_b32 v5, v4, v9
	ds_bpermute_b32 v3, v4, v1
	;; [unrolled: 1-line block ×3, first 2 shown]
	v_cmpx_gt_u32_e64 s0, v8
	s_cbranch_execz .LBB36_266
; %bb.261:
	s_waitcnt lgkmcnt(2)
	v_and_b32_e32 v8, v9, v5
	s_mov_b32 s3, exec_lo
	v_and_b32_e32 v8, 1, v8
	v_cmpx_eq_u32_e32 1, v8
	s_xor_b32 s3, exec_lo, s3
	s_cbranch_execz .LBB36_263
; %bb.262:
	s_waitcnt lgkmcnt(0)
	v_cmp_lt_i64_e32 vcc_lo, v[3:4], v[1:2]
                                        ; implicit-def: $vgpr9
                                        ; implicit-def: $vgpr5
	v_cndmask_b32_e32 v2, v2, v4, vcc_lo
	v_cndmask_b32_e32 v1, v1, v3, vcc_lo
                                        ; implicit-def: $vgpr3_vgpr4
.LBB36_263:
	s_or_saveexec_b32 s3, s3
	v_mov_b32_e32 v8, 1
	s_xor_b32 exec_lo, exec_lo, s3
	s_cbranch_execz .LBB36_265
; %bb.264:
	v_and_b32_e32 v8, 1, v9
	v_and_b32_e32 v5, 0xff, v5
	v_cmp_eq_u32_e32 vcc_lo, 1, v8
	s_waitcnt lgkmcnt(0)
	v_cndmask_b32_e32 v2, v4, v2, vcc_lo
	v_cndmask_b32_e32 v1, v3, v1, vcc_lo
	v_cndmask_b32_e64 v8, v5, 1, vcc_lo
.LBB36_265:
	s_or_b32 exec_lo, exec_lo, s3
	v_mov_b32_e32 v9, v8
.LBB36_266:
	s_or_b32 exec_lo, exec_lo, s2
	s_waitcnt lgkmcnt(0)
	v_or_b32_e32 v4, 16, v7
	v_add_nc_u32_e32 v6, 4, v6
	ds_bpermute_b32 v5, v4, v9
	ds_bpermute_b32 v3, v4, v1
	;; [unrolled: 1-line block ×3, first 2 shown]
	v_cmp_gt_u32_e32 vcc_lo, s0, v6
	s_and_saveexec_b32 s0, vcc_lo
	s_cbranch_execz .LBB36_272
; %bb.267:
	s_waitcnt lgkmcnt(2)
	v_and_b32_e32 v6, v9, v5
	s_mov_b32 s2, exec_lo
	v_and_b32_e32 v6, 1, v6
	v_cmpx_eq_u32_e32 1, v6
	s_xor_b32 s2, exec_lo, s2
	s_cbranch_execz .LBB36_269
; %bb.268:
	s_waitcnt lgkmcnt(0)
	v_cmp_lt_i64_e32 vcc_lo, v[3:4], v[1:2]
                                        ; implicit-def: $vgpr9
                                        ; implicit-def: $vgpr5
	v_cndmask_b32_e32 v2, v2, v4, vcc_lo
	v_cndmask_b32_e32 v1, v1, v3, vcc_lo
                                        ; implicit-def: $vgpr3_vgpr4
.LBB36_269:
	s_or_saveexec_b32 s2, s2
	v_mov_b32_e32 v6, 1
	s_xor_b32 exec_lo, exec_lo, s2
	s_cbranch_execz .LBB36_271
; %bb.270:
	v_and_b32_e32 v6, 1, v9
	v_cmp_eq_u32_e32 vcc_lo, 1, v6
	s_waitcnt lgkmcnt(0)
	v_cndmask_b32_e32 v2, v4, v2, vcc_lo
	v_cndmask_b32_e32 v1, v3, v1, vcc_lo
	v_cndmask_b32_e64 v6, v5, 1, vcc_lo
.LBB36_271:
	s_or_b32 exec_lo, exec_lo, s2
	v_mov_b32_e32 v9, v6
.LBB36_272:
	s_or_b32 exec_lo, exec_lo, s0
.LBB36_273:
	s_or_b32 exec_lo, exec_lo, s1
.LBB36_274:
                                        ; implicit-def: $vgpr3_vgpr4
                                        ; implicit-def: $vgpr5
	s_mov_b32 s0, exec_lo
	v_cmpx_eq_u32_e32 0, v0
	s_xor_b32 s2, exec_lo, s0
	s_cbranch_execz .LBB36_278
; %bb.275:
	s_waitcnt lgkmcnt(0)
	v_mov_b32_e32 v3, s16
	v_mov_b32_e32 v4, s17
	;; [unrolled: 1-line block ×3, first 2 shown]
	s_cmp_eq_u64 s[14:15], 0
	s_cbranch_scc1 .LBB36_277
; %bb.276:
	v_and_b32_e32 v3, 1, v9
	v_cmp_gt_i64_e32 vcc_lo, s[16:17], v[1:2]
	s_bitcmp1_b32 s18, 0
	s_cselect_b32 s1, -1, 0
	v_cmp_eq_u32_e64 s0, 1, v3
	v_cndmask_b32_e64 v5, v9, 1, s1
	s_and_b32 vcc_lo, s0, vcc_lo
	v_cndmask_b32_e32 v3, s16, v1, vcc_lo
	v_cndmask_b32_e32 v4, s17, v2, vcc_lo
	v_cndmask_b32_e64 v3, v1, v3, s1
	v_cndmask_b32_e64 v4, v2, v4, s1
.LBB36_277:
	s_or_b32 s10, s10, exec_lo
.LBB36_278:
	s_or_b32 exec_lo, exec_lo, s2
	v_mov_b32_e32 v1, s6
	v_mov_b32_e32 v2, s7
	s_branch .LBB36_384
.LBB36_279:
	s_cmp_gt_i32 s19, 1
	s_cbranch_scc0 .LBB36_299
; %bb.280:
	s_cmp_eq_u32 s19, 2
	s_cbranch_scc0 .LBB36_300
; %bb.281:
	s_mov_b32 s7, 0
	s_lshl_b32 s8, s6, 9
	s_mov_b32 s9, s7
	s_lshr_b64 s[20:21], s[14:15], 9
	s_lshl_b64 s[0:1], s[8:9], 4
	s_add_u32 s2, s12, s0
	s_addc_u32 s3, s13, s1
	s_cmp_lg_u64 s[20:21], s[6:7]
	s_cbranch_scc0 .LBB36_301
; %bb.282:
	s_waitcnt lgkmcnt(1)
	v_lshlrev_b32_e32 v3, 4, v0
	v_mbcnt_lo_u32_b32 v8, -1, 0
	v_add_co_u32 v1, s0, s2, v3
	v_add_co_ci_u32_e64 v2, null, s3, 0, s0
	v_add_co_u32 v1, vcc_lo, 0x1000, v1
	v_add_co_ci_u32_e64 v2, null, 0, v2, vcc_lo
	global_load_ubyte v5, v[1:2], off
	s_waitcnt lgkmcnt(0)
	s_clause 0x2
	global_load_ubyte v6, v3, s[2:3]
	global_load_dwordx2 v[3:4], v3, s[2:3] offset:8
	global_load_dwordx2 v[1:2], v[1:2], off offset:8
	s_waitcnt vmcnt(3)
	v_and_b32_e32 v7, 1, v5
	s_waitcnt vmcnt(2)
	v_and_b32_e32 v6, 1, v6
	s_waitcnt vmcnt(0)
	v_cmp_lt_i64_e32 vcc_lo, v[1:2], v[3:4]
	v_cmp_eq_u32_e64 s0, 1, v7
	v_cmp_eq_u32_e64 s1, 1, v6
	s_and_b32 vcc_lo, s0, vcc_lo
	v_cndmask_b32_e64 v5, v5, 1, s1
	v_cndmask_b32_e32 v3, v3, v1, vcc_lo
	v_cndmask_b32_e32 v4, v4, v2, vcc_lo
	v_and_b32_e32 v5, 1, v5
	v_cndmask_b32_e64 v1, v1, v3, s1
	v_cndmask_b32_e64 v2, v2, v4, s1
	v_mov_b32_dpp v6, v5 quad_perm:[1,0,3,2] row_mask:0xf bank_mask:0xf
	v_mov_b32_dpp v3, v1 quad_perm:[1,0,3,2] row_mask:0xf bank_mask:0xf
	;; [unrolled: 1-line block ×3, first 2 shown]
	v_cmp_eq_u32_e64 s0, 1, v5
	v_and_b32_e32 v6, 1, v6
	v_cmp_lt_i64_e32 vcc_lo, v[1:2], v[3:4]
	s_and_b32 vcc_lo, s0, vcc_lo
	v_cndmask_b32_e32 v3, v3, v1, vcc_lo
	v_cndmask_b32_e32 v4, v4, v2, vcc_lo
	v_cmp_eq_u32_e32 vcc_lo, 1, v6
	v_cndmask_b32_e32 v2, v2, v4, vcc_lo
	v_cndmask_b32_e32 v1, v1, v3, vcc_lo
	v_cndmask_b32_e64 v5, v5, 1, vcc_lo
	v_mov_b32_dpp v4, v2 quad_perm:[2,3,0,1] row_mask:0xf bank_mask:0xf
	v_mov_b32_dpp v3, v1 quad_perm:[2,3,0,1] row_mask:0xf bank_mask:0xf
	v_and_b32_e32 v7, 1, v5
	v_mov_b32_dpp v6, v5 quad_perm:[2,3,0,1] row_mask:0xf bank_mask:0xf
	v_cmp_lt_i64_e32 vcc_lo, v[1:2], v[3:4]
	v_cmp_eq_u32_e64 s0, 1, v7
	v_and_b32_e32 v6, 1, v6
	s_and_b32 vcc_lo, s0, vcc_lo
	v_cmp_eq_u32_e64 s1, 1, v6
	v_cndmask_b32_e32 v3, v3, v1, vcc_lo
	v_cndmask_b32_e32 v4, v4, v2, vcc_lo
	v_cndmask_b32_e64 v5, v5, 1, s1
	v_cndmask_b32_e64 v1, v1, v3, s1
	;; [unrolled: 1-line block ×3, first 2 shown]
	v_and_b32_e32 v7, 1, v5
	v_mov_b32_dpp v3, v1 row_ror:4 row_mask:0xf bank_mask:0xf
	v_mov_b32_dpp v4, v2 row_ror:4 row_mask:0xf bank_mask:0xf
	;; [unrolled: 1-line block ×3, first 2 shown]
	v_cmp_eq_u32_e64 s0, 1, v7
	v_cmp_lt_i64_e32 vcc_lo, v[1:2], v[3:4]
	v_and_b32_e32 v6, 1, v6
	s_and_b32 vcc_lo, s0, vcc_lo
	v_cmp_eq_u32_e64 s1, 1, v6
	v_cndmask_b32_e32 v3, v3, v1, vcc_lo
	v_cndmask_b32_e32 v4, v4, v2, vcc_lo
	v_cndmask_b32_e64 v5, v5, 1, s1
	v_cndmask_b32_e64 v1, v1, v3, s1
	;; [unrolled: 1-line block ×3, first 2 shown]
	v_and_b32_e32 v7, 1, v5
	v_mov_b32_dpp v3, v1 row_ror:8 row_mask:0xf bank_mask:0xf
	v_mov_b32_dpp v4, v2 row_ror:8 row_mask:0xf bank_mask:0xf
	;; [unrolled: 1-line block ×3, first 2 shown]
	v_cmp_eq_u32_e64 s0, 1, v7
	v_cmp_lt_i64_e32 vcc_lo, v[1:2], v[3:4]
	v_and_b32_e32 v6, 1, v6
	s_and_b32 vcc_lo, s0, vcc_lo
	v_cmp_eq_u32_e64 s1, 1, v6
	v_cndmask_b32_e32 v3, v3, v1, vcc_lo
	v_cndmask_b32_e32 v4, v4, v2, vcc_lo
	v_cndmask_b32_e64 v5, v5, 1, s1
	v_cndmask_b32_e64 v1, v1, v3, s1
	;; [unrolled: 1-line block ×3, first 2 shown]
	ds_swizzle_b32 v6, v5 offset:swizzle(BROADCAST,32,15)
	ds_swizzle_b32 v3, v1 offset:swizzle(BROADCAST,32,15)
	;; [unrolled: 1-line block ×3, first 2 shown]
	v_and_b32_e32 v7, 1, v5
	v_cmp_eq_u32_e64 s0, 1, v7
	s_waitcnt lgkmcnt(2)
	v_and_b32_e32 v6, 1, v6
	s_waitcnt lgkmcnt(0)
	v_cmp_lt_i64_e32 vcc_lo, v[1:2], v[3:4]
	v_cmp_eq_u32_e64 s1, 1, v6
	v_mov_b32_e32 v6, 0
	s_and_b32 vcc_lo, s0, vcc_lo
	s_mov_b32 s0, exec_lo
	v_cndmask_b32_e32 v3, v3, v1, vcc_lo
	v_cndmask_b32_e32 v4, v4, v2, vcc_lo
	v_cndmask_b32_e64 v5, v5, 1, s1
	v_cndmask_b32_e64 v1, v1, v3, s1
	;; [unrolled: 1-line block ×3, first 2 shown]
	ds_bpermute_b32 v7, v6, v5 offset:124
	ds_bpermute_b32 v1, v6, v1 offset:124
	;; [unrolled: 1-line block ×3, first 2 shown]
	v_cmpx_eq_u32_e32 0, v8
	s_cbranch_execz .LBB36_284
; %bb.283:
	v_lshrrev_b32_e32 v3, 1, v0
	v_and_b32_e32 v3, 0x70, v3
	s_waitcnt lgkmcnt(2)
	ds_write_b8 v3, v7 offset:128
	s_waitcnt lgkmcnt(1)
	ds_write_b64 v3, v[1:2] offset:136
.LBB36_284:
	s_or_b32 exec_lo, exec_lo, s0
	s_mov_b32 s0, exec_lo
	s_waitcnt lgkmcnt(0)
	s_barrier
	buffer_gl0_inv
	v_cmpx_gt_u32_e32 32, v0
	s_cbranch_execz .LBB36_298
; %bb.285:
	v_and_b32_e32 v7, 7, v8
	v_lshlrev_b32_e32 v1, 4, v7
	v_cmp_ne_u32_e32 vcc_lo, 7, v7
	ds_read_u8 v10, v1 offset:128
	ds_read_b64 v[3:4], v1 offset:136
	v_add_co_ci_u32_e64 v2, null, 0, v8, vcc_lo
	v_lshlrev_b32_e32 v2, 2, v2
	s_waitcnt lgkmcnt(1)
	v_and_b32_e32 v1, 0xff, v10
	s_waitcnt lgkmcnt(0)
	ds_bpermute_b32 v5, v2, v3
	ds_bpermute_b32 v6, v2, v4
	ds_bpermute_b32 v11, v2, v1
	s_waitcnt lgkmcnt(0)
	v_and_b32_e32 v1, v10, v11
	v_and_b32_e32 v1, 1, v1
	v_cmp_eq_u32_e32 vcc_lo, 1, v1
                                        ; implicit-def: $vgpr1_vgpr2
	s_and_saveexec_b32 s1, vcc_lo
	s_xor_b32 s1, exec_lo, s1
; %bb.286:
	v_cmp_lt_i64_e32 vcc_lo, v[5:6], v[3:4]
                                        ; implicit-def: $vgpr10
                                        ; implicit-def: $vgpr11
	v_cndmask_b32_e32 v2, v4, v6, vcc_lo
	v_cndmask_b32_e32 v1, v3, v5, vcc_lo
                                        ; implicit-def: $vgpr5_vgpr6
                                        ; implicit-def: $vgpr3_vgpr4
; %bb.287:
	s_or_saveexec_b32 s1, s1
	v_mov_b32_e32 v9, 1
	s_xor_b32 exec_lo, exec_lo, s1
; %bb.288:
	v_and_b32_e32 v1, 1, v10
	v_and_b32_e32 v9, 0xff, v11
	v_cmp_eq_u32_e32 vcc_lo, 1, v1
	v_cndmask_b32_e32 v2, v6, v4, vcc_lo
	v_cndmask_b32_e32 v1, v5, v3, vcc_lo
	v_cndmask_b32_e64 v9, v9, 1, vcc_lo
; %bb.289:
	s_or_b32 exec_lo, exec_lo, s1
	v_cmp_gt_u32_e32 vcc_lo, 6, v7
	v_cndmask_b32_e64 v3, 0, 2, vcc_lo
	v_add_lshl_u32 v3, v3, v8, 2
	ds_bpermute_b32 v7, v3, v9
	ds_bpermute_b32 v5, v3, v1
	;; [unrolled: 1-line block ×3, first 2 shown]
	s_waitcnt lgkmcnt(2)
	v_and_b32_e32 v3, v9, v7
	v_and_b32_e32 v3, 1, v3
	v_cmp_eq_u32_e32 vcc_lo, 1, v3
                                        ; implicit-def: $vgpr3_vgpr4
	s_and_saveexec_b32 s1, vcc_lo
	s_xor_b32 s1, exec_lo, s1
	s_cbranch_execz .LBB36_291
; %bb.290:
	s_waitcnt lgkmcnt(0)
	v_cmp_lt_i64_e32 vcc_lo, v[5:6], v[1:2]
                                        ; implicit-def: $vgpr9
                                        ; implicit-def: $vgpr7
	v_cndmask_b32_e32 v4, v2, v6, vcc_lo
	v_cndmask_b32_e32 v3, v1, v5, vcc_lo
                                        ; implicit-def: $vgpr5_vgpr6
                                        ; implicit-def: $vgpr1_vgpr2
.LBB36_291:
	s_or_saveexec_b32 s1, s1
	v_lshlrev_b32_e32 v10, 2, v8
	v_mov_b32_e32 v8, 1
	s_xor_b32 exec_lo, exec_lo, s1
	s_cbranch_execz .LBB36_293
; %bb.292:
	v_and_b32_e32 v3, 1, v9
	v_and_b32_e32 v7, 0xff, v7
	v_cmp_eq_u32_e32 vcc_lo, 1, v3
	s_waitcnt lgkmcnt(0)
	v_cndmask_b32_e32 v4, v6, v2, vcc_lo
	v_cndmask_b32_e32 v3, v5, v1, vcc_lo
	v_cndmask_b32_e64 v8, v7, 1, vcc_lo
.LBB36_293:
	s_or_b32 exec_lo, exec_lo, s1
	v_or_b32_e32 v1, 16, v10
	ds_bpermute_b32 v9, v1, v8
	s_waitcnt lgkmcnt(2)
	ds_bpermute_b32 v5, v1, v3
	s_waitcnt lgkmcnt(2)
	;; [unrolled: 2-line block ×3, first 2 shown]
	v_and_b32_e32 v1, v8, v9
	v_and_b32_e32 v1, 1, v1
	v_cmp_eq_u32_e32 vcc_lo, 1, v1
                                        ; implicit-def: $vgpr1_vgpr2
	s_and_saveexec_b32 s1, vcc_lo
	s_xor_b32 s1, exec_lo, s1
	s_cbranch_execz .LBB36_295
; %bb.294:
	s_waitcnt lgkmcnt(0)
	v_cmp_lt_i64_e32 vcc_lo, v[5:6], v[3:4]
                                        ; implicit-def: $vgpr8
                                        ; implicit-def: $vgpr9
	v_cndmask_b32_e32 v2, v4, v6, vcc_lo
	v_cndmask_b32_e32 v1, v3, v5, vcc_lo
                                        ; implicit-def: $vgpr5_vgpr6
                                        ; implicit-def: $vgpr3_vgpr4
.LBB36_295:
	s_or_saveexec_b32 s1, s1
	v_mov_b32_e32 v7, 1
	s_xor_b32 exec_lo, exec_lo, s1
	s_cbranch_execz .LBB36_297
; %bb.296:
	v_and_b32_e32 v1, 1, v8
	v_cmp_eq_u32_e32 vcc_lo, 1, v1
	s_waitcnt lgkmcnt(0)
	v_cndmask_b32_e32 v2, v6, v4, vcc_lo
	v_cndmask_b32_e32 v1, v5, v3, vcc_lo
	v_cndmask_b32_e64 v7, v9, 1, vcc_lo
.LBB36_297:
	s_or_b32 exec_lo, exec_lo, s1
.LBB36_298:
	s_or_b32 exec_lo, exec_lo, s0
	s_branch .LBB36_359
.LBB36_299:
                                        ; implicit-def: $vgpr3_vgpr4
                                        ; implicit-def: $vgpr5
                                        ; implicit-def: $vgpr1_vgpr2
	s_cbranch_execnz .LBB36_364
	s_branch .LBB36_384
.LBB36_300:
                                        ; implicit-def: $vgpr3_vgpr4
                                        ; implicit-def: $vgpr5
                                        ; implicit-def: $vgpr1_vgpr2
	s_branch .LBB36_384
.LBB36_301:
                                        ; implicit-def: $vgpr1_vgpr2
                                        ; implicit-def: $vgpr7
	s_cbranch_execz .LBB36_359
; %bb.302:
	s_waitcnt lgkmcnt(0)
	v_mov_b32_e32 v3, 0
	v_mov_b32_e32 v1, 0
	;; [unrolled: 1-line block ×6, first 2 shown]
	s_sub_i32 s8, s14, s8
	s_mov_b32 s0, exec_lo
	v_cmpx_gt_u32_e64 s8, v0
	s_cbranch_execz .LBB36_304
; %bb.303:
	v_lshlrev_b32_e32 v1, 4, v0
	s_clause 0x1
	global_load_ubyte v6, v1, s[2:3]
	global_load_dwordx2 v[1:2], v1, s[2:3] offset:8
.LBB36_304:
	s_or_b32 exec_lo, exec_lo, s0
	v_or_b32_e32 v7, 0x100, v0
	v_cmp_gt_u32_e32 vcc_lo, s8, v7
	s_and_saveexec_b32 s0, vcc_lo
	s_cbranch_execz .LBB36_306
; %bb.305:
	v_lshlrev_b32_e32 v3, 4, v7
	s_clause 0x1
	global_load_ubyte v5, v3, s[2:3]
	global_load_dwordx2 v[3:4], v3, s[2:3] offset:8
.LBB36_306:
	s_or_b32 exec_lo, exec_lo, s0
	s_waitcnt vmcnt(1)
	v_and_b32_e32 v7, 1, v5
	s_waitcnt vmcnt(0)
	v_cmp_lt_i64_e64 s0, v[3:4], v[1:2]
	v_and_b32_e32 v8, 0xff, v5
	v_mbcnt_lo_u32_b32 v5, -1, 0
	v_cmp_eq_u32_e64 s1, 1, v7
	v_and_b32_e32 v7, 0xff, v6
	v_and_b32_e32 v6, 1, v6
	s_and_b32 s0, s1, s0
	v_cmp_ne_u32_e64 s1, 31, v5
	v_cndmask_b32_e64 v9, v2, v4, s0
	v_cndmask_b32_e64 v10, v1, v3, s0
	v_cmp_eq_u32_e64 s0, 1, v6
	v_cndmask_b32_e64 v6, v8, 1, s0
	v_add_co_ci_u32_e64 v8, null, 0, v5, s1
	v_cndmask_b32_e64 v3, v3, v10, s0
	v_cndmask_b32_e64 v4, v4, v9, s0
	v_cndmask_b32_e32 v7, v7, v6, vcc_lo
	v_lshlrev_b32_e32 v6, 2, v8
	s_min_u32 s0, s8, 0x100
	v_cndmask_b32_e32 v1, v1, v3, vcc_lo
	v_cndmask_b32_e32 v2, v2, v4, vcc_lo
	v_add_nc_u32_e32 v9, 1, v5
	ds_bpermute_b32 v8, v6, v7
	s_mov_b32 s1, exec_lo
	ds_bpermute_b32 v3, v6, v1
	ds_bpermute_b32 v4, v6, v2
	v_and_b32_e32 v6, 0xe0, v0
	v_sub_nc_u32_e64 v6, s0, v6 clamp
	v_cmpx_lt_u32_e64 v9, v6
	s_cbranch_execz .LBB36_312
; %bb.307:
	s_waitcnt lgkmcnt(2)
	v_and_b32_e32 v9, v7, v8
	s_mov_b32 s2, exec_lo
	v_cmpx_ne_u32_e32 0, v9
	s_xor_b32 s2, exec_lo, s2
	s_cbranch_execz .LBB36_309
; %bb.308:
	s_waitcnt lgkmcnt(0)
	v_cmp_lt_i64_e32 vcc_lo, v[3:4], v[1:2]
                                        ; implicit-def: $vgpr7
                                        ; implicit-def: $vgpr8
	v_cndmask_b32_e32 v2, v2, v4, vcc_lo
	v_cndmask_b32_e32 v1, v1, v3, vcc_lo
                                        ; implicit-def: $vgpr3_vgpr4
.LBB36_309:
	s_or_saveexec_b32 s2, s2
	v_mov_b32_e32 v9, 1
	s_xor_b32 exec_lo, exec_lo, s2
	s_cbranch_execz .LBB36_311
; %bb.310:
	v_and_b32_e32 v7, 1, v7
	v_cmp_eq_u32_e32 vcc_lo, 1, v7
	v_and_b32_e32 v7, 0xff, v8
	s_waitcnt lgkmcnt(0)
	v_cndmask_b32_e32 v2, v4, v2, vcc_lo
	v_cndmask_b32_e32 v1, v3, v1, vcc_lo
	v_cndmask_b32_e64 v9, v7, 1, vcc_lo
.LBB36_311:
	s_or_b32 exec_lo, exec_lo, s2
	v_mov_b32_e32 v7, v9
.LBB36_312:
	s_or_b32 exec_lo, exec_lo, s1
	v_cmp_gt_u32_e32 vcc_lo, 30, v5
	v_add_nc_u32_e32 v9, 2, v5
	s_mov_b32 s1, exec_lo
	s_waitcnt lgkmcnt(1)
	v_cndmask_b32_e64 v3, 0, 2, vcc_lo
	s_waitcnt lgkmcnt(0)
	v_add_lshl_u32 v4, v3, v5, 2
	ds_bpermute_b32 v8, v4, v7
	ds_bpermute_b32 v3, v4, v1
	ds_bpermute_b32 v4, v4, v2
	v_cmpx_lt_u32_e64 v9, v6
	s_cbranch_execz .LBB36_318
; %bb.313:
	s_waitcnt lgkmcnt(2)
	v_and_b32_e32 v9, v7, v8
	s_mov_b32 s2, exec_lo
	v_and_b32_e32 v9, 1, v9
	v_cmpx_eq_u32_e32 1, v9
	s_xor_b32 s2, exec_lo, s2
	s_cbranch_execz .LBB36_315
; %bb.314:
	s_waitcnt lgkmcnt(0)
	v_cmp_lt_i64_e32 vcc_lo, v[3:4], v[1:2]
                                        ; implicit-def: $vgpr7
                                        ; implicit-def: $vgpr8
	v_cndmask_b32_e32 v2, v2, v4, vcc_lo
	v_cndmask_b32_e32 v1, v1, v3, vcc_lo
                                        ; implicit-def: $vgpr3_vgpr4
.LBB36_315:
	s_or_saveexec_b32 s2, s2
	v_mov_b32_e32 v9, 1
	s_xor_b32 exec_lo, exec_lo, s2
	s_cbranch_execz .LBB36_317
; %bb.316:
	v_and_b32_e32 v7, 1, v7
	v_cmp_eq_u32_e32 vcc_lo, 1, v7
	v_and_b32_e32 v7, 0xff, v8
	s_waitcnt lgkmcnt(0)
	v_cndmask_b32_e32 v2, v4, v2, vcc_lo
	v_cndmask_b32_e32 v1, v3, v1, vcc_lo
	v_cndmask_b32_e64 v9, v7, 1, vcc_lo
.LBB36_317:
	s_or_b32 exec_lo, exec_lo, s2
	v_mov_b32_e32 v7, v9
.LBB36_318:
	s_or_b32 exec_lo, exec_lo, s1
	v_cmp_gt_u32_e32 vcc_lo, 28, v5
	v_add_nc_u32_e32 v9, 4, v5
	s_mov_b32 s1, exec_lo
	s_waitcnt lgkmcnt(1)
	v_cndmask_b32_e64 v3, 0, 4, vcc_lo
	s_waitcnt lgkmcnt(0)
	v_add_lshl_u32 v4, v3, v5, 2
	ds_bpermute_b32 v8, v4, v7
	ds_bpermute_b32 v3, v4, v1
	ds_bpermute_b32 v4, v4, v2
	v_cmpx_lt_u32_e64 v9, v6
	s_cbranch_execz .LBB36_324
; %bb.319:
	s_waitcnt lgkmcnt(2)
	v_and_b32_e32 v9, v7, v8
	s_mov_b32 s2, exec_lo
	v_and_b32_e32 v9, 1, v9
	v_cmpx_eq_u32_e32 1, v9
	s_xor_b32 s2, exec_lo, s2
	s_cbranch_execz .LBB36_321
; %bb.320:
	s_waitcnt lgkmcnt(0)
	v_cmp_lt_i64_e32 vcc_lo, v[3:4], v[1:2]
                                        ; implicit-def: $vgpr7
                                        ; implicit-def: $vgpr8
	v_cndmask_b32_e32 v2, v2, v4, vcc_lo
	v_cndmask_b32_e32 v1, v1, v3, vcc_lo
                                        ; implicit-def: $vgpr3_vgpr4
.LBB36_321:
	s_or_saveexec_b32 s2, s2
	v_mov_b32_e32 v9, 1
	s_xor_b32 exec_lo, exec_lo, s2
	s_cbranch_execz .LBB36_323
; %bb.322:
	v_and_b32_e32 v7, 1, v7
	v_cmp_eq_u32_e32 vcc_lo, 1, v7
	v_and_b32_e32 v7, 0xff, v8
	s_waitcnt lgkmcnt(0)
	v_cndmask_b32_e32 v2, v4, v2, vcc_lo
	v_cndmask_b32_e32 v1, v3, v1, vcc_lo
	v_cndmask_b32_e64 v9, v7, 1, vcc_lo
.LBB36_323:
	s_or_b32 exec_lo, exec_lo, s2
	v_mov_b32_e32 v7, v9
.LBB36_324:
	;; [unrolled: 46-line block ×3, first 2 shown]
	s_or_b32 exec_lo, exec_lo, s1
	s_waitcnt lgkmcnt(2)
	v_lshlrev_b32_e32 v8, 2, v5
	v_add_nc_u32_e32 v10, 16, v5
	s_waitcnt lgkmcnt(0)
	v_or_b32_e32 v4, 64, v8
	v_cmp_lt_u32_e32 vcc_lo, v10, v6
	v_mov_b32_e32 v6, v7
	ds_bpermute_b32 v9, v4, v7
	ds_bpermute_b32 v3, v4, v1
	ds_bpermute_b32 v4, v4, v2
	s_and_saveexec_b32 s1, vcc_lo
	s_cbranch_execz .LBB36_336
; %bb.331:
	s_waitcnt lgkmcnt(2)
	v_and_b32_e32 v6, v7, v9
	s_mov_b32 s2, exec_lo
	v_and_b32_e32 v6, 1, v6
	v_cmpx_eq_u32_e32 1, v6
	s_xor_b32 s2, exec_lo, s2
	s_cbranch_execz .LBB36_333
; %bb.332:
	s_waitcnt lgkmcnt(0)
	v_cmp_lt_i64_e32 vcc_lo, v[3:4], v[1:2]
                                        ; implicit-def: $vgpr7
                                        ; implicit-def: $vgpr9
	v_cndmask_b32_e32 v2, v2, v4, vcc_lo
	v_cndmask_b32_e32 v1, v1, v3, vcc_lo
                                        ; implicit-def: $vgpr3_vgpr4
.LBB36_333:
	s_or_saveexec_b32 s2, s2
	v_mov_b32_e32 v6, 1
	s_xor_b32 exec_lo, exec_lo, s2
	s_cbranch_execz .LBB36_335
; %bb.334:
	v_and_b32_e32 v6, 1, v7
	v_cmp_eq_u32_e32 vcc_lo, 1, v6
	v_cndmask_b32_e64 v6, v9, 1, vcc_lo
	s_waitcnt lgkmcnt(0)
	v_cndmask_b32_e32 v2, v4, v2, vcc_lo
	v_cndmask_b32_e32 v1, v3, v1, vcc_lo
.LBB36_335:
	s_or_b32 exec_lo, exec_lo, s2
	v_and_b32_e32 v7, 0xff, v6
.LBB36_336:
	s_or_b32 exec_lo, exec_lo, s1
	s_mov_b32 s1, exec_lo
	v_cmpx_eq_u32_e32 0, v5
	s_cbranch_execz .LBB36_338
; %bb.337:
	s_waitcnt lgkmcnt(1)
	v_lshrrev_b32_e32 v3, 1, v0
	v_and_b32_e32 v3, 0x70, v3
	ds_write_b8 v3, v6 offset:512
	ds_write_b64 v3, v[1:2] offset:520
.LBB36_338:
	s_or_b32 exec_lo, exec_lo, s1
	s_mov_b32 s1, exec_lo
	s_waitcnt lgkmcnt(0)
	s_barrier
	buffer_gl0_inv
	v_cmpx_gt_u32_e32 8, v0
	s_cbranch_execz .LBB36_358
; %bb.339:
	v_lshlrev_b32_e32 v1, 4, v5
	v_and_b32_e32 v6, 7, v5
	s_add_i32 s0, s0, 31
	s_mov_b32 s2, exec_lo
	s_lshr_b32 s0, s0, 5
	ds_read_u8 v9, v1 offset:512
	ds_read_b64 v[1:2], v1 offset:520
	v_cmp_ne_u32_e32 vcc_lo, 7, v6
	v_add_nc_u32_e32 v11, 1, v6
	v_add_co_ci_u32_e64 v3, null, 0, v5, vcc_lo
	v_lshlrev_b32_e32 v4, 2, v3
	s_waitcnt lgkmcnt(1)
	v_and_b32_e32 v7, 0xff, v9
	s_waitcnt lgkmcnt(0)
	ds_bpermute_b32 v3, v4, v1
	ds_bpermute_b32 v10, v4, v7
	;; [unrolled: 1-line block ×3, first 2 shown]
	v_cmpx_gt_u32_e64 s0, v11
	s_cbranch_execz .LBB36_345
; %bb.340:
	s_waitcnt lgkmcnt(1)
	v_and_b32_e32 v7, v7, v10
	s_mov_b32 s3, exec_lo
	v_and_b32_e32 v7, 1, v7
	v_cmpx_eq_u32_e32 1, v7
	s_xor_b32 s3, exec_lo, s3
	s_cbranch_execz .LBB36_342
; %bb.341:
	s_waitcnt lgkmcnt(0)
	v_cmp_lt_i64_e32 vcc_lo, v[3:4], v[1:2]
                                        ; implicit-def: $vgpr9
                                        ; implicit-def: $vgpr10
	v_cndmask_b32_e32 v2, v2, v4, vcc_lo
	v_cndmask_b32_e32 v1, v1, v3, vcc_lo
                                        ; implicit-def: $vgpr3_vgpr4
.LBB36_342:
	s_or_saveexec_b32 s3, s3
	v_mov_b32_e32 v7, 1
	s_xor_b32 exec_lo, exec_lo, s3
	s_cbranch_execz .LBB36_344
; %bb.343:
	v_and_b32_e32 v7, 1, v9
	v_cmp_eq_u32_e32 vcc_lo, 1, v7
	v_and_b32_e32 v7, 0xff, v10
	s_waitcnt lgkmcnt(0)
	v_cndmask_b32_e32 v2, v4, v2, vcc_lo
	v_cndmask_b32_e32 v1, v3, v1, vcc_lo
	v_cndmask_b32_e64 v7, v7, 1, vcc_lo
.LBB36_344:
	s_or_b32 exec_lo, exec_lo, s3
.LBB36_345:
	s_or_b32 exec_lo, exec_lo, s2
	v_cmp_gt_u32_e32 vcc_lo, 6, v6
	v_add_nc_u32_e32 v9, 2, v6
	s_mov_b32 s2, exec_lo
	s_waitcnt lgkmcnt(2)
	v_cndmask_b32_e64 v3, 0, 2, vcc_lo
	s_waitcnt lgkmcnt(0)
	v_add_lshl_u32 v4, v3, v5, 2
	ds_bpermute_b32 v5, v4, v7
	ds_bpermute_b32 v3, v4, v1
	;; [unrolled: 1-line block ×3, first 2 shown]
	v_cmpx_gt_u32_e64 s0, v9
	s_cbranch_execz .LBB36_351
; %bb.346:
	s_waitcnt lgkmcnt(2)
	v_and_b32_e32 v9, v7, v5
	s_mov_b32 s3, exec_lo
	v_and_b32_e32 v9, 1, v9
	v_cmpx_eq_u32_e32 1, v9
	s_xor_b32 s3, exec_lo, s3
	s_cbranch_execz .LBB36_348
; %bb.347:
	s_waitcnt lgkmcnt(0)
	v_cmp_lt_i64_e32 vcc_lo, v[3:4], v[1:2]
                                        ; implicit-def: $vgpr7
                                        ; implicit-def: $vgpr5
	v_cndmask_b32_e32 v2, v2, v4, vcc_lo
	v_cndmask_b32_e32 v1, v1, v3, vcc_lo
                                        ; implicit-def: $vgpr3_vgpr4
.LBB36_348:
	s_or_saveexec_b32 s3, s3
	v_mov_b32_e32 v9, 1
	s_xor_b32 exec_lo, exec_lo, s3
	s_cbranch_execz .LBB36_350
; %bb.349:
	v_and_b32_e32 v7, 1, v7
	v_and_b32_e32 v5, 0xff, v5
	v_cmp_eq_u32_e32 vcc_lo, 1, v7
	s_waitcnt lgkmcnt(0)
	v_cndmask_b32_e32 v2, v4, v2, vcc_lo
	v_cndmask_b32_e32 v1, v3, v1, vcc_lo
	v_cndmask_b32_e64 v9, v5, 1, vcc_lo
.LBB36_350:
	s_or_b32 exec_lo, exec_lo, s3
	v_mov_b32_e32 v7, v9
.LBB36_351:
	s_or_b32 exec_lo, exec_lo, s2
	s_waitcnt lgkmcnt(0)
	v_or_b32_e32 v4, 16, v8
	v_add_nc_u32_e32 v6, 4, v6
	ds_bpermute_b32 v5, v4, v7
	ds_bpermute_b32 v3, v4, v1
	;; [unrolled: 1-line block ×3, first 2 shown]
	v_cmp_gt_u32_e32 vcc_lo, s0, v6
	s_and_saveexec_b32 s0, vcc_lo
	s_cbranch_execz .LBB36_357
; %bb.352:
	s_waitcnt lgkmcnt(2)
	v_and_b32_e32 v6, v7, v5
	s_mov_b32 s2, exec_lo
	v_and_b32_e32 v6, 1, v6
	v_cmpx_eq_u32_e32 1, v6
	s_xor_b32 s2, exec_lo, s2
	s_cbranch_execz .LBB36_354
; %bb.353:
	s_waitcnt lgkmcnt(0)
	v_cmp_lt_i64_e32 vcc_lo, v[3:4], v[1:2]
                                        ; implicit-def: $vgpr7
                                        ; implicit-def: $vgpr5
	v_cndmask_b32_e32 v2, v2, v4, vcc_lo
	v_cndmask_b32_e32 v1, v1, v3, vcc_lo
                                        ; implicit-def: $vgpr3_vgpr4
.LBB36_354:
	s_or_saveexec_b32 s2, s2
	v_mov_b32_e32 v6, 1
	s_xor_b32 exec_lo, exec_lo, s2
	s_cbranch_execz .LBB36_356
; %bb.355:
	v_and_b32_e32 v6, 1, v7
	v_cmp_eq_u32_e32 vcc_lo, 1, v6
	s_waitcnt lgkmcnt(0)
	v_cndmask_b32_e32 v2, v4, v2, vcc_lo
	v_cndmask_b32_e32 v1, v3, v1, vcc_lo
	v_cndmask_b32_e64 v6, v5, 1, vcc_lo
.LBB36_356:
	s_or_b32 exec_lo, exec_lo, s2
	v_mov_b32_e32 v7, v6
.LBB36_357:
	s_or_b32 exec_lo, exec_lo, s0
.LBB36_358:
	s_or_b32 exec_lo, exec_lo, s1
.LBB36_359:
                                        ; implicit-def: $vgpr3_vgpr4
                                        ; implicit-def: $vgpr5
	s_mov_b32 s0, exec_lo
	v_cmpx_eq_u32_e32 0, v0
	s_xor_b32 s2, exec_lo, s0
	s_cbranch_execz .LBB36_363
; %bb.360:
	s_waitcnt lgkmcnt(0)
	v_mov_b32_e32 v3, s16
	v_mov_b32_e32 v4, s17
	;; [unrolled: 1-line block ×3, first 2 shown]
	s_cmp_eq_u64 s[14:15], 0
	s_cbranch_scc1 .LBB36_362
; %bb.361:
	v_and_b32_e32 v3, 1, v7
	v_cmp_gt_i64_e32 vcc_lo, s[16:17], v[1:2]
	s_bitcmp1_b32 s18, 0
	s_cselect_b32 s1, -1, 0
	v_cmp_eq_u32_e64 s0, 1, v3
	v_cndmask_b32_e64 v5, v7, 1, s1
	s_and_b32 vcc_lo, s0, vcc_lo
	v_cndmask_b32_e32 v3, s16, v1, vcc_lo
	v_cndmask_b32_e32 v4, s17, v2, vcc_lo
	v_cndmask_b32_e64 v3, v1, v3, s1
	v_cndmask_b32_e64 v4, v2, v4, s1
.LBB36_362:
	s_or_b32 s10, s10, exec_lo
.LBB36_363:
	s_or_b32 exec_lo, exec_lo, s2
	v_mov_b32_e32 v1, s6
	v_mov_b32_e32 v2, s7
	s_branch .LBB36_384
.LBB36_364:
	s_cmp_eq_u32 s19, 1
	s_cbranch_scc0 .LBB36_383
; %bb.365:
	s_mov_b32 s3, 0
	v_mbcnt_lo_u32_b32 v7, -1, 0
	s_lshr_b64 s[0:1], s[14:15], 8
	s_mov_b32 s7, s3
	s_lshl_b32 s2, s6, 8
	s_cmp_lg_u64 s[0:1], s[6:7]
	s_cbranch_scc0 .LBB36_387
; %bb.366:
	s_lshl_b64 s[0:1], s[2:3], 4
	v_lshlrev_b32_e32 v1, 4, v0
	s_add_u32 s0, s12, s0
	s_addc_u32 s1, s13, s1
	s_waitcnt lgkmcnt(1)
	s_clause 0x1
	global_load_ubyte v3, v1, s[0:1]
	global_load_dwordx2 v[1:2], v1, s[0:1] offset:8
	s_waitcnt vmcnt(1)
	v_and_b32_e32 v5, 1, v3
	s_waitcnt vmcnt(0)
	v_mov_b32_dpp v3, v1 quad_perm:[1,0,3,2] row_mask:0xf bank_mask:0xf
	s_waitcnt lgkmcnt(0)
	v_mov_b32_dpp v4, v2 quad_perm:[1,0,3,2] row_mask:0xf bank_mask:0xf
	v_mov_b32_dpp v6, v5 quad_perm:[1,0,3,2] row_mask:0xf bank_mask:0xf
	v_cmp_eq_u32_e64 s0, 1, v5
	v_cmp_lt_i64_e32 vcc_lo, v[1:2], v[3:4]
	v_and_b32_e32 v6, 1, v6
	s_and_b32 vcc_lo, s0, vcc_lo
	v_cndmask_b32_e32 v3, v3, v1, vcc_lo
	v_cndmask_b32_e32 v4, v4, v2, vcc_lo
	v_cmp_eq_u32_e32 vcc_lo, 1, v6
	v_cndmask_b32_e32 v2, v2, v4, vcc_lo
	v_cndmask_b32_e32 v1, v1, v3, vcc_lo
	v_cndmask_b32_e64 v5, v5, 1, vcc_lo
	v_mov_b32_dpp v4, v2 quad_perm:[2,3,0,1] row_mask:0xf bank_mask:0xf
	v_mov_b32_dpp v3, v1 quad_perm:[2,3,0,1] row_mask:0xf bank_mask:0xf
	v_and_b32_e32 v8, 1, v5
	v_mov_b32_dpp v6, v5 quad_perm:[2,3,0,1] row_mask:0xf bank_mask:0xf
	v_cmp_lt_i64_e32 vcc_lo, v[1:2], v[3:4]
	v_cmp_eq_u32_e64 s0, 1, v8
	v_and_b32_e32 v6, 1, v6
	s_and_b32 vcc_lo, s0, vcc_lo
	v_cmp_eq_u32_e64 s1, 1, v6
	v_cndmask_b32_e32 v3, v3, v1, vcc_lo
	v_cndmask_b32_e32 v4, v4, v2, vcc_lo
	v_cndmask_b32_e64 v5, v5, 1, s1
	v_cndmask_b32_e64 v1, v1, v3, s1
	;; [unrolled: 1-line block ×3, first 2 shown]
	v_and_b32_e32 v8, 1, v5
	v_mov_b32_dpp v3, v1 row_ror:4 row_mask:0xf bank_mask:0xf
	v_mov_b32_dpp v4, v2 row_ror:4 row_mask:0xf bank_mask:0xf
	;; [unrolled: 1-line block ×3, first 2 shown]
	v_cmp_eq_u32_e64 s0, 1, v8
	v_cmp_lt_i64_e32 vcc_lo, v[1:2], v[3:4]
	v_and_b32_e32 v6, 1, v6
	s_and_b32 vcc_lo, s0, vcc_lo
	v_cmp_eq_u32_e64 s1, 1, v6
	v_cndmask_b32_e32 v3, v3, v1, vcc_lo
	v_cndmask_b32_e32 v4, v4, v2, vcc_lo
	v_cndmask_b32_e64 v5, v5, 1, s1
	v_cndmask_b32_e64 v1, v1, v3, s1
	;; [unrolled: 1-line block ×3, first 2 shown]
	v_and_b32_e32 v8, 1, v5
	v_mov_b32_dpp v3, v1 row_ror:8 row_mask:0xf bank_mask:0xf
	v_mov_b32_dpp v4, v2 row_ror:8 row_mask:0xf bank_mask:0xf
	v_mov_b32_dpp v6, v5 row_ror:8 row_mask:0xf bank_mask:0xf
	v_cmp_eq_u32_e64 s0, 1, v8
	v_cmp_lt_i64_e32 vcc_lo, v[1:2], v[3:4]
	v_and_b32_e32 v6, 1, v6
	s_and_b32 vcc_lo, s0, vcc_lo
	v_cmp_eq_u32_e64 s1, 1, v6
	v_cndmask_b32_e32 v3, v3, v1, vcc_lo
	v_cndmask_b32_e32 v4, v4, v2, vcc_lo
	v_cndmask_b32_e64 v5, v5, 1, s1
	v_cndmask_b32_e64 v1, v1, v3, s1
	;; [unrolled: 1-line block ×3, first 2 shown]
	ds_swizzle_b32 v6, v5 offset:swizzle(BROADCAST,32,15)
	ds_swizzle_b32 v3, v1 offset:swizzle(BROADCAST,32,15)
	;; [unrolled: 1-line block ×3, first 2 shown]
	v_and_b32_e32 v8, 1, v5
	v_cmp_eq_u32_e64 s0, 1, v8
	s_waitcnt lgkmcnt(2)
	v_and_b32_e32 v6, 1, v6
	s_waitcnt lgkmcnt(0)
	v_cmp_lt_i64_e32 vcc_lo, v[1:2], v[3:4]
	v_cmp_eq_u32_e64 s1, 1, v6
	v_mov_b32_e32 v6, 0
	s_and_b32 vcc_lo, s0, vcc_lo
	s_mov_b32 s0, exec_lo
	v_cndmask_b32_e32 v3, v3, v1, vcc_lo
	v_cndmask_b32_e32 v4, v4, v2, vcc_lo
	v_cndmask_b32_e64 v5, v5, 1, s1
	v_cndmask_b32_e64 v1, v1, v3, s1
	;; [unrolled: 1-line block ×3, first 2 shown]
	ds_bpermute_b32 v8, v6, v5 offset:124
	ds_bpermute_b32 v1, v6, v1 offset:124
	;; [unrolled: 1-line block ×3, first 2 shown]
	v_cmpx_eq_u32_e32 0, v7
	s_cbranch_execz .LBB36_368
; %bb.367:
	v_lshrrev_b32_e32 v3, 1, v0
	v_and_b32_e32 v3, 0x70, v3
	s_waitcnt lgkmcnt(2)
	ds_write_b8 v3, v8
	s_waitcnt lgkmcnt(1)
	ds_write_b64 v3, v[1:2] offset:8
.LBB36_368:
	s_or_b32 exec_lo, exec_lo, s0
	s_mov_b32 s0, exec_lo
	s_waitcnt lgkmcnt(0)
	s_barrier
	buffer_gl0_inv
	v_cmpx_gt_u32_e32 32, v0
	s_cbranch_execz .LBB36_382
; %bb.369:
	v_and_b32_e32 v8, 7, v7
	v_lshlrev_b32_e32 v1, 4, v8
	v_cmp_ne_u32_e32 vcc_lo, 7, v8
	ds_read_u8 v10, v1
	ds_read_b64 v[3:4], v1 offset:8
	v_add_co_ci_u32_e64 v2, null, 0, v7, vcc_lo
	v_lshlrev_b32_e32 v2, 2, v2
	s_waitcnt lgkmcnt(1)
	v_and_b32_e32 v1, 0xff, v10
	s_waitcnt lgkmcnt(0)
	ds_bpermute_b32 v5, v2, v3
	ds_bpermute_b32 v6, v2, v4
	ds_bpermute_b32 v11, v2, v1
	s_waitcnt lgkmcnt(0)
	v_and_b32_e32 v1, v10, v11
	v_and_b32_e32 v1, 1, v1
	v_cmp_eq_u32_e32 vcc_lo, 1, v1
                                        ; implicit-def: $vgpr1_vgpr2
	s_and_saveexec_b32 s1, vcc_lo
	s_xor_b32 s1, exec_lo, s1
; %bb.370:
	v_cmp_lt_i64_e32 vcc_lo, v[5:6], v[3:4]
                                        ; implicit-def: $vgpr10
                                        ; implicit-def: $vgpr11
	v_cndmask_b32_e32 v2, v4, v6, vcc_lo
	v_cndmask_b32_e32 v1, v3, v5, vcc_lo
                                        ; implicit-def: $vgpr5_vgpr6
                                        ; implicit-def: $vgpr3_vgpr4
; %bb.371:
	s_or_saveexec_b32 s1, s1
	v_mov_b32_e32 v9, 1
	s_xor_b32 exec_lo, exec_lo, s1
; %bb.372:
	v_and_b32_e32 v1, 1, v10
	v_and_b32_e32 v9, 0xff, v11
	v_cmp_eq_u32_e32 vcc_lo, 1, v1
	v_cndmask_b32_e32 v2, v6, v4, vcc_lo
	v_cndmask_b32_e32 v1, v5, v3, vcc_lo
	v_cndmask_b32_e64 v9, v9, 1, vcc_lo
; %bb.373:
	s_or_b32 exec_lo, exec_lo, s1
	v_cmp_gt_u32_e32 vcc_lo, 6, v8
	v_cndmask_b32_e64 v3, 0, 2, vcc_lo
	v_add_lshl_u32 v3, v3, v7, 2
	ds_bpermute_b32 v8, v3, v9
	ds_bpermute_b32 v5, v3, v1
	;; [unrolled: 1-line block ×3, first 2 shown]
	s_waitcnt lgkmcnt(2)
	v_and_b32_e32 v3, v9, v8
	v_and_b32_e32 v3, 1, v3
	v_cmp_eq_u32_e32 vcc_lo, 1, v3
                                        ; implicit-def: $vgpr3_vgpr4
	s_and_saveexec_b32 s1, vcc_lo
	s_xor_b32 s1, exec_lo, s1
	s_cbranch_execz .LBB36_375
; %bb.374:
	s_waitcnt lgkmcnt(0)
	v_cmp_lt_i64_e32 vcc_lo, v[5:6], v[1:2]
                                        ; implicit-def: $vgpr9
                                        ; implicit-def: $vgpr8
	v_cndmask_b32_e32 v4, v2, v6, vcc_lo
	v_cndmask_b32_e32 v3, v1, v5, vcc_lo
                                        ; implicit-def: $vgpr5_vgpr6
                                        ; implicit-def: $vgpr1_vgpr2
.LBB36_375:
	s_or_saveexec_b32 s1, s1
	v_lshlrev_b32_e32 v11, 2, v7
	v_mov_b32_e32 v10, 1
	s_xor_b32 exec_lo, exec_lo, s1
	s_cbranch_execz .LBB36_377
; %bb.376:
	v_and_b32_e32 v3, 1, v9
	v_and_b32_e32 v8, 0xff, v8
	v_cmp_eq_u32_e32 vcc_lo, 1, v3
	s_waitcnt lgkmcnt(0)
	v_cndmask_b32_e32 v4, v6, v2, vcc_lo
	v_cndmask_b32_e32 v3, v5, v1, vcc_lo
	v_cndmask_b32_e64 v10, v8, 1, vcc_lo
.LBB36_377:
	s_or_b32 exec_lo, exec_lo, s1
	v_or_b32_e32 v1, 16, v11
	ds_bpermute_b32 v9, v1, v10
	s_waitcnt lgkmcnt(2)
	ds_bpermute_b32 v5, v1, v3
	s_waitcnt lgkmcnt(2)
	;; [unrolled: 2-line block ×3, first 2 shown]
	v_and_b32_e32 v1, v10, v9
	v_and_b32_e32 v1, 1, v1
	v_cmp_eq_u32_e32 vcc_lo, 1, v1
                                        ; implicit-def: $vgpr1_vgpr2
	s_and_saveexec_b32 s1, vcc_lo
	s_xor_b32 s1, exec_lo, s1
	s_cbranch_execz .LBB36_379
; %bb.378:
	s_waitcnt lgkmcnt(0)
	v_cmp_lt_i64_e32 vcc_lo, v[5:6], v[3:4]
                                        ; implicit-def: $vgpr10
                                        ; implicit-def: $vgpr9
	v_cndmask_b32_e32 v2, v4, v6, vcc_lo
	v_cndmask_b32_e32 v1, v3, v5, vcc_lo
                                        ; implicit-def: $vgpr5_vgpr6
                                        ; implicit-def: $vgpr3_vgpr4
.LBB36_379:
	s_or_saveexec_b32 s1, s1
	v_mov_b32_e32 v8, 1
	s_xor_b32 exec_lo, exec_lo, s1
	s_cbranch_execz .LBB36_381
; %bb.380:
	v_and_b32_e32 v1, 1, v10
	v_cmp_eq_u32_e32 vcc_lo, 1, v1
	s_waitcnt lgkmcnt(0)
	v_cndmask_b32_e32 v2, v6, v4, vcc_lo
	v_cndmask_b32_e32 v1, v5, v3, vcc_lo
	v_cndmask_b32_e64 v8, v9, 1, vcc_lo
.LBB36_381:
	s_or_b32 exec_lo, exec_lo, s1
.LBB36_382:
	s_or_b32 exec_lo, exec_lo, s0
	s_branch .LBB36_443
.LBB36_383:
                                        ; implicit-def: $vgpr3_vgpr4
                                        ; implicit-def: $vgpr5
                                        ; implicit-def: $vgpr1_vgpr2
.LBB36_384:
	s_and_saveexec_b32 s0, s10
	s_cbranch_execz .LBB36_386
.LBB36_385:
	s_load_dwordx2 s[0:1], s[4:5], 0x18
	v_lshlrev_b64 v[0:1], 4, v[1:2]
	s_waitcnt lgkmcnt(0)
	v_add_co_u32 v0, vcc_lo, s0, v0
	v_add_co_ci_u32_e64 v1, null, s1, v1, vcc_lo
	global_store_byte v[0:1], v5, off
	global_store_dwordx2 v[0:1], v[3:4], off offset:8
.LBB36_386:
	s_endpgm
.LBB36_387:
                                        ; implicit-def: $vgpr1_vgpr2
                                        ; implicit-def: $vgpr8
	s_cbranch_execz .LBB36_443
; %bb.388:
	v_mov_b32_e32 v1, 0
	v_mov_b32_e32 v2, 0
	s_waitcnt lgkmcnt(0)
	v_mov_b32_e32 v6, 0
	s_sub_i32 s0, s14, s2
	s_mov_b32 s1, exec_lo
	v_cmpx_gt_u32_e64 s0, v0
	s_cbranch_execz .LBB36_390
; %bb.389:
	s_lshl_b64 s[2:3], s[2:3], 4
	v_lshlrev_b32_e32 v1, 4, v0
	s_add_u32 s2, s12, s2
	s_addc_u32 s3, s13, s3
	s_clause 0x1
	global_load_ubyte v6, v1, s[2:3]
	global_load_dwordx2 v[1:2], v1, s[2:3] offset:8
.LBB36_390:
	s_or_b32 exec_lo, exec_lo, s1
	v_cmp_ne_u32_e32 vcc_lo, 31, v7
	s_waitcnt vmcnt(1)
	v_and_b32_e32 v8, 0xff, v6
	v_and_b32_e32 v5, 0xe0, v0
	s_min_u32 s0, s0, 0x100
	v_add_nc_u32_e32 v10, 1, v7
	v_add_co_ci_u32_e64 v3, null, 0, v7, vcc_lo
	v_sub_nc_u32_e64 v5, s0, v5 clamp
	s_mov_b32 s1, exec_lo
	v_lshlrev_b32_e32 v4, 2, v3
	ds_bpermute_b32 v9, v4, v8
	s_waitcnt vmcnt(0)
	ds_bpermute_b32 v3, v4, v1
	ds_bpermute_b32 v4, v4, v2
	v_cmpx_lt_u32_e64 v10, v5
	s_cbranch_execz .LBB36_396
; %bb.391:
	s_waitcnt lgkmcnt(2)
	v_and_b32_e32 v8, v9, v8
	s_mov_b32 s2, exec_lo
	v_cmpx_ne_u32_e32 0, v8
	s_xor_b32 s2, exec_lo, s2
	s_cbranch_execz .LBB36_393
; %bb.392:
	s_waitcnt lgkmcnt(0)
	v_cmp_lt_i64_e32 vcc_lo, v[3:4], v[1:2]
                                        ; implicit-def: $vgpr6
                                        ; implicit-def: $vgpr9
	v_cndmask_b32_e32 v2, v2, v4, vcc_lo
	v_cndmask_b32_e32 v1, v1, v3, vcc_lo
                                        ; implicit-def: $vgpr3_vgpr4
.LBB36_393:
	s_or_saveexec_b32 s2, s2
	v_mov_b32_e32 v8, 1
	s_xor_b32 exec_lo, exec_lo, s2
	s_cbranch_execz .LBB36_395
; %bb.394:
	v_and_b32_e32 v6, 1, v6
	v_cmp_eq_u32_e32 vcc_lo, 1, v6
	v_and_b32_e32 v6, 0xff, v9
	s_waitcnt lgkmcnt(0)
	v_cndmask_b32_e32 v2, v4, v2, vcc_lo
	v_cndmask_b32_e32 v1, v3, v1, vcc_lo
	v_cndmask_b32_e64 v8, v6, 1, vcc_lo
.LBB36_395:
	s_or_b32 exec_lo, exec_lo, s2
.LBB36_396:
	s_or_b32 exec_lo, exec_lo, s1
	v_cmp_gt_u32_e32 vcc_lo, 30, v7
	s_waitcnt lgkmcnt(2)
	v_add_nc_u32_e32 v9, 2, v7
	s_mov_b32 s1, exec_lo
	s_waitcnt lgkmcnt(1)
	v_cndmask_b32_e64 v3, 0, 2, vcc_lo
	s_waitcnt lgkmcnt(0)
	v_add_lshl_u32 v4, v3, v7, 2
	ds_bpermute_b32 v6, v4, v8
	ds_bpermute_b32 v3, v4, v1
	;; [unrolled: 1-line block ×3, first 2 shown]
	v_cmpx_lt_u32_e64 v9, v5
	s_cbranch_execz .LBB36_402
; %bb.397:
	s_waitcnt lgkmcnt(2)
	v_and_b32_e32 v9, v8, v6
	s_mov_b32 s2, exec_lo
	v_and_b32_e32 v9, 1, v9
	v_cmpx_eq_u32_e32 1, v9
	s_xor_b32 s2, exec_lo, s2
	s_cbranch_execz .LBB36_399
; %bb.398:
	s_waitcnt lgkmcnt(0)
	v_cmp_lt_i64_e32 vcc_lo, v[3:4], v[1:2]
                                        ; implicit-def: $vgpr8
                                        ; implicit-def: $vgpr6
	v_cndmask_b32_e32 v2, v2, v4, vcc_lo
	v_cndmask_b32_e32 v1, v1, v3, vcc_lo
                                        ; implicit-def: $vgpr3_vgpr4
.LBB36_399:
	s_or_saveexec_b32 s2, s2
	v_mov_b32_e32 v9, 1
	s_xor_b32 exec_lo, exec_lo, s2
	s_cbranch_execz .LBB36_401
; %bb.400:
	v_and_b32_e32 v8, 1, v8
	v_and_b32_e32 v6, 0xff, v6
	v_cmp_eq_u32_e32 vcc_lo, 1, v8
	s_waitcnt lgkmcnt(0)
	v_cndmask_b32_e32 v2, v4, v2, vcc_lo
	v_cndmask_b32_e32 v1, v3, v1, vcc_lo
	v_cndmask_b32_e64 v9, v6, 1, vcc_lo
.LBB36_401:
	s_or_b32 exec_lo, exec_lo, s2
	v_mov_b32_e32 v8, v9
.LBB36_402:
	s_or_b32 exec_lo, exec_lo, s1
	v_cmp_gt_u32_e32 vcc_lo, 28, v7
	v_add_nc_u32_e32 v9, 4, v7
	s_mov_b32 s1, exec_lo
	s_waitcnt lgkmcnt(1)
	v_cndmask_b32_e64 v3, 0, 4, vcc_lo
	s_waitcnt lgkmcnt(0)
	v_add_lshl_u32 v4, v3, v7, 2
	ds_bpermute_b32 v6, v4, v8
	ds_bpermute_b32 v3, v4, v1
	;; [unrolled: 1-line block ×3, first 2 shown]
	v_cmpx_lt_u32_e64 v9, v5
	s_cbranch_execz .LBB36_408
; %bb.403:
	s_waitcnt lgkmcnt(2)
	v_and_b32_e32 v9, v8, v6
	s_mov_b32 s2, exec_lo
	v_and_b32_e32 v9, 1, v9
	v_cmpx_eq_u32_e32 1, v9
	s_xor_b32 s2, exec_lo, s2
	s_cbranch_execz .LBB36_405
; %bb.404:
	s_waitcnt lgkmcnt(0)
	v_cmp_lt_i64_e32 vcc_lo, v[3:4], v[1:2]
                                        ; implicit-def: $vgpr8
                                        ; implicit-def: $vgpr6
	v_cndmask_b32_e32 v2, v2, v4, vcc_lo
	v_cndmask_b32_e32 v1, v1, v3, vcc_lo
                                        ; implicit-def: $vgpr3_vgpr4
.LBB36_405:
	s_or_saveexec_b32 s2, s2
	v_mov_b32_e32 v9, 1
	s_xor_b32 exec_lo, exec_lo, s2
	s_cbranch_execz .LBB36_407
; %bb.406:
	v_and_b32_e32 v8, 1, v8
	v_and_b32_e32 v6, 0xff, v6
	v_cmp_eq_u32_e32 vcc_lo, 1, v8
	s_waitcnt lgkmcnt(0)
	v_cndmask_b32_e32 v2, v4, v2, vcc_lo
	v_cndmask_b32_e32 v1, v3, v1, vcc_lo
	v_cndmask_b32_e64 v9, v6, 1, vcc_lo
.LBB36_407:
	s_or_b32 exec_lo, exec_lo, s2
	v_mov_b32_e32 v8, v9
.LBB36_408:
	s_or_b32 exec_lo, exec_lo, s1
	v_cmp_gt_u32_e32 vcc_lo, 24, v7
	v_add_nc_u32_e32 v9, 8, v7
	s_mov_b32 s1, exec_lo
	s_waitcnt lgkmcnt(1)
	v_cndmask_b32_e64 v3, 0, 8, vcc_lo
	s_waitcnt lgkmcnt(0)
	v_add_lshl_u32 v4, v3, v7, 2
	ds_bpermute_b32 v6, v4, v8
	ds_bpermute_b32 v3, v4, v1
	;; [unrolled: 1-line block ×3, first 2 shown]
	v_cmpx_lt_u32_e64 v9, v5
	s_cbranch_execz .LBB36_414
; %bb.409:
	s_waitcnt lgkmcnt(2)
	v_and_b32_e32 v9, v8, v6
	s_mov_b32 s2, exec_lo
	v_and_b32_e32 v9, 1, v9
	v_cmpx_eq_u32_e32 1, v9
	s_xor_b32 s2, exec_lo, s2
	s_cbranch_execz .LBB36_411
; %bb.410:
	s_waitcnt lgkmcnt(0)
	v_cmp_lt_i64_e32 vcc_lo, v[3:4], v[1:2]
                                        ; implicit-def: $vgpr8
                                        ; implicit-def: $vgpr6
	v_cndmask_b32_e32 v2, v2, v4, vcc_lo
	v_cndmask_b32_e32 v1, v1, v3, vcc_lo
                                        ; implicit-def: $vgpr3_vgpr4
.LBB36_411:
	s_or_saveexec_b32 s2, s2
	v_mov_b32_e32 v9, 1
	s_xor_b32 exec_lo, exec_lo, s2
	s_cbranch_execz .LBB36_413
; %bb.412:
	v_and_b32_e32 v8, 1, v8
	v_and_b32_e32 v6, 0xff, v6
	v_cmp_eq_u32_e32 vcc_lo, 1, v8
	s_waitcnt lgkmcnt(0)
	v_cndmask_b32_e32 v2, v4, v2, vcc_lo
	v_cndmask_b32_e32 v1, v3, v1, vcc_lo
	v_cndmask_b32_e64 v9, v6, 1, vcc_lo
.LBB36_413:
	s_or_b32 exec_lo, exec_lo, s2
	v_mov_b32_e32 v8, v9
.LBB36_414:
	s_or_b32 exec_lo, exec_lo, s1
	s_waitcnt lgkmcnt(2)
	v_lshlrev_b32_e32 v6, 2, v7
	v_add_nc_u32_e32 v10, 16, v7
	s_waitcnt lgkmcnt(0)
	v_or_b32_e32 v4, 64, v6
	v_cmp_lt_u32_e32 vcc_lo, v10, v5
	v_mov_b32_e32 v5, v8
	ds_bpermute_b32 v9, v4, v8
	ds_bpermute_b32 v3, v4, v1
	;; [unrolled: 1-line block ×3, first 2 shown]
	s_and_saveexec_b32 s1, vcc_lo
	s_cbranch_execz .LBB36_420
; %bb.415:
	s_waitcnt lgkmcnt(2)
	v_and_b32_e32 v5, v8, v9
	s_mov_b32 s2, exec_lo
	v_and_b32_e32 v5, 1, v5
	v_cmpx_eq_u32_e32 1, v5
	s_xor_b32 s2, exec_lo, s2
	s_cbranch_execz .LBB36_417
; %bb.416:
	s_waitcnt lgkmcnt(0)
	v_cmp_lt_i64_e32 vcc_lo, v[3:4], v[1:2]
                                        ; implicit-def: $vgpr8
                                        ; implicit-def: $vgpr9
	v_cndmask_b32_e32 v2, v2, v4, vcc_lo
	v_cndmask_b32_e32 v1, v1, v3, vcc_lo
                                        ; implicit-def: $vgpr3_vgpr4
.LBB36_417:
	s_or_saveexec_b32 s2, s2
	v_mov_b32_e32 v5, 1
	s_xor_b32 exec_lo, exec_lo, s2
	s_cbranch_execz .LBB36_419
; %bb.418:
	v_and_b32_e32 v5, 1, v8
	v_cmp_eq_u32_e32 vcc_lo, 1, v5
	v_cndmask_b32_e64 v5, v9, 1, vcc_lo
	s_waitcnt lgkmcnt(0)
	v_cndmask_b32_e32 v2, v4, v2, vcc_lo
	v_cndmask_b32_e32 v1, v3, v1, vcc_lo
.LBB36_419:
	s_or_b32 exec_lo, exec_lo, s2
	v_and_b32_e32 v8, 0xff, v5
.LBB36_420:
	s_or_b32 exec_lo, exec_lo, s1
	s_mov_b32 s1, exec_lo
	v_cmpx_eq_u32_e32 0, v7
	s_cbranch_execz .LBB36_422
; %bb.421:
	s_waitcnt lgkmcnt(1)
	v_lshrrev_b32_e32 v3, 1, v0
	v_and_b32_e32 v3, 0x70, v3
	ds_write_b8 v3, v5 offset:512
	ds_write_b64 v3, v[1:2] offset:520
.LBB36_422:
	s_or_b32 exec_lo, exec_lo, s1
	s_mov_b32 s1, exec_lo
	s_waitcnt lgkmcnt(0)
	s_barrier
	buffer_gl0_inv
	v_cmpx_gt_u32_e32 8, v0
	s_cbranch_execz .LBB36_442
; %bb.423:
	v_lshlrev_b32_e32 v1, 4, v7
	v_and_b32_e32 v5, 7, v7
	s_add_i32 s0, s0, 31
	s_mov_b32 s2, exec_lo
	s_lshr_b32 s0, s0, 5
	ds_read_u8 v9, v1 offset:512
	ds_read_b64 v[1:2], v1 offset:520
	v_cmp_ne_u32_e32 vcc_lo, 7, v5
	v_add_nc_u32_e32 v11, 1, v5
	v_add_co_ci_u32_e64 v3, null, 0, v7, vcc_lo
	v_lshlrev_b32_e32 v4, 2, v3
	s_waitcnt lgkmcnt(1)
	v_and_b32_e32 v8, 0xff, v9
	s_waitcnt lgkmcnt(0)
	ds_bpermute_b32 v3, v4, v1
	ds_bpermute_b32 v10, v4, v8
	;; [unrolled: 1-line block ×3, first 2 shown]
	v_cmpx_gt_u32_e64 s0, v11
	s_cbranch_execz .LBB36_429
; %bb.424:
	s_waitcnt lgkmcnt(1)
	v_and_b32_e32 v8, v8, v10
	s_mov_b32 s3, exec_lo
	v_and_b32_e32 v8, 1, v8
	v_cmpx_eq_u32_e32 1, v8
	s_xor_b32 s3, exec_lo, s3
	s_cbranch_execz .LBB36_426
; %bb.425:
	s_waitcnt lgkmcnt(0)
	v_cmp_lt_i64_e32 vcc_lo, v[3:4], v[1:2]
                                        ; implicit-def: $vgpr9
                                        ; implicit-def: $vgpr10
	v_cndmask_b32_e32 v2, v2, v4, vcc_lo
	v_cndmask_b32_e32 v1, v1, v3, vcc_lo
                                        ; implicit-def: $vgpr3_vgpr4
.LBB36_426:
	s_or_saveexec_b32 s3, s3
	v_mov_b32_e32 v8, 1
	s_xor_b32 exec_lo, exec_lo, s3
	s_cbranch_execz .LBB36_428
; %bb.427:
	v_and_b32_e32 v8, 1, v9
	v_cmp_eq_u32_e32 vcc_lo, 1, v8
	v_and_b32_e32 v8, 0xff, v10
	s_waitcnt lgkmcnt(0)
	v_cndmask_b32_e32 v2, v4, v2, vcc_lo
	v_cndmask_b32_e32 v1, v3, v1, vcc_lo
	v_cndmask_b32_e64 v8, v8, 1, vcc_lo
.LBB36_428:
	s_or_b32 exec_lo, exec_lo, s3
.LBB36_429:
	s_or_b32 exec_lo, exec_lo, s2
	v_cmp_gt_u32_e32 vcc_lo, 6, v5
	v_add_nc_u32_e32 v9, 2, v5
	s_mov_b32 s2, exec_lo
	s_waitcnt lgkmcnt(2)
	v_cndmask_b32_e64 v3, 0, 2, vcc_lo
	s_waitcnt lgkmcnt(0)
	v_add_lshl_u32 v4, v3, v7, 2
	ds_bpermute_b32 v7, v4, v8
	ds_bpermute_b32 v3, v4, v1
	;; [unrolled: 1-line block ×3, first 2 shown]
	v_cmpx_gt_u32_e64 s0, v9
	s_cbranch_execz .LBB36_435
; %bb.430:
	s_waitcnt lgkmcnt(2)
	v_and_b32_e32 v9, v8, v7
	s_mov_b32 s3, exec_lo
	v_and_b32_e32 v9, 1, v9
	v_cmpx_eq_u32_e32 1, v9
	s_xor_b32 s3, exec_lo, s3
	s_cbranch_execz .LBB36_432
; %bb.431:
	s_waitcnt lgkmcnt(0)
	v_cmp_lt_i64_e32 vcc_lo, v[3:4], v[1:2]
                                        ; implicit-def: $vgpr8
                                        ; implicit-def: $vgpr7
	v_cndmask_b32_e32 v2, v2, v4, vcc_lo
	v_cndmask_b32_e32 v1, v1, v3, vcc_lo
                                        ; implicit-def: $vgpr3_vgpr4
.LBB36_432:
	s_or_saveexec_b32 s3, s3
	v_mov_b32_e32 v9, 1
	s_xor_b32 exec_lo, exec_lo, s3
	s_cbranch_execz .LBB36_434
; %bb.433:
	v_and_b32_e32 v8, 1, v8
	v_and_b32_e32 v7, 0xff, v7
	v_cmp_eq_u32_e32 vcc_lo, 1, v8
	s_waitcnt lgkmcnt(0)
	v_cndmask_b32_e32 v2, v4, v2, vcc_lo
	v_cndmask_b32_e32 v1, v3, v1, vcc_lo
	v_cndmask_b32_e64 v9, v7, 1, vcc_lo
.LBB36_434:
	s_or_b32 exec_lo, exec_lo, s3
	v_mov_b32_e32 v8, v9
.LBB36_435:
	s_or_b32 exec_lo, exec_lo, s2
	s_waitcnt lgkmcnt(0)
	v_or_b32_e32 v4, 16, v6
	v_add_nc_u32_e32 v5, 4, v5
	ds_bpermute_b32 v6, v4, v8
	ds_bpermute_b32 v3, v4, v1
	;; [unrolled: 1-line block ×3, first 2 shown]
	v_cmp_gt_u32_e32 vcc_lo, s0, v5
	s_and_saveexec_b32 s0, vcc_lo
	s_cbranch_execz .LBB36_441
; %bb.436:
	s_waitcnt lgkmcnt(2)
	v_and_b32_e32 v5, v8, v6
	s_mov_b32 s2, exec_lo
	v_and_b32_e32 v5, 1, v5
	v_cmpx_eq_u32_e32 1, v5
	s_xor_b32 s2, exec_lo, s2
	s_cbranch_execz .LBB36_438
; %bb.437:
	s_waitcnt lgkmcnt(0)
	v_cmp_lt_i64_e32 vcc_lo, v[3:4], v[1:2]
                                        ; implicit-def: $vgpr8
                                        ; implicit-def: $vgpr6
	v_cndmask_b32_e32 v2, v2, v4, vcc_lo
	v_cndmask_b32_e32 v1, v1, v3, vcc_lo
                                        ; implicit-def: $vgpr3_vgpr4
.LBB36_438:
	s_or_saveexec_b32 s2, s2
	v_mov_b32_e32 v5, 1
	s_xor_b32 exec_lo, exec_lo, s2
	s_cbranch_execz .LBB36_440
; %bb.439:
	v_and_b32_e32 v5, 1, v8
	v_cmp_eq_u32_e32 vcc_lo, 1, v5
	s_waitcnt lgkmcnt(0)
	v_cndmask_b32_e32 v2, v4, v2, vcc_lo
	v_cndmask_b32_e32 v1, v3, v1, vcc_lo
	v_cndmask_b32_e64 v5, v6, 1, vcc_lo
.LBB36_440:
	s_or_b32 exec_lo, exec_lo, s2
	v_mov_b32_e32 v8, v5
.LBB36_441:
	s_or_b32 exec_lo, exec_lo, s0
.LBB36_442:
	s_or_b32 exec_lo, exec_lo, s1
.LBB36_443:
	s_mov_b32 s2, exec_lo
                                        ; implicit-def: $vgpr3_vgpr4
                                        ; implicit-def: $vgpr5
	v_cmpx_eq_u32_e32 0, v0
	s_cbranch_execz .LBB36_447
; %bb.444:
	s_waitcnt lgkmcnt(0)
	v_mov_b32_e32 v3, s16
	v_mov_b32_e32 v4, s17
	;; [unrolled: 1-line block ×3, first 2 shown]
	s_cmp_eq_u64 s[14:15], 0
	s_cbranch_scc1 .LBB36_446
; %bb.445:
	v_and_b32_e32 v0, 1, v8
	v_cmp_gt_i64_e32 vcc_lo, s[16:17], v[1:2]
	s_bitcmp1_b32 s18, 0
	s_cselect_b32 s1, -1, 0
	v_cmp_eq_u32_e64 s0, 1, v0
	v_cndmask_b32_e64 v5, v8, 1, s1
	s_and_b32 vcc_lo, s0, vcc_lo
	v_cndmask_b32_e32 v0, s16, v1, vcc_lo
	v_cndmask_b32_e32 v3, s17, v2, vcc_lo
	v_cndmask_b32_e64 v4, v2, v3, s1
	v_cndmask_b32_e64 v3, v1, v0, s1
.LBB36_446:
	s_or_b32 s10, s10, exec_lo
.LBB36_447:
	s_or_b32 exec_lo, exec_lo, s2
	v_mov_b32_e32 v1, s6
	v_mov_b32_e32 v2, s7
	s_and_saveexec_b32 s0, s10
	s_cbranch_execnz .LBB36_385
	s_branch .LBB36_386
	.section	.rodata,"a",@progbits
	.p2align	6, 0x0
	.amdhsa_kernel _ZN7rocprim17ROCPRIM_400000_NS6detail17trampoline_kernelINS0_14default_configENS1_22reduce_config_selectorIN6thrust23THRUST_200600_302600_NS5tupleIblNS6_9null_typeES8_S8_S8_S8_S8_S8_S8_EEEEZNS1_11reduce_implILb1ES3_PS9_SC_S9_NS6_11hip_rocprim9__find_if7functorIS9_EEEE10hipError_tPvRmT1_T2_T3_mT4_P12ihipStream_tbEUlT_E1_NS1_11comp_targetILNS1_3genE8ELNS1_11target_archE1030ELNS1_3gpuE2ELNS1_3repE0EEENS1_30default_config_static_selectorELNS0_4arch9wavefront6targetE0EEEvSK_
		.amdhsa_group_segment_fixed_size 640
		.amdhsa_private_segment_fixed_size 0
		.amdhsa_kernarg_size 56
		.amdhsa_user_sgpr_count 6
		.amdhsa_user_sgpr_private_segment_buffer 1
		.amdhsa_user_sgpr_dispatch_ptr 0
		.amdhsa_user_sgpr_queue_ptr 0
		.amdhsa_user_sgpr_kernarg_segment_ptr 1
		.amdhsa_user_sgpr_dispatch_id 0
		.amdhsa_user_sgpr_flat_scratch_init 0
		.amdhsa_user_sgpr_private_segment_size 0
		.amdhsa_wavefront_size32 1
		.amdhsa_uses_dynamic_stack 0
		.amdhsa_system_sgpr_private_segment_wavefront_offset 0
		.amdhsa_system_sgpr_workgroup_id_x 1
		.amdhsa_system_sgpr_workgroup_id_y 0
		.amdhsa_system_sgpr_workgroup_id_z 0
		.amdhsa_system_sgpr_workgroup_info 0
		.amdhsa_system_vgpr_workitem_id 0
		.amdhsa_next_free_vgpr 29
		.amdhsa_next_free_sgpr 23
		.amdhsa_reserve_vcc 1
		.amdhsa_reserve_flat_scratch 0
		.amdhsa_float_round_mode_32 0
		.amdhsa_float_round_mode_16_64 0
		.amdhsa_float_denorm_mode_32 3
		.amdhsa_float_denorm_mode_16_64 3
		.amdhsa_dx10_clamp 1
		.amdhsa_ieee_mode 1
		.amdhsa_fp16_overflow 0
		.amdhsa_workgroup_processor_mode 1
		.amdhsa_memory_ordered 1
		.amdhsa_forward_progress 1
		.amdhsa_shared_vgpr_count 0
		.amdhsa_exception_fp_ieee_invalid_op 0
		.amdhsa_exception_fp_denorm_src 0
		.amdhsa_exception_fp_ieee_div_zero 0
		.amdhsa_exception_fp_ieee_overflow 0
		.amdhsa_exception_fp_ieee_underflow 0
		.amdhsa_exception_fp_ieee_inexact 0
		.amdhsa_exception_int_div_zero 0
	.end_amdhsa_kernel
	.section	.text._ZN7rocprim17ROCPRIM_400000_NS6detail17trampoline_kernelINS0_14default_configENS1_22reduce_config_selectorIN6thrust23THRUST_200600_302600_NS5tupleIblNS6_9null_typeES8_S8_S8_S8_S8_S8_S8_EEEEZNS1_11reduce_implILb1ES3_PS9_SC_S9_NS6_11hip_rocprim9__find_if7functorIS9_EEEE10hipError_tPvRmT1_T2_T3_mT4_P12ihipStream_tbEUlT_E1_NS1_11comp_targetILNS1_3genE8ELNS1_11target_archE1030ELNS1_3gpuE2ELNS1_3repE0EEENS1_30default_config_static_selectorELNS0_4arch9wavefront6targetE0EEEvSK_,"axG",@progbits,_ZN7rocprim17ROCPRIM_400000_NS6detail17trampoline_kernelINS0_14default_configENS1_22reduce_config_selectorIN6thrust23THRUST_200600_302600_NS5tupleIblNS6_9null_typeES8_S8_S8_S8_S8_S8_S8_EEEEZNS1_11reduce_implILb1ES3_PS9_SC_S9_NS6_11hip_rocprim9__find_if7functorIS9_EEEE10hipError_tPvRmT1_T2_T3_mT4_P12ihipStream_tbEUlT_E1_NS1_11comp_targetILNS1_3genE8ELNS1_11target_archE1030ELNS1_3gpuE2ELNS1_3repE0EEENS1_30default_config_static_selectorELNS0_4arch9wavefront6targetE0EEEvSK_,comdat
.Lfunc_end36:
	.size	_ZN7rocprim17ROCPRIM_400000_NS6detail17trampoline_kernelINS0_14default_configENS1_22reduce_config_selectorIN6thrust23THRUST_200600_302600_NS5tupleIblNS6_9null_typeES8_S8_S8_S8_S8_S8_S8_EEEEZNS1_11reduce_implILb1ES3_PS9_SC_S9_NS6_11hip_rocprim9__find_if7functorIS9_EEEE10hipError_tPvRmT1_T2_T3_mT4_P12ihipStream_tbEUlT_E1_NS1_11comp_targetILNS1_3genE8ELNS1_11target_archE1030ELNS1_3gpuE2ELNS1_3repE0EEENS1_30default_config_static_selectorELNS0_4arch9wavefront6targetE0EEEvSK_, .Lfunc_end36-_ZN7rocprim17ROCPRIM_400000_NS6detail17trampoline_kernelINS0_14default_configENS1_22reduce_config_selectorIN6thrust23THRUST_200600_302600_NS5tupleIblNS6_9null_typeES8_S8_S8_S8_S8_S8_S8_EEEEZNS1_11reduce_implILb1ES3_PS9_SC_S9_NS6_11hip_rocprim9__find_if7functorIS9_EEEE10hipError_tPvRmT1_T2_T3_mT4_P12ihipStream_tbEUlT_E1_NS1_11comp_targetILNS1_3genE8ELNS1_11target_archE1030ELNS1_3gpuE2ELNS1_3repE0EEENS1_30default_config_static_selectorELNS0_4arch9wavefront6targetE0EEEvSK_
                                        ; -- End function
	.set _ZN7rocprim17ROCPRIM_400000_NS6detail17trampoline_kernelINS0_14default_configENS1_22reduce_config_selectorIN6thrust23THRUST_200600_302600_NS5tupleIblNS6_9null_typeES8_S8_S8_S8_S8_S8_S8_EEEEZNS1_11reduce_implILb1ES3_PS9_SC_S9_NS6_11hip_rocprim9__find_if7functorIS9_EEEE10hipError_tPvRmT1_T2_T3_mT4_P12ihipStream_tbEUlT_E1_NS1_11comp_targetILNS1_3genE8ELNS1_11target_archE1030ELNS1_3gpuE2ELNS1_3repE0EEENS1_30default_config_static_selectorELNS0_4arch9wavefront6targetE0EEEvSK_.num_vgpr, 29
	.set _ZN7rocprim17ROCPRIM_400000_NS6detail17trampoline_kernelINS0_14default_configENS1_22reduce_config_selectorIN6thrust23THRUST_200600_302600_NS5tupleIblNS6_9null_typeES8_S8_S8_S8_S8_S8_S8_EEEEZNS1_11reduce_implILb1ES3_PS9_SC_S9_NS6_11hip_rocprim9__find_if7functorIS9_EEEE10hipError_tPvRmT1_T2_T3_mT4_P12ihipStream_tbEUlT_E1_NS1_11comp_targetILNS1_3genE8ELNS1_11target_archE1030ELNS1_3gpuE2ELNS1_3repE0EEENS1_30default_config_static_selectorELNS0_4arch9wavefront6targetE0EEEvSK_.num_agpr, 0
	.set _ZN7rocprim17ROCPRIM_400000_NS6detail17trampoline_kernelINS0_14default_configENS1_22reduce_config_selectorIN6thrust23THRUST_200600_302600_NS5tupleIblNS6_9null_typeES8_S8_S8_S8_S8_S8_S8_EEEEZNS1_11reduce_implILb1ES3_PS9_SC_S9_NS6_11hip_rocprim9__find_if7functorIS9_EEEE10hipError_tPvRmT1_T2_T3_mT4_P12ihipStream_tbEUlT_E1_NS1_11comp_targetILNS1_3genE8ELNS1_11target_archE1030ELNS1_3gpuE2ELNS1_3repE0EEENS1_30default_config_static_selectorELNS0_4arch9wavefront6targetE0EEEvSK_.numbered_sgpr, 23
	.set _ZN7rocprim17ROCPRIM_400000_NS6detail17trampoline_kernelINS0_14default_configENS1_22reduce_config_selectorIN6thrust23THRUST_200600_302600_NS5tupleIblNS6_9null_typeES8_S8_S8_S8_S8_S8_S8_EEEEZNS1_11reduce_implILb1ES3_PS9_SC_S9_NS6_11hip_rocprim9__find_if7functorIS9_EEEE10hipError_tPvRmT1_T2_T3_mT4_P12ihipStream_tbEUlT_E1_NS1_11comp_targetILNS1_3genE8ELNS1_11target_archE1030ELNS1_3gpuE2ELNS1_3repE0EEENS1_30default_config_static_selectorELNS0_4arch9wavefront6targetE0EEEvSK_.num_named_barrier, 0
	.set _ZN7rocprim17ROCPRIM_400000_NS6detail17trampoline_kernelINS0_14default_configENS1_22reduce_config_selectorIN6thrust23THRUST_200600_302600_NS5tupleIblNS6_9null_typeES8_S8_S8_S8_S8_S8_S8_EEEEZNS1_11reduce_implILb1ES3_PS9_SC_S9_NS6_11hip_rocprim9__find_if7functorIS9_EEEE10hipError_tPvRmT1_T2_T3_mT4_P12ihipStream_tbEUlT_E1_NS1_11comp_targetILNS1_3genE8ELNS1_11target_archE1030ELNS1_3gpuE2ELNS1_3repE0EEENS1_30default_config_static_selectorELNS0_4arch9wavefront6targetE0EEEvSK_.private_seg_size, 0
	.set _ZN7rocprim17ROCPRIM_400000_NS6detail17trampoline_kernelINS0_14default_configENS1_22reduce_config_selectorIN6thrust23THRUST_200600_302600_NS5tupleIblNS6_9null_typeES8_S8_S8_S8_S8_S8_S8_EEEEZNS1_11reduce_implILb1ES3_PS9_SC_S9_NS6_11hip_rocprim9__find_if7functorIS9_EEEE10hipError_tPvRmT1_T2_T3_mT4_P12ihipStream_tbEUlT_E1_NS1_11comp_targetILNS1_3genE8ELNS1_11target_archE1030ELNS1_3gpuE2ELNS1_3repE0EEENS1_30default_config_static_selectorELNS0_4arch9wavefront6targetE0EEEvSK_.uses_vcc, 1
	.set _ZN7rocprim17ROCPRIM_400000_NS6detail17trampoline_kernelINS0_14default_configENS1_22reduce_config_selectorIN6thrust23THRUST_200600_302600_NS5tupleIblNS6_9null_typeES8_S8_S8_S8_S8_S8_S8_EEEEZNS1_11reduce_implILb1ES3_PS9_SC_S9_NS6_11hip_rocprim9__find_if7functorIS9_EEEE10hipError_tPvRmT1_T2_T3_mT4_P12ihipStream_tbEUlT_E1_NS1_11comp_targetILNS1_3genE8ELNS1_11target_archE1030ELNS1_3gpuE2ELNS1_3repE0EEENS1_30default_config_static_selectorELNS0_4arch9wavefront6targetE0EEEvSK_.uses_flat_scratch, 0
	.set _ZN7rocprim17ROCPRIM_400000_NS6detail17trampoline_kernelINS0_14default_configENS1_22reduce_config_selectorIN6thrust23THRUST_200600_302600_NS5tupleIblNS6_9null_typeES8_S8_S8_S8_S8_S8_S8_EEEEZNS1_11reduce_implILb1ES3_PS9_SC_S9_NS6_11hip_rocprim9__find_if7functorIS9_EEEE10hipError_tPvRmT1_T2_T3_mT4_P12ihipStream_tbEUlT_E1_NS1_11comp_targetILNS1_3genE8ELNS1_11target_archE1030ELNS1_3gpuE2ELNS1_3repE0EEENS1_30default_config_static_selectorELNS0_4arch9wavefront6targetE0EEEvSK_.has_dyn_sized_stack, 0
	.set _ZN7rocprim17ROCPRIM_400000_NS6detail17trampoline_kernelINS0_14default_configENS1_22reduce_config_selectorIN6thrust23THRUST_200600_302600_NS5tupleIblNS6_9null_typeES8_S8_S8_S8_S8_S8_S8_EEEEZNS1_11reduce_implILb1ES3_PS9_SC_S9_NS6_11hip_rocprim9__find_if7functorIS9_EEEE10hipError_tPvRmT1_T2_T3_mT4_P12ihipStream_tbEUlT_E1_NS1_11comp_targetILNS1_3genE8ELNS1_11target_archE1030ELNS1_3gpuE2ELNS1_3repE0EEENS1_30default_config_static_selectorELNS0_4arch9wavefront6targetE0EEEvSK_.has_recursion, 0
	.set _ZN7rocprim17ROCPRIM_400000_NS6detail17trampoline_kernelINS0_14default_configENS1_22reduce_config_selectorIN6thrust23THRUST_200600_302600_NS5tupleIblNS6_9null_typeES8_S8_S8_S8_S8_S8_S8_EEEEZNS1_11reduce_implILb1ES3_PS9_SC_S9_NS6_11hip_rocprim9__find_if7functorIS9_EEEE10hipError_tPvRmT1_T2_T3_mT4_P12ihipStream_tbEUlT_E1_NS1_11comp_targetILNS1_3genE8ELNS1_11target_archE1030ELNS1_3gpuE2ELNS1_3repE0EEENS1_30default_config_static_selectorELNS0_4arch9wavefront6targetE0EEEvSK_.has_indirect_call, 0
	.section	.AMDGPU.csdata,"",@progbits
; Kernel info:
; codeLenInByte = 14936
; TotalNumSgprs: 25
; NumVgprs: 29
; ScratchSize: 0
; MemoryBound: 0
; FloatMode: 240
; IeeeMode: 1
; LDSByteSize: 640 bytes/workgroup (compile time only)
; SGPRBlocks: 0
; VGPRBlocks: 3
; NumSGPRsForWavesPerEU: 25
; NumVGPRsForWavesPerEU: 29
; Occupancy: 16
; WaveLimiterHint : 1
; COMPUTE_PGM_RSRC2:SCRATCH_EN: 0
; COMPUTE_PGM_RSRC2:USER_SGPR: 6
; COMPUTE_PGM_RSRC2:TRAP_HANDLER: 0
; COMPUTE_PGM_RSRC2:TGID_X_EN: 1
; COMPUTE_PGM_RSRC2:TGID_Y_EN: 0
; COMPUTE_PGM_RSRC2:TGID_Z_EN: 0
; COMPUTE_PGM_RSRC2:TIDIG_COMP_CNT: 0
	.section	.text._ZN7rocprim17ROCPRIM_400000_NS6detail17trampoline_kernelINS0_14default_configENS1_22reduce_config_selectorIN6thrust23THRUST_200600_302600_NS5tupleIblNS6_9null_typeES8_S8_S8_S8_S8_S8_S8_EEEEZNS1_11reduce_implILb1ES3_NS6_12zip_iteratorINS7_INS6_11hip_rocprim26transform_input_iterator_tIbNSD_35transform_pair_of_input_iterators_tIbNS6_6detail15normal_iteratorINS6_10device_ptrIKdEEEESL_NS6_8equal_toIdEEEENSG_9not_fun_tINSD_8identityEEEEENSD_19counting_iterator_tIlEES8_S8_S8_S8_S8_S8_S8_S8_EEEEPS9_S9_NSD_9__find_if7functorIS9_EEEE10hipError_tPvRmT1_T2_T3_mT4_P12ihipStream_tbEUlT_E0_NS1_11comp_targetILNS1_3genE0ELNS1_11target_archE4294967295ELNS1_3gpuE0ELNS1_3repE0EEENS1_30default_config_static_selectorELNS0_4arch9wavefront6targetE0EEEvS14_,"axG",@progbits,_ZN7rocprim17ROCPRIM_400000_NS6detail17trampoline_kernelINS0_14default_configENS1_22reduce_config_selectorIN6thrust23THRUST_200600_302600_NS5tupleIblNS6_9null_typeES8_S8_S8_S8_S8_S8_S8_EEEEZNS1_11reduce_implILb1ES3_NS6_12zip_iteratorINS7_INS6_11hip_rocprim26transform_input_iterator_tIbNSD_35transform_pair_of_input_iterators_tIbNS6_6detail15normal_iteratorINS6_10device_ptrIKdEEEESL_NS6_8equal_toIdEEEENSG_9not_fun_tINSD_8identityEEEEENSD_19counting_iterator_tIlEES8_S8_S8_S8_S8_S8_S8_S8_EEEEPS9_S9_NSD_9__find_if7functorIS9_EEEE10hipError_tPvRmT1_T2_T3_mT4_P12ihipStream_tbEUlT_E0_NS1_11comp_targetILNS1_3genE0ELNS1_11target_archE4294967295ELNS1_3gpuE0ELNS1_3repE0EEENS1_30default_config_static_selectorELNS0_4arch9wavefront6targetE0EEEvS14_,comdat
	.protected	_ZN7rocprim17ROCPRIM_400000_NS6detail17trampoline_kernelINS0_14default_configENS1_22reduce_config_selectorIN6thrust23THRUST_200600_302600_NS5tupleIblNS6_9null_typeES8_S8_S8_S8_S8_S8_S8_EEEEZNS1_11reduce_implILb1ES3_NS6_12zip_iteratorINS7_INS6_11hip_rocprim26transform_input_iterator_tIbNSD_35transform_pair_of_input_iterators_tIbNS6_6detail15normal_iteratorINS6_10device_ptrIKdEEEESL_NS6_8equal_toIdEEEENSG_9not_fun_tINSD_8identityEEEEENSD_19counting_iterator_tIlEES8_S8_S8_S8_S8_S8_S8_S8_EEEEPS9_S9_NSD_9__find_if7functorIS9_EEEE10hipError_tPvRmT1_T2_T3_mT4_P12ihipStream_tbEUlT_E0_NS1_11comp_targetILNS1_3genE0ELNS1_11target_archE4294967295ELNS1_3gpuE0ELNS1_3repE0EEENS1_30default_config_static_selectorELNS0_4arch9wavefront6targetE0EEEvS14_ ; -- Begin function _ZN7rocprim17ROCPRIM_400000_NS6detail17trampoline_kernelINS0_14default_configENS1_22reduce_config_selectorIN6thrust23THRUST_200600_302600_NS5tupleIblNS6_9null_typeES8_S8_S8_S8_S8_S8_S8_EEEEZNS1_11reduce_implILb1ES3_NS6_12zip_iteratorINS7_INS6_11hip_rocprim26transform_input_iterator_tIbNSD_35transform_pair_of_input_iterators_tIbNS6_6detail15normal_iteratorINS6_10device_ptrIKdEEEESL_NS6_8equal_toIdEEEENSG_9not_fun_tINSD_8identityEEEEENSD_19counting_iterator_tIlEES8_S8_S8_S8_S8_S8_S8_S8_EEEEPS9_S9_NSD_9__find_if7functorIS9_EEEE10hipError_tPvRmT1_T2_T3_mT4_P12ihipStream_tbEUlT_E0_NS1_11comp_targetILNS1_3genE0ELNS1_11target_archE4294967295ELNS1_3gpuE0ELNS1_3repE0EEENS1_30default_config_static_selectorELNS0_4arch9wavefront6targetE0EEEvS14_
	.globl	_ZN7rocprim17ROCPRIM_400000_NS6detail17trampoline_kernelINS0_14default_configENS1_22reduce_config_selectorIN6thrust23THRUST_200600_302600_NS5tupleIblNS6_9null_typeES8_S8_S8_S8_S8_S8_S8_EEEEZNS1_11reduce_implILb1ES3_NS6_12zip_iteratorINS7_INS6_11hip_rocprim26transform_input_iterator_tIbNSD_35transform_pair_of_input_iterators_tIbNS6_6detail15normal_iteratorINS6_10device_ptrIKdEEEESL_NS6_8equal_toIdEEEENSG_9not_fun_tINSD_8identityEEEEENSD_19counting_iterator_tIlEES8_S8_S8_S8_S8_S8_S8_S8_EEEEPS9_S9_NSD_9__find_if7functorIS9_EEEE10hipError_tPvRmT1_T2_T3_mT4_P12ihipStream_tbEUlT_E0_NS1_11comp_targetILNS1_3genE0ELNS1_11target_archE4294967295ELNS1_3gpuE0ELNS1_3repE0EEENS1_30default_config_static_selectorELNS0_4arch9wavefront6targetE0EEEvS14_
	.p2align	8
	.type	_ZN7rocprim17ROCPRIM_400000_NS6detail17trampoline_kernelINS0_14default_configENS1_22reduce_config_selectorIN6thrust23THRUST_200600_302600_NS5tupleIblNS6_9null_typeES8_S8_S8_S8_S8_S8_S8_EEEEZNS1_11reduce_implILb1ES3_NS6_12zip_iteratorINS7_INS6_11hip_rocprim26transform_input_iterator_tIbNSD_35transform_pair_of_input_iterators_tIbNS6_6detail15normal_iteratorINS6_10device_ptrIKdEEEESL_NS6_8equal_toIdEEEENSG_9not_fun_tINSD_8identityEEEEENSD_19counting_iterator_tIlEES8_S8_S8_S8_S8_S8_S8_S8_EEEEPS9_S9_NSD_9__find_if7functorIS9_EEEE10hipError_tPvRmT1_T2_T3_mT4_P12ihipStream_tbEUlT_E0_NS1_11comp_targetILNS1_3genE0ELNS1_11target_archE4294967295ELNS1_3gpuE0ELNS1_3repE0EEENS1_30default_config_static_selectorELNS0_4arch9wavefront6targetE0EEEvS14_,@function
_ZN7rocprim17ROCPRIM_400000_NS6detail17trampoline_kernelINS0_14default_configENS1_22reduce_config_selectorIN6thrust23THRUST_200600_302600_NS5tupleIblNS6_9null_typeES8_S8_S8_S8_S8_S8_S8_EEEEZNS1_11reduce_implILb1ES3_NS6_12zip_iteratorINS7_INS6_11hip_rocprim26transform_input_iterator_tIbNSD_35transform_pair_of_input_iterators_tIbNS6_6detail15normal_iteratorINS6_10device_ptrIKdEEEESL_NS6_8equal_toIdEEEENSG_9not_fun_tINSD_8identityEEEEENSD_19counting_iterator_tIlEES8_S8_S8_S8_S8_S8_S8_S8_EEEEPS9_S9_NSD_9__find_if7functorIS9_EEEE10hipError_tPvRmT1_T2_T3_mT4_P12ihipStream_tbEUlT_E0_NS1_11comp_targetILNS1_3genE0ELNS1_11target_archE4294967295ELNS1_3gpuE0ELNS1_3repE0EEENS1_30default_config_static_selectorELNS0_4arch9wavefront6targetE0EEEvS14_: ; @_ZN7rocprim17ROCPRIM_400000_NS6detail17trampoline_kernelINS0_14default_configENS1_22reduce_config_selectorIN6thrust23THRUST_200600_302600_NS5tupleIblNS6_9null_typeES8_S8_S8_S8_S8_S8_S8_EEEEZNS1_11reduce_implILb1ES3_NS6_12zip_iteratorINS7_INS6_11hip_rocprim26transform_input_iterator_tIbNSD_35transform_pair_of_input_iterators_tIbNS6_6detail15normal_iteratorINS6_10device_ptrIKdEEEESL_NS6_8equal_toIdEEEENSG_9not_fun_tINSD_8identityEEEEENSD_19counting_iterator_tIlEES8_S8_S8_S8_S8_S8_S8_S8_EEEEPS9_S9_NSD_9__find_if7functorIS9_EEEE10hipError_tPvRmT1_T2_T3_mT4_P12ihipStream_tbEUlT_E0_NS1_11comp_targetILNS1_3genE0ELNS1_11target_archE4294967295ELNS1_3gpuE0ELNS1_3repE0EEENS1_30default_config_static_selectorELNS0_4arch9wavefront6targetE0EEEvS14_
; %bb.0:
	.section	.rodata,"a",@progbits
	.p2align	6, 0x0
	.amdhsa_kernel _ZN7rocprim17ROCPRIM_400000_NS6detail17trampoline_kernelINS0_14default_configENS1_22reduce_config_selectorIN6thrust23THRUST_200600_302600_NS5tupleIblNS6_9null_typeES8_S8_S8_S8_S8_S8_S8_EEEEZNS1_11reduce_implILb1ES3_NS6_12zip_iteratorINS7_INS6_11hip_rocprim26transform_input_iterator_tIbNSD_35transform_pair_of_input_iterators_tIbNS6_6detail15normal_iteratorINS6_10device_ptrIKdEEEESL_NS6_8equal_toIdEEEENSG_9not_fun_tINSD_8identityEEEEENSD_19counting_iterator_tIlEES8_S8_S8_S8_S8_S8_S8_S8_EEEEPS9_S9_NSD_9__find_if7functorIS9_EEEE10hipError_tPvRmT1_T2_T3_mT4_P12ihipStream_tbEUlT_E0_NS1_11comp_targetILNS1_3genE0ELNS1_11target_archE4294967295ELNS1_3gpuE0ELNS1_3repE0EEENS1_30default_config_static_selectorELNS0_4arch9wavefront6targetE0EEEvS14_
		.amdhsa_group_segment_fixed_size 0
		.amdhsa_private_segment_fixed_size 0
		.amdhsa_kernarg_size 104
		.amdhsa_user_sgpr_count 6
		.amdhsa_user_sgpr_private_segment_buffer 1
		.amdhsa_user_sgpr_dispatch_ptr 0
		.amdhsa_user_sgpr_queue_ptr 0
		.amdhsa_user_sgpr_kernarg_segment_ptr 1
		.amdhsa_user_sgpr_dispatch_id 0
		.amdhsa_user_sgpr_flat_scratch_init 0
		.amdhsa_user_sgpr_private_segment_size 0
		.amdhsa_wavefront_size32 1
		.amdhsa_uses_dynamic_stack 0
		.amdhsa_system_sgpr_private_segment_wavefront_offset 0
		.amdhsa_system_sgpr_workgroup_id_x 1
		.amdhsa_system_sgpr_workgroup_id_y 0
		.amdhsa_system_sgpr_workgroup_id_z 0
		.amdhsa_system_sgpr_workgroup_info 0
		.amdhsa_system_vgpr_workitem_id 0
		.amdhsa_next_free_vgpr 1
		.amdhsa_next_free_sgpr 1
		.amdhsa_reserve_vcc 0
		.amdhsa_reserve_flat_scratch 0
		.amdhsa_float_round_mode_32 0
		.amdhsa_float_round_mode_16_64 0
		.amdhsa_float_denorm_mode_32 3
		.amdhsa_float_denorm_mode_16_64 3
		.amdhsa_dx10_clamp 1
		.amdhsa_ieee_mode 1
		.amdhsa_fp16_overflow 0
		.amdhsa_workgroup_processor_mode 1
		.amdhsa_memory_ordered 1
		.amdhsa_forward_progress 1
		.amdhsa_shared_vgpr_count 0
		.amdhsa_exception_fp_ieee_invalid_op 0
		.amdhsa_exception_fp_denorm_src 0
		.amdhsa_exception_fp_ieee_div_zero 0
		.amdhsa_exception_fp_ieee_overflow 0
		.amdhsa_exception_fp_ieee_underflow 0
		.amdhsa_exception_fp_ieee_inexact 0
		.amdhsa_exception_int_div_zero 0
	.end_amdhsa_kernel
	.section	.text._ZN7rocprim17ROCPRIM_400000_NS6detail17trampoline_kernelINS0_14default_configENS1_22reduce_config_selectorIN6thrust23THRUST_200600_302600_NS5tupleIblNS6_9null_typeES8_S8_S8_S8_S8_S8_S8_EEEEZNS1_11reduce_implILb1ES3_NS6_12zip_iteratorINS7_INS6_11hip_rocprim26transform_input_iterator_tIbNSD_35transform_pair_of_input_iterators_tIbNS6_6detail15normal_iteratorINS6_10device_ptrIKdEEEESL_NS6_8equal_toIdEEEENSG_9not_fun_tINSD_8identityEEEEENSD_19counting_iterator_tIlEES8_S8_S8_S8_S8_S8_S8_S8_EEEEPS9_S9_NSD_9__find_if7functorIS9_EEEE10hipError_tPvRmT1_T2_T3_mT4_P12ihipStream_tbEUlT_E0_NS1_11comp_targetILNS1_3genE0ELNS1_11target_archE4294967295ELNS1_3gpuE0ELNS1_3repE0EEENS1_30default_config_static_selectorELNS0_4arch9wavefront6targetE0EEEvS14_,"axG",@progbits,_ZN7rocprim17ROCPRIM_400000_NS6detail17trampoline_kernelINS0_14default_configENS1_22reduce_config_selectorIN6thrust23THRUST_200600_302600_NS5tupleIblNS6_9null_typeES8_S8_S8_S8_S8_S8_S8_EEEEZNS1_11reduce_implILb1ES3_NS6_12zip_iteratorINS7_INS6_11hip_rocprim26transform_input_iterator_tIbNSD_35transform_pair_of_input_iterators_tIbNS6_6detail15normal_iteratorINS6_10device_ptrIKdEEEESL_NS6_8equal_toIdEEEENSG_9not_fun_tINSD_8identityEEEEENSD_19counting_iterator_tIlEES8_S8_S8_S8_S8_S8_S8_S8_EEEEPS9_S9_NSD_9__find_if7functorIS9_EEEE10hipError_tPvRmT1_T2_T3_mT4_P12ihipStream_tbEUlT_E0_NS1_11comp_targetILNS1_3genE0ELNS1_11target_archE4294967295ELNS1_3gpuE0ELNS1_3repE0EEENS1_30default_config_static_selectorELNS0_4arch9wavefront6targetE0EEEvS14_,comdat
.Lfunc_end37:
	.size	_ZN7rocprim17ROCPRIM_400000_NS6detail17trampoline_kernelINS0_14default_configENS1_22reduce_config_selectorIN6thrust23THRUST_200600_302600_NS5tupleIblNS6_9null_typeES8_S8_S8_S8_S8_S8_S8_EEEEZNS1_11reduce_implILb1ES3_NS6_12zip_iteratorINS7_INS6_11hip_rocprim26transform_input_iterator_tIbNSD_35transform_pair_of_input_iterators_tIbNS6_6detail15normal_iteratorINS6_10device_ptrIKdEEEESL_NS6_8equal_toIdEEEENSG_9not_fun_tINSD_8identityEEEEENSD_19counting_iterator_tIlEES8_S8_S8_S8_S8_S8_S8_S8_EEEEPS9_S9_NSD_9__find_if7functorIS9_EEEE10hipError_tPvRmT1_T2_T3_mT4_P12ihipStream_tbEUlT_E0_NS1_11comp_targetILNS1_3genE0ELNS1_11target_archE4294967295ELNS1_3gpuE0ELNS1_3repE0EEENS1_30default_config_static_selectorELNS0_4arch9wavefront6targetE0EEEvS14_, .Lfunc_end37-_ZN7rocprim17ROCPRIM_400000_NS6detail17trampoline_kernelINS0_14default_configENS1_22reduce_config_selectorIN6thrust23THRUST_200600_302600_NS5tupleIblNS6_9null_typeES8_S8_S8_S8_S8_S8_S8_EEEEZNS1_11reduce_implILb1ES3_NS6_12zip_iteratorINS7_INS6_11hip_rocprim26transform_input_iterator_tIbNSD_35transform_pair_of_input_iterators_tIbNS6_6detail15normal_iteratorINS6_10device_ptrIKdEEEESL_NS6_8equal_toIdEEEENSG_9not_fun_tINSD_8identityEEEEENSD_19counting_iterator_tIlEES8_S8_S8_S8_S8_S8_S8_S8_EEEEPS9_S9_NSD_9__find_if7functorIS9_EEEE10hipError_tPvRmT1_T2_T3_mT4_P12ihipStream_tbEUlT_E0_NS1_11comp_targetILNS1_3genE0ELNS1_11target_archE4294967295ELNS1_3gpuE0ELNS1_3repE0EEENS1_30default_config_static_selectorELNS0_4arch9wavefront6targetE0EEEvS14_
                                        ; -- End function
	.set _ZN7rocprim17ROCPRIM_400000_NS6detail17trampoline_kernelINS0_14default_configENS1_22reduce_config_selectorIN6thrust23THRUST_200600_302600_NS5tupleIblNS6_9null_typeES8_S8_S8_S8_S8_S8_S8_EEEEZNS1_11reduce_implILb1ES3_NS6_12zip_iteratorINS7_INS6_11hip_rocprim26transform_input_iterator_tIbNSD_35transform_pair_of_input_iterators_tIbNS6_6detail15normal_iteratorINS6_10device_ptrIKdEEEESL_NS6_8equal_toIdEEEENSG_9not_fun_tINSD_8identityEEEEENSD_19counting_iterator_tIlEES8_S8_S8_S8_S8_S8_S8_S8_EEEEPS9_S9_NSD_9__find_if7functorIS9_EEEE10hipError_tPvRmT1_T2_T3_mT4_P12ihipStream_tbEUlT_E0_NS1_11comp_targetILNS1_3genE0ELNS1_11target_archE4294967295ELNS1_3gpuE0ELNS1_3repE0EEENS1_30default_config_static_selectorELNS0_4arch9wavefront6targetE0EEEvS14_.num_vgpr, 0
	.set _ZN7rocprim17ROCPRIM_400000_NS6detail17trampoline_kernelINS0_14default_configENS1_22reduce_config_selectorIN6thrust23THRUST_200600_302600_NS5tupleIblNS6_9null_typeES8_S8_S8_S8_S8_S8_S8_EEEEZNS1_11reduce_implILb1ES3_NS6_12zip_iteratorINS7_INS6_11hip_rocprim26transform_input_iterator_tIbNSD_35transform_pair_of_input_iterators_tIbNS6_6detail15normal_iteratorINS6_10device_ptrIKdEEEESL_NS6_8equal_toIdEEEENSG_9not_fun_tINSD_8identityEEEEENSD_19counting_iterator_tIlEES8_S8_S8_S8_S8_S8_S8_S8_EEEEPS9_S9_NSD_9__find_if7functorIS9_EEEE10hipError_tPvRmT1_T2_T3_mT4_P12ihipStream_tbEUlT_E0_NS1_11comp_targetILNS1_3genE0ELNS1_11target_archE4294967295ELNS1_3gpuE0ELNS1_3repE0EEENS1_30default_config_static_selectorELNS0_4arch9wavefront6targetE0EEEvS14_.num_agpr, 0
	.set _ZN7rocprim17ROCPRIM_400000_NS6detail17trampoline_kernelINS0_14default_configENS1_22reduce_config_selectorIN6thrust23THRUST_200600_302600_NS5tupleIblNS6_9null_typeES8_S8_S8_S8_S8_S8_S8_EEEEZNS1_11reduce_implILb1ES3_NS6_12zip_iteratorINS7_INS6_11hip_rocprim26transform_input_iterator_tIbNSD_35transform_pair_of_input_iterators_tIbNS6_6detail15normal_iteratorINS6_10device_ptrIKdEEEESL_NS6_8equal_toIdEEEENSG_9not_fun_tINSD_8identityEEEEENSD_19counting_iterator_tIlEES8_S8_S8_S8_S8_S8_S8_S8_EEEEPS9_S9_NSD_9__find_if7functorIS9_EEEE10hipError_tPvRmT1_T2_T3_mT4_P12ihipStream_tbEUlT_E0_NS1_11comp_targetILNS1_3genE0ELNS1_11target_archE4294967295ELNS1_3gpuE0ELNS1_3repE0EEENS1_30default_config_static_selectorELNS0_4arch9wavefront6targetE0EEEvS14_.numbered_sgpr, 0
	.set _ZN7rocprim17ROCPRIM_400000_NS6detail17trampoline_kernelINS0_14default_configENS1_22reduce_config_selectorIN6thrust23THRUST_200600_302600_NS5tupleIblNS6_9null_typeES8_S8_S8_S8_S8_S8_S8_EEEEZNS1_11reduce_implILb1ES3_NS6_12zip_iteratorINS7_INS6_11hip_rocprim26transform_input_iterator_tIbNSD_35transform_pair_of_input_iterators_tIbNS6_6detail15normal_iteratorINS6_10device_ptrIKdEEEESL_NS6_8equal_toIdEEEENSG_9not_fun_tINSD_8identityEEEEENSD_19counting_iterator_tIlEES8_S8_S8_S8_S8_S8_S8_S8_EEEEPS9_S9_NSD_9__find_if7functorIS9_EEEE10hipError_tPvRmT1_T2_T3_mT4_P12ihipStream_tbEUlT_E0_NS1_11comp_targetILNS1_3genE0ELNS1_11target_archE4294967295ELNS1_3gpuE0ELNS1_3repE0EEENS1_30default_config_static_selectorELNS0_4arch9wavefront6targetE0EEEvS14_.num_named_barrier, 0
	.set _ZN7rocprim17ROCPRIM_400000_NS6detail17trampoline_kernelINS0_14default_configENS1_22reduce_config_selectorIN6thrust23THRUST_200600_302600_NS5tupleIblNS6_9null_typeES8_S8_S8_S8_S8_S8_S8_EEEEZNS1_11reduce_implILb1ES3_NS6_12zip_iteratorINS7_INS6_11hip_rocprim26transform_input_iterator_tIbNSD_35transform_pair_of_input_iterators_tIbNS6_6detail15normal_iteratorINS6_10device_ptrIKdEEEESL_NS6_8equal_toIdEEEENSG_9not_fun_tINSD_8identityEEEEENSD_19counting_iterator_tIlEES8_S8_S8_S8_S8_S8_S8_S8_EEEEPS9_S9_NSD_9__find_if7functorIS9_EEEE10hipError_tPvRmT1_T2_T3_mT4_P12ihipStream_tbEUlT_E0_NS1_11comp_targetILNS1_3genE0ELNS1_11target_archE4294967295ELNS1_3gpuE0ELNS1_3repE0EEENS1_30default_config_static_selectorELNS0_4arch9wavefront6targetE0EEEvS14_.private_seg_size, 0
	.set _ZN7rocprim17ROCPRIM_400000_NS6detail17trampoline_kernelINS0_14default_configENS1_22reduce_config_selectorIN6thrust23THRUST_200600_302600_NS5tupleIblNS6_9null_typeES8_S8_S8_S8_S8_S8_S8_EEEEZNS1_11reduce_implILb1ES3_NS6_12zip_iteratorINS7_INS6_11hip_rocprim26transform_input_iterator_tIbNSD_35transform_pair_of_input_iterators_tIbNS6_6detail15normal_iteratorINS6_10device_ptrIKdEEEESL_NS6_8equal_toIdEEEENSG_9not_fun_tINSD_8identityEEEEENSD_19counting_iterator_tIlEES8_S8_S8_S8_S8_S8_S8_S8_EEEEPS9_S9_NSD_9__find_if7functorIS9_EEEE10hipError_tPvRmT1_T2_T3_mT4_P12ihipStream_tbEUlT_E0_NS1_11comp_targetILNS1_3genE0ELNS1_11target_archE4294967295ELNS1_3gpuE0ELNS1_3repE0EEENS1_30default_config_static_selectorELNS0_4arch9wavefront6targetE0EEEvS14_.uses_vcc, 0
	.set _ZN7rocprim17ROCPRIM_400000_NS6detail17trampoline_kernelINS0_14default_configENS1_22reduce_config_selectorIN6thrust23THRUST_200600_302600_NS5tupleIblNS6_9null_typeES8_S8_S8_S8_S8_S8_S8_EEEEZNS1_11reduce_implILb1ES3_NS6_12zip_iteratorINS7_INS6_11hip_rocprim26transform_input_iterator_tIbNSD_35transform_pair_of_input_iterators_tIbNS6_6detail15normal_iteratorINS6_10device_ptrIKdEEEESL_NS6_8equal_toIdEEEENSG_9not_fun_tINSD_8identityEEEEENSD_19counting_iterator_tIlEES8_S8_S8_S8_S8_S8_S8_S8_EEEEPS9_S9_NSD_9__find_if7functorIS9_EEEE10hipError_tPvRmT1_T2_T3_mT4_P12ihipStream_tbEUlT_E0_NS1_11comp_targetILNS1_3genE0ELNS1_11target_archE4294967295ELNS1_3gpuE0ELNS1_3repE0EEENS1_30default_config_static_selectorELNS0_4arch9wavefront6targetE0EEEvS14_.uses_flat_scratch, 0
	.set _ZN7rocprim17ROCPRIM_400000_NS6detail17trampoline_kernelINS0_14default_configENS1_22reduce_config_selectorIN6thrust23THRUST_200600_302600_NS5tupleIblNS6_9null_typeES8_S8_S8_S8_S8_S8_S8_EEEEZNS1_11reduce_implILb1ES3_NS6_12zip_iteratorINS7_INS6_11hip_rocprim26transform_input_iterator_tIbNSD_35transform_pair_of_input_iterators_tIbNS6_6detail15normal_iteratorINS6_10device_ptrIKdEEEESL_NS6_8equal_toIdEEEENSG_9not_fun_tINSD_8identityEEEEENSD_19counting_iterator_tIlEES8_S8_S8_S8_S8_S8_S8_S8_EEEEPS9_S9_NSD_9__find_if7functorIS9_EEEE10hipError_tPvRmT1_T2_T3_mT4_P12ihipStream_tbEUlT_E0_NS1_11comp_targetILNS1_3genE0ELNS1_11target_archE4294967295ELNS1_3gpuE0ELNS1_3repE0EEENS1_30default_config_static_selectorELNS0_4arch9wavefront6targetE0EEEvS14_.has_dyn_sized_stack, 0
	.set _ZN7rocprim17ROCPRIM_400000_NS6detail17trampoline_kernelINS0_14default_configENS1_22reduce_config_selectorIN6thrust23THRUST_200600_302600_NS5tupleIblNS6_9null_typeES8_S8_S8_S8_S8_S8_S8_EEEEZNS1_11reduce_implILb1ES3_NS6_12zip_iteratorINS7_INS6_11hip_rocprim26transform_input_iterator_tIbNSD_35transform_pair_of_input_iterators_tIbNS6_6detail15normal_iteratorINS6_10device_ptrIKdEEEESL_NS6_8equal_toIdEEEENSG_9not_fun_tINSD_8identityEEEEENSD_19counting_iterator_tIlEES8_S8_S8_S8_S8_S8_S8_S8_EEEEPS9_S9_NSD_9__find_if7functorIS9_EEEE10hipError_tPvRmT1_T2_T3_mT4_P12ihipStream_tbEUlT_E0_NS1_11comp_targetILNS1_3genE0ELNS1_11target_archE4294967295ELNS1_3gpuE0ELNS1_3repE0EEENS1_30default_config_static_selectorELNS0_4arch9wavefront6targetE0EEEvS14_.has_recursion, 0
	.set _ZN7rocprim17ROCPRIM_400000_NS6detail17trampoline_kernelINS0_14default_configENS1_22reduce_config_selectorIN6thrust23THRUST_200600_302600_NS5tupleIblNS6_9null_typeES8_S8_S8_S8_S8_S8_S8_EEEEZNS1_11reduce_implILb1ES3_NS6_12zip_iteratorINS7_INS6_11hip_rocprim26transform_input_iterator_tIbNSD_35transform_pair_of_input_iterators_tIbNS6_6detail15normal_iteratorINS6_10device_ptrIKdEEEESL_NS6_8equal_toIdEEEENSG_9not_fun_tINSD_8identityEEEEENSD_19counting_iterator_tIlEES8_S8_S8_S8_S8_S8_S8_S8_EEEEPS9_S9_NSD_9__find_if7functorIS9_EEEE10hipError_tPvRmT1_T2_T3_mT4_P12ihipStream_tbEUlT_E0_NS1_11comp_targetILNS1_3genE0ELNS1_11target_archE4294967295ELNS1_3gpuE0ELNS1_3repE0EEENS1_30default_config_static_selectorELNS0_4arch9wavefront6targetE0EEEvS14_.has_indirect_call, 0
	.section	.AMDGPU.csdata,"",@progbits
; Kernel info:
; codeLenInByte = 0
; TotalNumSgprs: 0
; NumVgprs: 0
; ScratchSize: 0
; MemoryBound: 0
; FloatMode: 240
; IeeeMode: 1
; LDSByteSize: 0 bytes/workgroup (compile time only)
; SGPRBlocks: 0
; VGPRBlocks: 0
; NumSGPRsForWavesPerEU: 1
; NumVGPRsForWavesPerEU: 1
; Occupancy: 16
; WaveLimiterHint : 0
; COMPUTE_PGM_RSRC2:SCRATCH_EN: 0
; COMPUTE_PGM_RSRC2:USER_SGPR: 6
; COMPUTE_PGM_RSRC2:TRAP_HANDLER: 0
; COMPUTE_PGM_RSRC2:TGID_X_EN: 1
; COMPUTE_PGM_RSRC2:TGID_Y_EN: 0
; COMPUTE_PGM_RSRC2:TGID_Z_EN: 0
; COMPUTE_PGM_RSRC2:TIDIG_COMP_CNT: 0
	.section	.text._ZN7rocprim17ROCPRIM_400000_NS6detail17trampoline_kernelINS0_14default_configENS1_22reduce_config_selectorIN6thrust23THRUST_200600_302600_NS5tupleIblNS6_9null_typeES8_S8_S8_S8_S8_S8_S8_EEEEZNS1_11reduce_implILb1ES3_NS6_12zip_iteratorINS7_INS6_11hip_rocprim26transform_input_iterator_tIbNSD_35transform_pair_of_input_iterators_tIbNS6_6detail15normal_iteratorINS6_10device_ptrIKdEEEESL_NS6_8equal_toIdEEEENSG_9not_fun_tINSD_8identityEEEEENSD_19counting_iterator_tIlEES8_S8_S8_S8_S8_S8_S8_S8_EEEEPS9_S9_NSD_9__find_if7functorIS9_EEEE10hipError_tPvRmT1_T2_T3_mT4_P12ihipStream_tbEUlT_E0_NS1_11comp_targetILNS1_3genE5ELNS1_11target_archE942ELNS1_3gpuE9ELNS1_3repE0EEENS1_30default_config_static_selectorELNS0_4arch9wavefront6targetE0EEEvS14_,"axG",@progbits,_ZN7rocprim17ROCPRIM_400000_NS6detail17trampoline_kernelINS0_14default_configENS1_22reduce_config_selectorIN6thrust23THRUST_200600_302600_NS5tupleIblNS6_9null_typeES8_S8_S8_S8_S8_S8_S8_EEEEZNS1_11reduce_implILb1ES3_NS6_12zip_iteratorINS7_INS6_11hip_rocprim26transform_input_iterator_tIbNSD_35transform_pair_of_input_iterators_tIbNS6_6detail15normal_iteratorINS6_10device_ptrIKdEEEESL_NS6_8equal_toIdEEEENSG_9not_fun_tINSD_8identityEEEEENSD_19counting_iterator_tIlEES8_S8_S8_S8_S8_S8_S8_S8_EEEEPS9_S9_NSD_9__find_if7functorIS9_EEEE10hipError_tPvRmT1_T2_T3_mT4_P12ihipStream_tbEUlT_E0_NS1_11comp_targetILNS1_3genE5ELNS1_11target_archE942ELNS1_3gpuE9ELNS1_3repE0EEENS1_30default_config_static_selectorELNS0_4arch9wavefront6targetE0EEEvS14_,comdat
	.protected	_ZN7rocprim17ROCPRIM_400000_NS6detail17trampoline_kernelINS0_14default_configENS1_22reduce_config_selectorIN6thrust23THRUST_200600_302600_NS5tupleIblNS6_9null_typeES8_S8_S8_S8_S8_S8_S8_EEEEZNS1_11reduce_implILb1ES3_NS6_12zip_iteratorINS7_INS6_11hip_rocprim26transform_input_iterator_tIbNSD_35transform_pair_of_input_iterators_tIbNS6_6detail15normal_iteratorINS6_10device_ptrIKdEEEESL_NS6_8equal_toIdEEEENSG_9not_fun_tINSD_8identityEEEEENSD_19counting_iterator_tIlEES8_S8_S8_S8_S8_S8_S8_S8_EEEEPS9_S9_NSD_9__find_if7functorIS9_EEEE10hipError_tPvRmT1_T2_T3_mT4_P12ihipStream_tbEUlT_E0_NS1_11comp_targetILNS1_3genE5ELNS1_11target_archE942ELNS1_3gpuE9ELNS1_3repE0EEENS1_30default_config_static_selectorELNS0_4arch9wavefront6targetE0EEEvS14_ ; -- Begin function _ZN7rocprim17ROCPRIM_400000_NS6detail17trampoline_kernelINS0_14default_configENS1_22reduce_config_selectorIN6thrust23THRUST_200600_302600_NS5tupleIblNS6_9null_typeES8_S8_S8_S8_S8_S8_S8_EEEEZNS1_11reduce_implILb1ES3_NS6_12zip_iteratorINS7_INS6_11hip_rocprim26transform_input_iterator_tIbNSD_35transform_pair_of_input_iterators_tIbNS6_6detail15normal_iteratorINS6_10device_ptrIKdEEEESL_NS6_8equal_toIdEEEENSG_9not_fun_tINSD_8identityEEEEENSD_19counting_iterator_tIlEES8_S8_S8_S8_S8_S8_S8_S8_EEEEPS9_S9_NSD_9__find_if7functorIS9_EEEE10hipError_tPvRmT1_T2_T3_mT4_P12ihipStream_tbEUlT_E0_NS1_11comp_targetILNS1_3genE5ELNS1_11target_archE942ELNS1_3gpuE9ELNS1_3repE0EEENS1_30default_config_static_selectorELNS0_4arch9wavefront6targetE0EEEvS14_
	.globl	_ZN7rocprim17ROCPRIM_400000_NS6detail17trampoline_kernelINS0_14default_configENS1_22reduce_config_selectorIN6thrust23THRUST_200600_302600_NS5tupleIblNS6_9null_typeES8_S8_S8_S8_S8_S8_S8_EEEEZNS1_11reduce_implILb1ES3_NS6_12zip_iteratorINS7_INS6_11hip_rocprim26transform_input_iterator_tIbNSD_35transform_pair_of_input_iterators_tIbNS6_6detail15normal_iteratorINS6_10device_ptrIKdEEEESL_NS6_8equal_toIdEEEENSG_9not_fun_tINSD_8identityEEEEENSD_19counting_iterator_tIlEES8_S8_S8_S8_S8_S8_S8_S8_EEEEPS9_S9_NSD_9__find_if7functorIS9_EEEE10hipError_tPvRmT1_T2_T3_mT4_P12ihipStream_tbEUlT_E0_NS1_11comp_targetILNS1_3genE5ELNS1_11target_archE942ELNS1_3gpuE9ELNS1_3repE0EEENS1_30default_config_static_selectorELNS0_4arch9wavefront6targetE0EEEvS14_
	.p2align	8
	.type	_ZN7rocprim17ROCPRIM_400000_NS6detail17trampoline_kernelINS0_14default_configENS1_22reduce_config_selectorIN6thrust23THRUST_200600_302600_NS5tupleIblNS6_9null_typeES8_S8_S8_S8_S8_S8_S8_EEEEZNS1_11reduce_implILb1ES3_NS6_12zip_iteratorINS7_INS6_11hip_rocprim26transform_input_iterator_tIbNSD_35transform_pair_of_input_iterators_tIbNS6_6detail15normal_iteratorINS6_10device_ptrIKdEEEESL_NS6_8equal_toIdEEEENSG_9not_fun_tINSD_8identityEEEEENSD_19counting_iterator_tIlEES8_S8_S8_S8_S8_S8_S8_S8_EEEEPS9_S9_NSD_9__find_if7functorIS9_EEEE10hipError_tPvRmT1_T2_T3_mT4_P12ihipStream_tbEUlT_E0_NS1_11comp_targetILNS1_3genE5ELNS1_11target_archE942ELNS1_3gpuE9ELNS1_3repE0EEENS1_30default_config_static_selectorELNS0_4arch9wavefront6targetE0EEEvS14_,@function
_ZN7rocprim17ROCPRIM_400000_NS6detail17trampoline_kernelINS0_14default_configENS1_22reduce_config_selectorIN6thrust23THRUST_200600_302600_NS5tupleIblNS6_9null_typeES8_S8_S8_S8_S8_S8_S8_EEEEZNS1_11reduce_implILb1ES3_NS6_12zip_iteratorINS7_INS6_11hip_rocprim26transform_input_iterator_tIbNSD_35transform_pair_of_input_iterators_tIbNS6_6detail15normal_iteratorINS6_10device_ptrIKdEEEESL_NS6_8equal_toIdEEEENSG_9not_fun_tINSD_8identityEEEEENSD_19counting_iterator_tIlEES8_S8_S8_S8_S8_S8_S8_S8_EEEEPS9_S9_NSD_9__find_if7functorIS9_EEEE10hipError_tPvRmT1_T2_T3_mT4_P12ihipStream_tbEUlT_E0_NS1_11comp_targetILNS1_3genE5ELNS1_11target_archE942ELNS1_3gpuE9ELNS1_3repE0EEENS1_30default_config_static_selectorELNS0_4arch9wavefront6targetE0EEEvS14_: ; @_ZN7rocprim17ROCPRIM_400000_NS6detail17trampoline_kernelINS0_14default_configENS1_22reduce_config_selectorIN6thrust23THRUST_200600_302600_NS5tupleIblNS6_9null_typeES8_S8_S8_S8_S8_S8_S8_EEEEZNS1_11reduce_implILb1ES3_NS6_12zip_iteratorINS7_INS6_11hip_rocprim26transform_input_iterator_tIbNSD_35transform_pair_of_input_iterators_tIbNS6_6detail15normal_iteratorINS6_10device_ptrIKdEEEESL_NS6_8equal_toIdEEEENSG_9not_fun_tINSD_8identityEEEEENSD_19counting_iterator_tIlEES8_S8_S8_S8_S8_S8_S8_S8_EEEEPS9_S9_NSD_9__find_if7functorIS9_EEEE10hipError_tPvRmT1_T2_T3_mT4_P12ihipStream_tbEUlT_E0_NS1_11comp_targetILNS1_3genE5ELNS1_11target_archE942ELNS1_3gpuE9ELNS1_3repE0EEENS1_30default_config_static_selectorELNS0_4arch9wavefront6targetE0EEEvS14_
; %bb.0:
	.section	.rodata,"a",@progbits
	.p2align	6, 0x0
	.amdhsa_kernel _ZN7rocprim17ROCPRIM_400000_NS6detail17trampoline_kernelINS0_14default_configENS1_22reduce_config_selectorIN6thrust23THRUST_200600_302600_NS5tupleIblNS6_9null_typeES8_S8_S8_S8_S8_S8_S8_EEEEZNS1_11reduce_implILb1ES3_NS6_12zip_iteratorINS7_INS6_11hip_rocprim26transform_input_iterator_tIbNSD_35transform_pair_of_input_iterators_tIbNS6_6detail15normal_iteratorINS6_10device_ptrIKdEEEESL_NS6_8equal_toIdEEEENSG_9not_fun_tINSD_8identityEEEEENSD_19counting_iterator_tIlEES8_S8_S8_S8_S8_S8_S8_S8_EEEEPS9_S9_NSD_9__find_if7functorIS9_EEEE10hipError_tPvRmT1_T2_T3_mT4_P12ihipStream_tbEUlT_E0_NS1_11comp_targetILNS1_3genE5ELNS1_11target_archE942ELNS1_3gpuE9ELNS1_3repE0EEENS1_30default_config_static_selectorELNS0_4arch9wavefront6targetE0EEEvS14_
		.amdhsa_group_segment_fixed_size 0
		.amdhsa_private_segment_fixed_size 0
		.amdhsa_kernarg_size 104
		.amdhsa_user_sgpr_count 6
		.amdhsa_user_sgpr_private_segment_buffer 1
		.amdhsa_user_sgpr_dispatch_ptr 0
		.amdhsa_user_sgpr_queue_ptr 0
		.amdhsa_user_sgpr_kernarg_segment_ptr 1
		.amdhsa_user_sgpr_dispatch_id 0
		.amdhsa_user_sgpr_flat_scratch_init 0
		.amdhsa_user_sgpr_private_segment_size 0
		.amdhsa_wavefront_size32 1
		.amdhsa_uses_dynamic_stack 0
		.amdhsa_system_sgpr_private_segment_wavefront_offset 0
		.amdhsa_system_sgpr_workgroup_id_x 1
		.amdhsa_system_sgpr_workgroup_id_y 0
		.amdhsa_system_sgpr_workgroup_id_z 0
		.amdhsa_system_sgpr_workgroup_info 0
		.amdhsa_system_vgpr_workitem_id 0
		.amdhsa_next_free_vgpr 1
		.amdhsa_next_free_sgpr 1
		.amdhsa_reserve_vcc 0
		.amdhsa_reserve_flat_scratch 0
		.amdhsa_float_round_mode_32 0
		.amdhsa_float_round_mode_16_64 0
		.amdhsa_float_denorm_mode_32 3
		.amdhsa_float_denorm_mode_16_64 3
		.amdhsa_dx10_clamp 1
		.amdhsa_ieee_mode 1
		.amdhsa_fp16_overflow 0
		.amdhsa_workgroup_processor_mode 1
		.amdhsa_memory_ordered 1
		.amdhsa_forward_progress 1
		.amdhsa_shared_vgpr_count 0
		.amdhsa_exception_fp_ieee_invalid_op 0
		.amdhsa_exception_fp_denorm_src 0
		.amdhsa_exception_fp_ieee_div_zero 0
		.amdhsa_exception_fp_ieee_overflow 0
		.amdhsa_exception_fp_ieee_underflow 0
		.amdhsa_exception_fp_ieee_inexact 0
		.amdhsa_exception_int_div_zero 0
	.end_amdhsa_kernel
	.section	.text._ZN7rocprim17ROCPRIM_400000_NS6detail17trampoline_kernelINS0_14default_configENS1_22reduce_config_selectorIN6thrust23THRUST_200600_302600_NS5tupleIblNS6_9null_typeES8_S8_S8_S8_S8_S8_S8_EEEEZNS1_11reduce_implILb1ES3_NS6_12zip_iteratorINS7_INS6_11hip_rocprim26transform_input_iterator_tIbNSD_35transform_pair_of_input_iterators_tIbNS6_6detail15normal_iteratorINS6_10device_ptrIKdEEEESL_NS6_8equal_toIdEEEENSG_9not_fun_tINSD_8identityEEEEENSD_19counting_iterator_tIlEES8_S8_S8_S8_S8_S8_S8_S8_EEEEPS9_S9_NSD_9__find_if7functorIS9_EEEE10hipError_tPvRmT1_T2_T3_mT4_P12ihipStream_tbEUlT_E0_NS1_11comp_targetILNS1_3genE5ELNS1_11target_archE942ELNS1_3gpuE9ELNS1_3repE0EEENS1_30default_config_static_selectorELNS0_4arch9wavefront6targetE0EEEvS14_,"axG",@progbits,_ZN7rocprim17ROCPRIM_400000_NS6detail17trampoline_kernelINS0_14default_configENS1_22reduce_config_selectorIN6thrust23THRUST_200600_302600_NS5tupleIblNS6_9null_typeES8_S8_S8_S8_S8_S8_S8_EEEEZNS1_11reduce_implILb1ES3_NS6_12zip_iteratorINS7_INS6_11hip_rocprim26transform_input_iterator_tIbNSD_35transform_pair_of_input_iterators_tIbNS6_6detail15normal_iteratorINS6_10device_ptrIKdEEEESL_NS6_8equal_toIdEEEENSG_9not_fun_tINSD_8identityEEEEENSD_19counting_iterator_tIlEES8_S8_S8_S8_S8_S8_S8_S8_EEEEPS9_S9_NSD_9__find_if7functorIS9_EEEE10hipError_tPvRmT1_T2_T3_mT4_P12ihipStream_tbEUlT_E0_NS1_11comp_targetILNS1_3genE5ELNS1_11target_archE942ELNS1_3gpuE9ELNS1_3repE0EEENS1_30default_config_static_selectorELNS0_4arch9wavefront6targetE0EEEvS14_,comdat
.Lfunc_end38:
	.size	_ZN7rocprim17ROCPRIM_400000_NS6detail17trampoline_kernelINS0_14default_configENS1_22reduce_config_selectorIN6thrust23THRUST_200600_302600_NS5tupleIblNS6_9null_typeES8_S8_S8_S8_S8_S8_S8_EEEEZNS1_11reduce_implILb1ES3_NS6_12zip_iteratorINS7_INS6_11hip_rocprim26transform_input_iterator_tIbNSD_35transform_pair_of_input_iterators_tIbNS6_6detail15normal_iteratorINS6_10device_ptrIKdEEEESL_NS6_8equal_toIdEEEENSG_9not_fun_tINSD_8identityEEEEENSD_19counting_iterator_tIlEES8_S8_S8_S8_S8_S8_S8_S8_EEEEPS9_S9_NSD_9__find_if7functorIS9_EEEE10hipError_tPvRmT1_T2_T3_mT4_P12ihipStream_tbEUlT_E0_NS1_11comp_targetILNS1_3genE5ELNS1_11target_archE942ELNS1_3gpuE9ELNS1_3repE0EEENS1_30default_config_static_selectorELNS0_4arch9wavefront6targetE0EEEvS14_, .Lfunc_end38-_ZN7rocprim17ROCPRIM_400000_NS6detail17trampoline_kernelINS0_14default_configENS1_22reduce_config_selectorIN6thrust23THRUST_200600_302600_NS5tupleIblNS6_9null_typeES8_S8_S8_S8_S8_S8_S8_EEEEZNS1_11reduce_implILb1ES3_NS6_12zip_iteratorINS7_INS6_11hip_rocprim26transform_input_iterator_tIbNSD_35transform_pair_of_input_iterators_tIbNS6_6detail15normal_iteratorINS6_10device_ptrIKdEEEESL_NS6_8equal_toIdEEEENSG_9not_fun_tINSD_8identityEEEEENSD_19counting_iterator_tIlEES8_S8_S8_S8_S8_S8_S8_S8_EEEEPS9_S9_NSD_9__find_if7functorIS9_EEEE10hipError_tPvRmT1_T2_T3_mT4_P12ihipStream_tbEUlT_E0_NS1_11comp_targetILNS1_3genE5ELNS1_11target_archE942ELNS1_3gpuE9ELNS1_3repE0EEENS1_30default_config_static_selectorELNS0_4arch9wavefront6targetE0EEEvS14_
                                        ; -- End function
	.set _ZN7rocprim17ROCPRIM_400000_NS6detail17trampoline_kernelINS0_14default_configENS1_22reduce_config_selectorIN6thrust23THRUST_200600_302600_NS5tupleIblNS6_9null_typeES8_S8_S8_S8_S8_S8_S8_EEEEZNS1_11reduce_implILb1ES3_NS6_12zip_iteratorINS7_INS6_11hip_rocprim26transform_input_iterator_tIbNSD_35transform_pair_of_input_iterators_tIbNS6_6detail15normal_iteratorINS6_10device_ptrIKdEEEESL_NS6_8equal_toIdEEEENSG_9not_fun_tINSD_8identityEEEEENSD_19counting_iterator_tIlEES8_S8_S8_S8_S8_S8_S8_S8_EEEEPS9_S9_NSD_9__find_if7functorIS9_EEEE10hipError_tPvRmT1_T2_T3_mT4_P12ihipStream_tbEUlT_E0_NS1_11comp_targetILNS1_3genE5ELNS1_11target_archE942ELNS1_3gpuE9ELNS1_3repE0EEENS1_30default_config_static_selectorELNS0_4arch9wavefront6targetE0EEEvS14_.num_vgpr, 0
	.set _ZN7rocprim17ROCPRIM_400000_NS6detail17trampoline_kernelINS0_14default_configENS1_22reduce_config_selectorIN6thrust23THRUST_200600_302600_NS5tupleIblNS6_9null_typeES8_S8_S8_S8_S8_S8_S8_EEEEZNS1_11reduce_implILb1ES3_NS6_12zip_iteratorINS7_INS6_11hip_rocprim26transform_input_iterator_tIbNSD_35transform_pair_of_input_iterators_tIbNS6_6detail15normal_iteratorINS6_10device_ptrIKdEEEESL_NS6_8equal_toIdEEEENSG_9not_fun_tINSD_8identityEEEEENSD_19counting_iterator_tIlEES8_S8_S8_S8_S8_S8_S8_S8_EEEEPS9_S9_NSD_9__find_if7functorIS9_EEEE10hipError_tPvRmT1_T2_T3_mT4_P12ihipStream_tbEUlT_E0_NS1_11comp_targetILNS1_3genE5ELNS1_11target_archE942ELNS1_3gpuE9ELNS1_3repE0EEENS1_30default_config_static_selectorELNS0_4arch9wavefront6targetE0EEEvS14_.num_agpr, 0
	.set _ZN7rocprim17ROCPRIM_400000_NS6detail17trampoline_kernelINS0_14default_configENS1_22reduce_config_selectorIN6thrust23THRUST_200600_302600_NS5tupleIblNS6_9null_typeES8_S8_S8_S8_S8_S8_S8_EEEEZNS1_11reduce_implILb1ES3_NS6_12zip_iteratorINS7_INS6_11hip_rocprim26transform_input_iterator_tIbNSD_35transform_pair_of_input_iterators_tIbNS6_6detail15normal_iteratorINS6_10device_ptrIKdEEEESL_NS6_8equal_toIdEEEENSG_9not_fun_tINSD_8identityEEEEENSD_19counting_iterator_tIlEES8_S8_S8_S8_S8_S8_S8_S8_EEEEPS9_S9_NSD_9__find_if7functorIS9_EEEE10hipError_tPvRmT1_T2_T3_mT4_P12ihipStream_tbEUlT_E0_NS1_11comp_targetILNS1_3genE5ELNS1_11target_archE942ELNS1_3gpuE9ELNS1_3repE0EEENS1_30default_config_static_selectorELNS0_4arch9wavefront6targetE0EEEvS14_.numbered_sgpr, 0
	.set _ZN7rocprim17ROCPRIM_400000_NS6detail17trampoline_kernelINS0_14default_configENS1_22reduce_config_selectorIN6thrust23THRUST_200600_302600_NS5tupleIblNS6_9null_typeES8_S8_S8_S8_S8_S8_S8_EEEEZNS1_11reduce_implILb1ES3_NS6_12zip_iteratorINS7_INS6_11hip_rocprim26transform_input_iterator_tIbNSD_35transform_pair_of_input_iterators_tIbNS6_6detail15normal_iteratorINS6_10device_ptrIKdEEEESL_NS6_8equal_toIdEEEENSG_9not_fun_tINSD_8identityEEEEENSD_19counting_iterator_tIlEES8_S8_S8_S8_S8_S8_S8_S8_EEEEPS9_S9_NSD_9__find_if7functorIS9_EEEE10hipError_tPvRmT1_T2_T3_mT4_P12ihipStream_tbEUlT_E0_NS1_11comp_targetILNS1_3genE5ELNS1_11target_archE942ELNS1_3gpuE9ELNS1_3repE0EEENS1_30default_config_static_selectorELNS0_4arch9wavefront6targetE0EEEvS14_.num_named_barrier, 0
	.set _ZN7rocprim17ROCPRIM_400000_NS6detail17trampoline_kernelINS0_14default_configENS1_22reduce_config_selectorIN6thrust23THRUST_200600_302600_NS5tupleIblNS6_9null_typeES8_S8_S8_S8_S8_S8_S8_EEEEZNS1_11reduce_implILb1ES3_NS6_12zip_iteratorINS7_INS6_11hip_rocprim26transform_input_iterator_tIbNSD_35transform_pair_of_input_iterators_tIbNS6_6detail15normal_iteratorINS6_10device_ptrIKdEEEESL_NS6_8equal_toIdEEEENSG_9not_fun_tINSD_8identityEEEEENSD_19counting_iterator_tIlEES8_S8_S8_S8_S8_S8_S8_S8_EEEEPS9_S9_NSD_9__find_if7functorIS9_EEEE10hipError_tPvRmT1_T2_T3_mT4_P12ihipStream_tbEUlT_E0_NS1_11comp_targetILNS1_3genE5ELNS1_11target_archE942ELNS1_3gpuE9ELNS1_3repE0EEENS1_30default_config_static_selectorELNS0_4arch9wavefront6targetE0EEEvS14_.private_seg_size, 0
	.set _ZN7rocprim17ROCPRIM_400000_NS6detail17trampoline_kernelINS0_14default_configENS1_22reduce_config_selectorIN6thrust23THRUST_200600_302600_NS5tupleIblNS6_9null_typeES8_S8_S8_S8_S8_S8_S8_EEEEZNS1_11reduce_implILb1ES3_NS6_12zip_iteratorINS7_INS6_11hip_rocprim26transform_input_iterator_tIbNSD_35transform_pair_of_input_iterators_tIbNS6_6detail15normal_iteratorINS6_10device_ptrIKdEEEESL_NS6_8equal_toIdEEEENSG_9not_fun_tINSD_8identityEEEEENSD_19counting_iterator_tIlEES8_S8_S8_S8_S8_S8_S8_S8_EEEEPS9_S9_NSD_9__find_if7functorIS9_EEEE10hipError_tPvRmT1_T2_T3_mT4_P12ihipStream_tbEUlT_E0_NS1_11comp_targetILNS1_3genE5ELNS1_11target_archE942ELNS1_3gpuE9ELNS1_3repE0EEENS1_30default_config_static_selectorELNS0_4arch9wavefront6targetE0EEEvS14_.uses_vcc, 0
	.set _ZN7rocprim17ROCPRIM_400000_NS6detail17trampoline_kernelINS0_14default_configENS1_22reduce_config_selectorIN6thrust23THRUST_200600_302600_NS5tupleIblNS6_9null_typeES8_S8_S8_S8_S8_S8_S8_EEEEZNS1_11reduce_implILb1ES3_NS6_12zip_iteratorINS7_INS6_11hip_rocprim26transform_input_iterator_tIbNSD_35transform_pair_of_input_iterators_tIbNS6_6detail15normal_iteratorINS6_10device_ptrIKdEEEESL_NS6_8equal_toIdEEEENSG_9not_fun_tINSD_8identityEEEEENSD_19counting_iterator_tIlEES8_S8_S8_S8_S8_S8_S8_S8_EEEEPS9_S9_NSD_9__find_if7functorIS9_EEEE10hipError_tPvRmT1_T2_T3_mT4_P12ihipStream_tbEUlT_E0_NS1_11comp_targetILNS1_3genE5ELNS1_11target_archE942ELNS1_3gpuE9ELNS1_3repE0EEENS1_30default_config_static_selectorELNS0_4arch9wavefront6targetE0EEEvS14_.uses_flat_scratch, 0
	.set _ZN7rocprim17ROCPRIM_400000_NS6detail17trampoline_kernelINS0_14default_configENS1_22reduce_config_selectorIN6thrust23THRUST_200600_302600_NS5tupleIblNS6_9null_typeES8_S8_S8_S8_S8_S8_S8_EEEEZNS1_11reduce_implILb1ES3_NS6_12zip_iteratorINS7_INS6_11hip_rocprim26transform_input_iterator_tIbNSD_35transform_pair_of_input_iterators_tIbNS6_6detail15normal_iteratorINS6_10device_ptrIKdEEEESL_NS6_8equal_toIdEEEENSG_9not_fun_tINSD_8identityEEEEENSD_19counting_iterator_tIlEES8_S8_S8_S8_S8_S8_S8_S8_EEEEPS9_S9_NSD_9__find_if7functorIS9_EEEE10hipError_tPvRmT1_T2_T3_mT4_P12ihipStream_tbEUlT_E0_NS1_11comp_targetILNS1_3genE5ELNS1_11target_archE942ELNS1_3gpuE9ELNS1_3repE0EEENS1_30default_config_static_selectorELNS0_4arch9wavefront6targetE0EEEvS14_.has_dyn_sized_stack, 0
	.set _ZN7rocprim17ROCPRIM_400000_NS6detail17trampoline_kernelINS0_14default_configENS1_22reduce_config_selectorIN6thrust23THRUST_200600_302600_NS5tupleIblNS6_9null_typeES8_S8_S8_S8_S8_S8_S8_EEEEZNS1_11reduce_implILb1ES3_NS6_12zip_iteratorINS7_INS6_11hip_rocprim26transform_input_iterator_tIbNSD_35transform_pair_of_input_iterators_tIbNS6_6detail15normal_iteratorINS6_10device_ptrIKdEEEESL_NS6_8equal_toIdEEEENSG_9not_fun_tINSD_8identityEEEEENSD_19counting_iterator_tIlEES8_S8_S8_S8_S8_S8_S8_S8_EEEEPS9_S9_NSD_9__find_if7functorIS9_EEEE10hipError_tPvRmT1_T2_T3_mT4_P12ihipStream_tbEUlT_E0_NS1_11comp_targetILNS1_3genE5ELNS1_11target_archE942ELNS1_3gpuE9ELNS1_3repE0EEENS1_30default_config_static_selectorELNS0_4arch9wavefront6targetE0EEEvS14_.has_recursion, 0
	.set _ZN7rocprim17ROCPRIM_400000_NS6detail17trampoline_kernelINS0_14default_configENS1_22reduce_config_selectorIN6thrust23THRUST_200600_302600_NS5tupleIblNS6_9null_typeES8_S8_S8_S8_S8_S8_S8_EEEEZNS1_11reduce_implILb1ES3_NS6_12zip_iteratorINS7_INS6_11hip_rocprim26transform_input_iterator_tIbNSD_35transform_pair_of_input_iterators_tIbNS6_6detail15normal_iteratorINS6_10device_ptrIKdEEEESL_NS6_8equal_toIdEEEENSG_9not_fun_tINSD_8identityEEEEENSD_19counting_iterator_tIlEES8_S8_S8_S8_S8_S8_S8_S8_EEEEPS9_S9_NSD_9__find_if7functorIS9_EEEE10hipError_tPvRmT1_T2_T3_mT4_P12ihipStream_tbEUlT_E0_NS1_11comp_targetILNS1_3genE5ELNS1_11target_archE942ELNS1_3gpuE9ELNS1_3repE0EEENS1_30default_config_static_selectorELNS0_4arch9wavefront6targetE0EEEvS14_.has_indirect_call, 0
	.section	.AMDGPU.csdata,"",@progbits
; Kernel info:
; codeLenInByte = 0
; TotalNumSgprs: 0
; NumVgprs: 0
; ScratchSize: 0
; MemoryBound: 0
; FloatMode: 240
; IeeeMode: 1
; LDSByteSize: 0 bytes/workgroup (compile time only)
; SGPRBlocks: 0
; VGPRBlocks: 0
; NumSGPRsForWavesPerEU: 1
; NumVGPRsForWavesPerEU: 1
; Occupancy: 16
; WaveLimiterHint : 0
; COMPUTE_PGM_RSRC2:SCRATCH_EN: 0
; COMPUTE_PGM_RSRC2:USER_SGPR: 6
; COMPUTE_PGM_RSRC2:TRAP_HANDLER: 0
; COMPUTE_PGM_RSRC2:TGID_X_EN: 1
; COMPUTE_PGM_RSRC2:TGID_Y_EN: 0
; COMPUTE_PGM_RSRC2:TGID_Z_EN: 0
; COMPUTE_PGM_RSRC2:TIDIG_COMP_CNT: 0
	.section	.text._ZN7rocprim17ROCPRIM_400000_NS6detail17trampoline_kernelINS0_14default_configENS1_22reduce_config_selectorIN6thrust23THRUST_200600_302600_NS5tupleIblNS6_9null_typeES8_S8_S8_S8_S8_S8_S8_EEEEZNS1_11reduce_implILb1ES3_NS6_12zip_iteratorINS7_INS6_11hip_rocprim26transform_input_iterator_tIbNSD_35transform_pair_of_input_iterators_tIbNS6_6detail15normal_iteratorINS6_10device_ptrIKdEEEESL_NS6_8equal_toIdEEEENSG_9not_fun_tINSD_8identityEEEEENSD_19counting_iterator_tIlEES8_S8_S8_S8_S8_S8_S8_S8_EEEEPS9_S9_NSD_9__find_if7functorIS9_EEEE10hipError_tPvRmT1_T2_T3_mT4_P12ihipStream_tbEUlT_E0_NS1_11comp_targetILNS1_3genE4ELNS1_11target_archE910ELNS1_3gpuE8ELNS1_3repE0EEENS1_30default_config_static_selectorELNS0_4arch9wavefront6targetE0EEEvS14_,"axG",@progbits,_ZN7rocprim17ROCPRIM_400000_NS6detail17trampoline_kernelINS0_14default_configENS1_22reduce_config_selectorIN6thrust23THRUST_200600_302600_NS5tupleIblNS6_9null_typeES8_S8_S8_S8_S8_S8_S8_EEEEZNS1_11reduce_implILb1ES3_NS6_12zip_iteratorINS7_INS6_11hip_rocprim26transform_input_iterator_tIbNSD_35transform_pair_of_input_iterators_tIbNS6_6detail15normal_iteratorINS6_10device_ptrIKdEEEESL_NS6_8equal_toIdEEEENSG_9not_fun_tINSD_8identityEEEEENSD_19counting_iterator_tIlEES8_S8_S8_S8_S8_S8_S8_S8_EEEEPS9_S9_NSD_9__find_if7functorIS9_EEEE10hipError_tPvRmT1_T2_T3_mT4_P12ihipStream_tbEUlT_E0_NS1_11comp_targetILNS1_3genE4ELNS1_11target_archE910ELNS1_3gpuE8ELNS1_3repE0EEENS1_30default_config_static_selectorELNS0_4arch9wavefront6targetE0EEEvS14_,comdat
	.protected	_ZN7rocprim17ROCPRIM_400000_NS6detail17trampoline_kernelINS0_14default_configENS1_22reduce_config_selectorIN6thrust23THRUST_200600_302600_NS5tupleIblNS6_9null_typeES8_S8_S8_S8_S8_S8_S8_EEEEZNS1_11reduce_implILb1ES3_NS6_12zip_iteratorINS7_INS6_11hip_rocprim26transform_input_iterator_tIbNSD_35transform_pair_of_input_iterators_tIbNS6_6detail15normal_iteratorINS6_10device_ptrIKdEEEESL_NS6_8equal_toIdEEEENSG_9not_fun_tINSD_8identityEEEEENSD_19counting_iterator_tIlEES8_S8_S8_S8_S8_S8_S8_S8_EEEEPS9_S9_NSD_9__find_if7functorIS9_EEEE10hipError_tPvRmT1_T2_T3_mT4_P12ihipStream_tbEUlT_E0_NS1_11comp_targetILNS1_3genE4ELNS1_11target_archE910ELNS1_3gpuE8ELNS1_3repE0EEENS1_30default_config_static_selectorELNS0_4arch9wavefront6targetE0EEEvS14_ ; -- Begin function _ZN7rocprim17ROCPRIM_400000_NS6detail17trampoline_kernelINS0_14default_configENS1_22reduce_config_selectorIN6thrust23THRUST_200600_302600_NS5tupleIblNS6_9null_typeES8_S8_S8_S8_S8_S8_S8_EEEEZNS1_11reduce_implILb1ES3_NS6_12zip_iteratorINS7_INS6_11hip_rocprim26transform_input_iterator_tIbNSD_35transform_pair_of_input_iterators_tIbNS6_6detail15normal_iteratorINS6_10device_ptrIKdEEEESL_NS6_8equal_toIdEEEENSG_9not_fun_tINSD_8identityEEEEENSD_19counting_iterator_tIlEES8_S8_S8_S8_S8_S8_S8_S8_EEEEPS9_S9_NSD_9__find_if7functorIS9_EEEE10hipError_tPvRmT1_T2_T3_mT4_P12ihipStream_tbEUlT_E0_NS1_11comp_targetILNS1_3genE4ELNS1_11target_archE910ELNS1_3gpuE8ELNS1_3repE0EEENS1_30default_config_static_selectorELNS0_4arch9wavefront6targetE0EEEvS14_
	.globl	_ZN7rocprim17ROCPRIM_400000_NS6detail17trampoline_kernelINS0_14default_configENS1_22reduce_config_selectorIN6thrust23THRUST_200600_302600_NS5tupleIblNS6_9null_typeES8_S8_S8_S8_S8_S8_S8_EEEEZNS1_11reduce_implILb1ES3_NS6_12zip_iteratorINS7_INS6_11hip_rocprim26transform_input_iterator_tIbNSD_35transform_pair_of_input_iterators_tIbNS6_6detail15normal_iteratorINS6_10device_ptrIKdEEEESL_NS6_8equal_toIdEEEENSG_9not_fun_tINSD_8identityEEEEENSD_19counting_iterator_tIlEES8_S8_S8_S8_S8_S8_S8_S8_EEEEPS9_S9_NSD_9__find_if7functorIS9_EEEE10hipError_tPvRmT1_T2_T3_mT4_P12ihipStream_tbEUlT_E0_NS1_11comp_targetILNS1_3genE4ELNS1_11target_archE910ELNS1_3gpuE8ELNS1_3repE0EEENS1_30default_config_static_selectorELNS0_4arch9wavefront6targetE0EEEvS14_
	.p2align	8
	.type	_ZN7rocprim17ROCPRIM_400000_NS6detail17trampoline_kernelINS0_14default_configENS1_22reduce_config_selectorIN6thrust23THRUST_200600_302600_NS5tupleIblNS6_9null_typeES8_S8_S8_S8_S8_S8_S8_EEEEZNS1_11reduce_implILb1ES3_NS6_12zip_iteratorINS7_INS6_11hip_rocprim26transform_input_iterator_tIbNSD_35transform_pair_of_input_iterators_tIbNS6_6detail15normal_iteratorINS6_10device_ptrIKdEEEESL_NS6_8equal_toIdEEEENSG_9not_fun_tINSD_8identityEEEEENSD_19counting_iterator_tIlEES8_S8_S8_S8_S8_S8_S8_S8_EEEEPS9_S9_NSD_9__find_if7functorIS9_EEEE10hipError_tPvRmT1_T2_T3_mT4_P12ihipStream_tbEUlT_E0_NS1_11comp_targetILNS1_3genE4ELNS1_11target_archE910ELNS1_3gpuE8ELNS1_3repE0EEENS1_30default_config_static_selectorELNS0_4arch9wavefront6targetE0EEEvS14_,@function
_ZN7rocprim17ROCPRIM_400000_NS6detail17trampoline_kernelINS0_14default_configENS1_22reduce_config_selectorIN6thrust23THRUST_200600_302600_NS5tupleIblNS6_9null_typeES8_S8_S8_S8_S8_S8_S8_EEEEZNS1_11reduce_implILb1ES3_NS6_12zip_iteratorINS7_INS6_11hip_rocprim26transform_input_iterator_tIbNSD_35transform_pair_of_input_iterators_tIbNS6_6detail15normal_iteratorINS6_10device_ptrIKdEEEESL_NS6_8equal_toIdEEEENSG_9not_fun_tINSD_8identityEEEEENSD_19counting_iterator_tIlEES8_S8_S8_S8_S8_S8_S8_S8_EEEEPS9_S9_NSD_9__find_if7functorIS9_EEEE10hipError_tPvRmT1_T2_T3_mT4_P12ihipStream_tbEUlT_E0_NS1_11comp_targetILNS1_3genE4ELNS1_11target_archE910ELNS1_3gpuE8ELNS1_3repE0EEENS1_30default_config_static_selectorELNS0_4arch9wavefront6targetE0EEEvS14_: ; @_ZN7rocprim17ROCPRIM_400000_NS6detail17trampoline_kernelINS0_14default_configENS1_22reduce_config_selectorIN6thrust23THRUST_200600_302600_NS5tupleIblNS6_9null_typeES8_S8_S8_S8_S8_S8_S8_EEEEZNS1_11reduce_implILb1ES3_NS6_12zip_iteratorINS7_INS6_11hip_rocprim26transform_input_iterator_tIbNSD_35transform_pair_of_input_iterators_tIbNS6_6detail15normal_iteratorINS6_10device_ptrIKdEEEESL_NS6_8equal_toIdEEEENSG_9not_fun_tINSD_8identityEEEEENSD_19counting_iterator_tIlEES8_S8_S8_S8_S8_S8_S8_S8_EEEEPS9_S9_NSD_9__find_if7functorIS9_EEEE10hipError_tPvRmT1_T2_T3_mT4_P12ihipStream_tbEUlT_E0_NS1_11comp_targetILNS1_3genE4ELNS1_11target_archE910ELNS1_3gpuE8ELNS1_3repE0EEENS1_30default_config_static_selectorELNS0_4arch9wavefront6targetE0EEEvS14_
; %bb.0:
	.section	.rodata,"a",@progbits
	.p2align	6, 0x0
	.amdhsa_kernel _ZN7rocprim17ROCPRIM_400000_NS6detail17trampoline_kernelINS0_14default_configENS1_22reduce_config_selectorIN6thrust23THRUST_200600_302600_NS5tupleIblNS6_9null_typeES8_S8_S8_S8_S8_S8_S8_EEEEZNS1_11reduce_implILb1ES3_NS6_12zip_iteratorINS7_INS6_11hip_rocprim26transform_input_iterator_tIbNSD_35transform_pair_of_input_iterators_tIbNS6_6detail15normal_iteratorINS6_10device_ptrIKdEEEESL_NS6_8equal_toIdEEEENSG_9not_fun_tINSD_8identityEEEEENSD_19counting_iterator_tIlEES8_S8_S8_S8_S8_S8_S8_S8_EEEEPS9_S9_NSD_9__find_if7functorIS9_EEEE10hipError_tPvRmT1_T2_T3_mT4_P12ihipStream_tbEUlT_E0_NS1_11comp_targetILNS1_3genE4ELNS1_11target_archE910ELNS1_3gpuE8ELNS1_3repE0EEENS1_30default_config_static_selectorELNS0_4arch9wavefront6targetE0EEEvS14_
		.amdhsa_group_segment_fixed_size 0
		.amdhsa_private_segment_fixed_size 0
		.amdhsa_kernarg_size 104
		.amdhsa_user_sgpr_count 6
		.amdhsa_user_sgpr_private_segment_buffer 1
		.amdhsa_user_sgpr_dispatch_ptr 0
		.amdhsa_user_sgpr_queue_ptr 0
		.amdhsa_user_sgpr_kernarg_segment_ptr 1
		.amdhsa_user_sgpr_dispatch_id 0
		.amdhsa_user_sgpr_flat_scratch_init 0
		.amdhsa_user_sgpr_private_segment_size 0
		.amdhsa_wavefront_size32 1
		.amdhsa_uses_dynamic_stack 0
		.amdhsa_system_sgpr_private_segment_wavefront_offset 0
		.amdhsa_system_sgpr_workgroup_id_x 1
		.amdhsa_system_sgpr_workgroup_id_y 0
		.amdhsa_system_sgpr_workgroup_id_z 0
		.amdhsa_system_sgpr_workgroup_info 0
		.amdhsa_system_vgpr_workitem_id 0
		.amdhsa_next_free_vgpr 1
		.amdhsa_next_free_sgpr 1
		.amdhsa_reserve_vcc 0
		.amdhsa_reserve_flat_scratch 0
		.amdhsa_float_round_mode_32 0
		.amdhsa_float_round_mode_16_64 0
		.amdhsa_float_denorm_mode_32 3
		.amdhsa_float_denorm_mode_16_64 3
		.amdhsa_dx10_clamp 1
		.amdhsa_ieee_mode 1
		.amdhsa_fp16_overflow 0
		.amdhsa_workgroup_processor_mode 1
		.amdhsa_memory_ordered 1
		.amdhsa_forward_progress 1
		.amdhsa_shared_vgpr_count 0
		.amdhsa_exception_fp_ieee_invalid_op 0
		.amdhsa_exception_fp_denorm_src 0
		.amdhsa_exception_fp_ieee_div_zero 0
		.amdhsa_exception_fp_ieee_overflow 0
		.amdhsa_exception_fp_ieee_underflow 0
		.amdhsa_exception_fp_ieee_inexact 0
		.amdhsa_exception_int_div_zero 0
	.end_amdhsa_kernel
	.section	.text._ZN7rocprim17ROCPRIM_400000_NS6detail17trampoline_kernelINS0_14default_configENS1_22reduce_config_selectorIN6thrust23THRUST_200600_302600_NS5tupleIblNS6_9null_typeES8_S8_S8_S8_S8_S8_S8_EEEEZNS1_11reduce_implILb1ES3_NS6_12zip_iteratorINS7_INS6_11hip_rocprim26transform_input_iterator_tIbNSD_35transform_pair_of_input_iterators_tIbNS6_6detail15normal_iteratorINS6_10device_ptrIKdEEEESL_NS6_8equal_toIdEEEENSG_9not_fun_tINSD_8identityEEEEENSD_19counting_iterator_tIlEES8_S8_S8_S8_S8_S8_S8_S8_EEEEPS9_S9_NSD_9__find_if7functorIS9_EEEE10hipError_tPvRmT1_T2_T3_mT4_P12ihipStream_tbEUlT_E0_NS1_11comp_targetILNS1_3genE4ELNS1_11target_archE910ELNS1_3gpuE8ELNS1_3repE0EEENS1_30default_config_static_selectorELNS0_4arch9wavefront6targetE0EEEvS14_,"axG",@progbits,_ZN7rocprim17ROCPRIM_400000_NS6detail17trampoline_kernelINS0_14default_configENS1_22reduce_config_selectorIN6thrust23THRUST_200600_302600_NS5tupleIblNS6_9null_typeES8_S8_S8_S8_S8_S8_S8_EEEEZNS1_11reduce_implILb1ES3_NS6_12zip_iteratorINS7_INS6_11hip_rocprim26transform_input_iterator_tIbNSD_35transform_pair_of_input_iterators_tIbNS6_6detail15normal_iteratorINS6_10device_ptrIKdEEEESL_NS6_8equal_toIdEEEENSG_9not_fun_tINSD_8identityEEEEENSD_19counting_iterator_tIlEES8_S8_S8_S8_S8_S8_S8_S8_EEEEPS9_S9_NSD_9__find_if7functorIS9_EEEE10hipError_tPvRmT1_T2_T3_mT4_P12ihipStream_tbEUlT_E0_NS1_11comp_targetILNS1_3genE4ELNS1_11target_archE910ELNS1_3gpuE8ELNS1_3repE0EEENS1_30default_config_static_selectorELNS0_4arch9wavefront6targetE0EEEvS14_,comdat
.Lfunc_end39:
	.size	_ZN7rocprim17ROCPRIM_400000_NS6detail17trampoline_kernelINS0_14default_configENS1_22reduce_config_selectorIN6thrust23THRUST_200600_302600_NS5tupleIblNS6_9null_typeES8_S8_S8_S8_S8_S8_S8_EEEEZNS1_11reduce_implILb1ES3_NS6_12zip_iteratorINS7_INS6_11hip_rocprim26transform_input_iterator_tIbNSD_35transform_pair_of_input_iterators_tIbNS6_6detail15normal_iteratorINS6_10device_ptrIKdEEEESL_NS6_8equal_toIdEEEENSG_9not_fun_tINSD_8identityEEEEENSD_19counting_iterator_tIlEES8_S8_S8_S8_S8_S8_S8_S8_EEEEPS9_S9_NSD_9__find_if7functorIS9_EEEE10hipError_tPvRmT1_T2_T3_mT4_P12ihipStream_tbEUlT_E0_NS1_11comp_targetILNS1_3genE4ELNS1_11target_archE910ELNS1_3gpuE8ELNS1_3repE0EEENS1_30default_config_static_selectorELNS0_4arch9wavefront6targetE0EEEvS14_, .Lfunc_end39-_ZN7rocprim17ROCPRIM_400000_NS6detail17trampoline_kernelINS0_14default_configENS1_22reduce_config_selectorIN6thrust23THRUST_200600_302600_NS5tupleIblNS6_9null_typeES8_S8_S8_S8_S8_S8_S8_EEEEZNS1_11reduce_implILb1ES3_NS6_12zip_iteratorINS7_INS6_11hip_rocprim26transform_input_iterator_tIbNSD_35transform_pair_of_input_iterators_tIbNS6_6detail15normal_iteratorINS6_10device_ptrIKdEEEESL_NS6_8equal_toIdEEEENSG_9not_fun_tINSD_8identityEEEEENSD_19counting_iterator_tIlEES8_S8_S8_S8_S8_S8_S8_S8_EEEEPS9_S9_NSD_9__find_if7functorIS9_EEEE10hipError_tPvRmT1_T2_T3_mT4_P12ihipStream_tbEUlT_E0_NS1_11comp_targetILNS1_3genE4ELNS1_11target_archE910ELNS1_3gpuE8ELNS1_3repE0EEENS1_30default_config_static_selectorELNS0_4arch9wavefront6targetE0EEEvS14_
                                        ; -- End function
	.set _ZN7rocprim17ROCPRIM_400000_NS6detail17trampoline_kernelINS0_14default_configENS1_22reduce_config_selectorIN6thrust23THRUST_200600_302600_NS5tupleIblNS6_9null_typeES8_S8_S8_S8_S8_S8_S8_EEEEZNS1_11reduce_implILb1ES3_NS6_12zip_iteratorINS7_INS6_11hip_rocprim26transform_input_iterator_tIbNSD_35transform_pair_of_input_iterators_tIbNS6_6detail15normal_iteratorINS6_10device_ptrIKdEEEESL_NS6_8equal_toIdEEEENSG_9not_fun_tINSD_8identityEEEEENSD_19counting_iterator_tIlEES8_S8_S8_S8_S8_S8_S8_S8_EEEEPS9_S9_NSD_9__find_if7functorIS9_EEEE10hipError_tPvRmT1_T2_T3_mT4_P12ihipStream_tbEUlT_E0_NS1_11comp_targetILNS1_3genE4ELNS1_11target_archE910ELNS1_3gpuE8ELNS1_3repE0EEENS1_30default_config_static_selectorELNS0_4arch9wavefront6targetE0EEEvS14_.num_vgpr, 0
	.set _ZN7rocprim17ROCPRIM_400000_NS6detail17trampoline_kernelINS0_14default_configENS1_22reduce_config_selectorIN6thrust23THRUST_200600_302600_NS5tupleIblNS6_9null_typeES8_S8_S8_S8_S8_S8_S8_EEEEZNS1_11reduce_implILb1ES3_NS6_12zip_iteratorINS7_INS6_11hip_rocprim26transform_input_iterator_tIbNSD_35transform_pair_of_input_iterators_tIbNS6_6detail15normal_iteratorINS6_10device_ptrIKdEEEESL_NS6_8equal_toIdEEEENSG_9not_fun_tINSD_8identityEEEEENSD_19counting_iterator_tIlEES8_S8_S8_S8_S8_S8_S8_S8_EEEEPS9_S9_NSD_9__find_if7functorIS9_EEEE10hipError_tPvRmT1_T2_T3_mT4_P12ihipStream_tbEUlT_E0_NS1_11comp_targetILNS1_3genE4ELNS1_11target_archE910ELNS1_3gpuE8ELNS1_3repE0EEENS1_30default_config_static_selectorELNS0_4arch9wavefront6targetE0EEEvS14_.num_agpr, 0
	.set _ZN7rocprim17ROCPRIM_400000_NS6detail17trampoline_kernelINS0_14default_configENS1_22reduce_config_selectorIN6thrust23THRUST_200600_302600_NS5tupleIblNS6_9null_typeES8_S8_S8_S8_S8_S8_S8_EEEEZNS1_11reduce_implILb1ES3_NS6_12zip_iteratorINS7_INS6_11hip_rocprim26transform_input_iterator_tIbNSD_35transform_pair_of_input_iterators_tIbNS6_6detail15normal_iteratorINS6_10device_ptrIKdEEEESL_NS6_8equal_toIdEEEENSG_9not_fun_tINSD_8identityEEEEENSD_19counting_iterator_tIlEES8_S8_S8_S8_S8_S8_S8_S8_EEEEPS9_S9_NSD_9__find_if7functorIS9_EEEE10hipError_tPvRmT1_T2_T3_mT4_P12ihipStream_tbEUlT_E0_NS1_11comp_targetILNS1_3genE4ELNS1_11target_archE910ELNS1_3gpuE8ELNS1_3repE0EEENS1_30default_config_static_selectorELNS0_4arch9wavefront6targetE0EEEvS14_.numbered_sgpr, 0
	.set _ZN7rocprim17ROCPRIM_400000_NS6detail17trampoline_kernelINS0_14default_configENS1_22reduce_config_selectorIN6thrust23THRUST_200600_302600_NS5tupleIblNS6_9null_typeES8_S8_S8_S8_S8_S8_S8_EEEEZNS1_11reduce_implILb1ES3_NS6_12zip_iteratorINS7_INS6_11hip_rocprim26transform_input_iterator_tIbNSD_35transform_pair_of_input_iterators_tIbNS6_6detail15normal_iteratorINS6_10device_ptrIKdEEEESL_NS6_8equal_toIdEEEENSG_9not_fun_tINSD_8identityEEEEENSD_19counting_iterator_tIlEES8_S8_S8_S8_S8_S8_S8_S8_EEEEPS9_S9_NSD_9__find_if7functorIS9_EEEE10hipError_tPvRmT1_T2_T3_mT4_P12ihipStream_tbEUlT_E0_NS1_11comp_targetILNS1_3genE4ELNS1_11target_archE910ELNS1_3gpuE8ELNS1_3repE0EEENS1_30default_config_static_selectorELNS0_4arch9wavefront6targetE0EEEvS14_.num_named_barrier, 0
	.set _ZN7rocprim17ROCPRIM_400000_NS6detail17trampoline_kernelINS0_14default_configENS1_22reduce_config_selectorIN6thrust23THRUST_200600_302600_NS5tupleIblNS6_9null_typeES8_S8_S8_S8_S8_S8_S8_EEEEZNS1_11reduce_implILb1ES3_NS6_12zip_iteratorINS7_INS6_11hip_rocprim26transform_input_iterator_tIbNSD_35transform_pair_of_input_iterators_tIbNS6_6detail15normal_iteratorINS6_10device_ptrIKdEEEESL_NS6_8equal_toIdEEEENSG_9not_fun_tINSD_8identityEEEEENSD_19counting_iterator_tIlEES8_S8_S8_S8_S8_S8_S8_S8_EEEEPS9_S9_NSD_9__find_if7functorIS9_EEEE10hipError_tPvRmT1_T2_T3_mT4_P12ihipStream_tbEUlT_E0_NS1_11comp_targetILNS1_3genE4ELNS1_11target_archE910ELNS1_3gpuE8ELNS1_3repE0EEENS1_30default_config_static_selectorELNS0_4arch9wavefront6targetE0EEEvS14_.private_seg_size, 0
	.set _ZN7rocprim17ROCPRIM_400000_NS6detail17trampoline_kernelINS0_14default_configENS1_22reduce_config_selectorIN6thrust23THRUST_200600_302600_NS5tupleIblNS6_9null_typeES8_S8_S8_S8_S8_S8_S8_EEEEZNS1_11reduce_implILb1ES3_NS6_12zip_iteratorINS7_INS6_11hip_rocprim26transform_input_iterator_tIbNSD_35transform_pair_of_input_iterators_tIbNS6_6detail15normal_iteratorINS6_10device_ptrIKdEEEESL_NS6_8equal_toIdEEEENSG_9not_fun_tINSD_8identityEEEEENSD_19counting_iterator_tIlEES8_S8_S8_S8_S8_S8_S8_S8_EEEEPS9_S9_NSD_9__find_if7functorIS9_EEEE10hipError_tPvRmT1_T2_T3_mT4_P12ihipStream_tbEUlT_E0_NS1_11comp_targetILNS1_3genE4ELNS1_11target_archE910ELNS1_3gpuE8ELNS1_3repE0EEENS1_30default_config_static_selectorELNS0_4arch9wavefront6targetE0EEEvS14_.uses_vcc, 0
	.set _ZN7rocprim17ROCPRIM_400000_NS6detail17trampoline_kernelINS0_14default_configENS1_22reduce_config_selectorIN6thrust23THRUST_200600_302600_NS5tupleIblNS6_9null_typeES8_S8_S8_S8_S8_S8_S8_EEEEZNS1_11reduce_implILb1ES3_NS6_12zip_iteratorINS7_INS6_11hip_rocprim26transform_input_iterator_tIbNSD_35transform_pair_of_input_iterators_tIbNS6_6detail15normal_iteratorINS6_10device_ptrIKdEEEESL_NS6_8equal_toIdEEEENSG_9not_fun_tINSD_8identityEEEEENSD_19counting_iterator_tIlEES8_S8_S8_S8_S8_S8_S8_S8_EEEEPS9_S9_NSD_9__find_if7functorIS9_EEEE10hipError_tPvRmT1_T2_T3_mT4_P12ihipStream_tbEUlT_E0_NS1_11comp_targetILNS1_3genE4ELNS1_11target_archE910ELNS1_3gpuE8ELNS1_3repE0EEENS1_30default_config_static_selectorELNS0_4arch9wavefront6targetE0EEEvS14_.uses_flat_scratch, 0
	.set _ZN7rocprim17ROCPRIM_400000_NS6detail17trampoline_kernelINS0_14default_configENS1_22reduce_config_selectorIN6thrust23THRUST_200600_302600_NS5tupleIblNS6_9null_typeES8_S8_S8_S8_S8_S8_S8_EEEEZNS1_11reduce_implILb1ES3_NS6_12zip_iteratorINS7_INS6_11hip_rocprim26transform_input_iterator_tIbNSD_35transform_pair_of_input_iterators_tIbNS6_6detail15normal_iteratorINS6_10device_ptrIKdEEEESL_NS6_8equal_toIdEEEENSG_9not_fun_tINSD_8identityEEEEENSD_19counting_iterator_tIlEES8_S8_S8_S8_S8_S8_S8_S8_EEEEPS9_S9_NSD_9__find_if7functorIS9_EEEE10hipError_tPvRmT1_T2_T3_mT4_P12ihipStream_tbEUlT_E0_NS1_11comp_targetILNS1_3genE4ELNS1_11target_archE910ELNS1_3gpuE8ELNS1_3repE0EEENS1_30default_config_static_selectorELNS0_4arch9wavefront6targetE0EEEvS14_.has_dyn_sized_stack, 0
	.set _ZN7rocprim17ROCPRIM_400000_NS6detail17trampoline_kernelINS0_14default_configENS1_22reduce_config_selectorIN6thrust23THRUST_200600_302600_NS5tupleIblNS6_9null_typeES8_S8_S8_S8_S8_S8_S8_EEEEZNS1_11reduce_implILb1ES3_NS6_12zip_iteratorINS7_INS6_11hip_rocprim26transform_input_iterator_tIbNSD_35transform_pair_of_input_iterators_tIbNS6_6detail15normal_iteratorINS6_10device_ptrIKdEEEESL_NS6_8equal_toIdEEEENSG_9not_fun_tINSD_8identityEEEEENSD_19counting_iterator_tIlEES8_S8_S8_S8_S8_S8_S8_S8_EEEEPS9_S9_NSD_9__find_if7functorIS9_EEEE10hipError_tPvRmT1_T2_T3_mT4_P12ihipStream_tbEUlT_E0_NS1_11comp_targetILNS1_3genE4ELNS1_11target_archE910ELNS1_3gpuE8ELNS1_3repE0EEENS1_30default_config_static_selectorELNS0_4arch9wavefront6targetE0EEEvS14_.has_recursion, 0
	.set _ZN7rocprim17ROCPRIM_400000_NS6detail17trampoline_kernelINS0_14default_configENS1_22reduce_config_selectorIN6thrust23THRUST_200600_302600_NS5tupleIblNS6_9null_typeES8_S8_S8_S8_S8_S8_S8_EEEEZNS1_11reduce_implILb1ES3_NS6_12zip_iteratorINS7_INS6_11hip_rocprim26transform_input_iterator_tIbNSD_35transform_pair_of_input_iterators_tIbNS6_6detail15normal_iteratorINS6_10device_ptrIKdEEEESL_NS6_8equal_toIdEEEENSG_9not_fun_tINSD_8identityEEEEENSD_19counting_iterator_tIlEES8_S8_S8_S8_S8_S8_S8_S8_EEEEPS9_S9_NSD_9__find_if7functorIS9_EEEE10hipError_tPvRmT1_T2_T3_mT4_P12ihipStream_tbEUlT_E0_NS1_11comp_targetILNS1_3genE4ELNS1_11target_archE910ELNS1_3gpuE8ELNS1_3repE0EEENS1_30default_config_static_selectorELNS0_4arch9wavefront6targetE0EEEvS14_.has_indirect_call, 0
	.section	.AMDGPU.csdata,"",@progbits
; Kernel info:
; codeLenInByte = 0
; TotalNumSgprs: 0
; NumVgprs: 0
; ScratchSize: 0
; MemoryBound: 0
; FloatMode: 240
; IeeeMode: 1
; LDSByteSize: 0 bytes/workgroup (compile time only)
; SGPRBlocks: 0
; VGPRBlocks: 0
; NumSGPRsForWavesPerEU: 1
; NumVGPRsForWavesPerEU: 1
; Occupancy: 16
; WaveLimiterHint : 0
; COMPUTE_PGM_RSRC2:SCRATCH_EN: 0
; COMPUTE_PGM_RSRC2:USER_SGPR: 6
; COMPUTE_PGM_RSRC2:TRAP_HANDLER: 0
; COMPUTE_PGM_RSRC2:TGID_X_EN: 1
; COMPUTE_PGM_RSRC2:TGID_Y_EN: 0
; COMPUTE_PGM_RSRC2:TGID_Z_EN: 0
; COMPUTE_PGM_RSRC2:TIDIG_COMP_CNT: 0
	.section	.text._ZN7rocprim17ROCPRIM_400000_NS6detail17trampoline_kernelINS0_14default_configENS1_22reduce_config_selectorIN6thrust23THRUST_200600_302600_NS5tupleIblNS6_9null_typeES8_S8_S8_S8_S8_S8_S8_EEEEZNS1_11reduce_implILb1ES3_NS6_12zip_iteratorINS7_INS6_11hip_rocprim26transform_input_iterator_tIbNSD_35transform_pair_of_input_iterators_tIbNS6_6detail15normal_iteratorINS6_10device_ptrIKdEEEESL_NS6_8equal_toIdEEEENSG_9not_fun_tINSD_8identityEEEEENSD_19counting_iterator_tIlEES8_S8_S8_S8_S8_S8_S8_S8_EEEEPS9_S9_NSD_9__find_if7functorIS9_EEEE10hipError_tPvRmT1_T2_T3_mT4_P12ihipStream_tbEUlT_E0_NS1_11comp_targetILNS1_3genE3ELNS1_11target_archE908ELNS1_3gpuE7ELNS1_3repE0EEENS1_30default_config_static_selectorELNS0_4arch9wavefront6targetE0EEEvS14_,"axG",@progbits,_ZN7rocprim17ROCPRIM_400000_NS6detail17trampoline_kernelINS0_14default_configENS1_22reduce_config_selectorIN6thrust23THRUST_200600_302600_NS5tupleIblNS6_9null_typeES8_S8_S8_S8_S8_S8_S8_EEEEZNS1_11reduce_implILb1ES3_NS6_12zip_iteratorINS7_INS6_11hip_rocprim26transform_input_iterator_tIbNSD_35transform_pair_of_input_iterators_tIbNS6_6detail15normal_iteratorINS6_10device_ptrIKdEEEESL_NS6_8equal_toIdEEEENSG_9not_fun_tINSD_8identityEEEEENSD_19counting_iterator_tIlEES8_S8_S8_S8_S8_S8_S8_S8_EEEEPS9_S9_NSD_9__find_if7functorIS9_EEEE10hipError_tPvRmT1_T2_T3_mT4_P12ihipStream_tbEUlT_E0_NS1_11comp_targetILNS1_3genE3ELNS1_11target_archE908ELNS1_3gpuE7ELNS1_3repE0EEENS1_30default_config_static_selectorELNS0_4arch9wavefront6targetE0EEEvS14_,comdat
	.protected	_ZN7rocprim17ROCPRIM_400000_NS6detail17trampoline_kernelINS0_14default_configENS1_22reduce_config_selectorIN6thrust23THRUST_200600_302600_NS5tupleIblNS6_9null_typeES8_S8_S8_S8_S8_S8_S8_EEEEZNS1_11reduce_implILb1ES3_NS6_12zip_iteratorINS7_INS6_11hip_rocprim26transform_input_iterator_tIbNSD_35transform_pair_of_input_iterators_tIbNS6_6detail15normal_iteratorINS6_10device_ptrIKdEEEESL_NS6_8equal_toIdEEEENSG_9not_fun_tINSD_8identityEEEEENSD_19counting_iterator_tIlEES8_S8_S8_S8_S8_S8_S8_S8_EEEEPS9_S9_NSD_9__find_if7functorIS9_EEEE10hipError_tPvRmT1_T2_T3_mT4_P12ihipStream_tbEUlT_E0_NS1_11comp_targetILNS1_3genE3ELNS1_11target_archE908ELNS1_3gpuE7ELNS1_3repE0EEENS1_30default_config_static_selectorELNS0_4arch9wavefront6targetE0EEEvS14_ ; -- Begin function _ZN7rocprim17ROCPRIM_400000_NS6detail17trampoline_kernelINS0_14default_configENS1_22reduce_config_selectorIN6thrust23THRUST_200600_302600_NS5tupleIblNS6_9null_typeES8_S8_S8_S8_S8_S8_S8_EEEEZNS1_11reduce_implILb1ES3_NS6_12zip_iteratorINS7_INS6_11hip_rocprim26transform_input_iterator_tIbNSD_35transform_pair_of_input_iterators_tIbNS6_6detail15normal_iteratorINS6_10device_ptrIKdEEEESL_NS6_8equal_toIdEEEENSG_9not_fun_tINSD_8identityEEEEENSD_19counting_iterator_tIlEES8_S8_S8_S8_S8_S8_S8_S8_EEEEPS9_S9_NSD_9__find_if7functorIS9_EEEE10hipError_tPvRmT1_T2_T3_mT4_P12ihipStream_tbEUlT_E0_NS1_11comp_targetILNS1_3genE3ELNS1_11target_archE908ELNS1_3gpuE7ELNS1_3repE0EEENS1_30default_config_static_selectorELNS0_4arch9wavefront6targetE0EEEvS14_
	.globl	_ZN7rocprim17ROCPRIM_400000_NS6detail17trampoline_kernelINS0_14default_configENS1_22reduce_config_selectorIN6thrust23THRUST_200600_302600_NS5tupleIblNS6_9null_typeES8_S8_S8_S8_S8_S8_S8_EEEEZNS1_11reduce_implILb1ES3_NS6_12zip_iteratorINS7_INS6_11hip_rocprim26transform_input_iterator_tIbNSD_35transform_pair_of_input_iterators_tIbNS6_6detail15normal_iteratorINS6_10device_ptrIKdEEEESL_NS6_8equal_toIdEEEENSG_9not_fun_tINSD_8identityEEEEENSD_19counting_iterator_tIlEES8_S8_S8_S8_S8_S8_S8_S8_EEEEPS9_S9_NSD_9__find_if7functorIS9_EEEE10hipError_tPvRmT1_T2_T3_mT4_P12ihipStream_tbEUlT_E0_NS1_11comp_targetILNS1_3genE3ELNS1_11target_archE908ELNS1_3gpuE7ELNS1_3repE0EEENS1_30default_config_static_selectorELNS0_4arch9wavefront6targetE0EEEvS14_
	.p2align	8
	.type	_ZN7rocprim17ROCPRIM_400000_NS6detail17trampoline_kernelINS0_14default_configENS1_22reduce_config_selectorIN6thrust23THRUST_200600_302600_NS5tupleIblNS6_9null_typeES8_S8_S8_S8_S8_S8_S8_EEEEZNS1_11reduce_implILb1ES3_NS6_12zip_iteratorINS7_INS6_11hip_rocprim26transform_input_iterator_tIbNSD_35transform_pair_of_input_iterators_tIbNS6_6detail15normal_iteratorINS6_10device_ptrIKdEEEESL_NS6_8equal_toIdEEEENSG_9not_fun_tINSD_8identityEEEEENSD_19counting_iterator_tIlEES8_S8_S8_S8_S8_S8_S8_S8_EEEEPS9_S9_NSD_9__find_if7functorIS9_EEEE10hipError_tPvRmT1_T2_T3_mT4_P12ihipStream_tbEUlT_E0_NS1_11comp_targetILNS1_3genE3ELNS1_11target_archE908ELNS1_3gpuE7ELNS1_3repE0EEENS1_30default_config_static_selectorELNS0_4arch9wavefront6targetE0EEEvS14_,@function
_ZN7rocprim17ROCPRIM_400000_NS6detail17trampoline_kernelINS0_14default_configENS1_22reduce_config_selectorIN6thrust23THRUST_200600_302600_NS5tupleIblNS6_9null_typeES8_S8_S8_S8_S8_S8_S8_EEEEZNS1_11reduce_implILb1ES3_NS6_12zip_iteratorINS7_INS6_11hip_rocprim26transform_input_iterator_tIbNSD_35transform_pair_of_input_iterators_tIbNS6_6detail15normal_iteratorINS6_10device_ptrIKdEEEESL_NS6_8equal_toIdEEEENSG_9not_fun_tINSD_8identityEEEEENSD_19counting_iterator_tIlEES8_S8_S8_S8_S8_S8_S8_S8_EEEEPS9_S9_NSD_9__find_if7functorIS9_EEEE10hipError_tPvRmT1_T2_T3_mT4_P12ihipStream_tbEUlT_E0_NS1_11comp_targetILNS1_3genE3ELNS1_11target_archE908ELNS1_3gpuE7ELNS1_3repE0EEENS1_30default_config_static_selectorELNS0_4arch9wavefront6targetE0EEEvS14_: ; @_ZN7rocprim17ROCPRIM_400000_NS6detail17trampoline_kernelINS0_14default_configENS1_22reduce_config_selectorIN6thrust23THRUST_200600_302600_NS5tupleIblNS6_9null_typeES8_S8_S8_S8_S8_S8_S8_EEEEZNS1_11reduce_implILb1ES3_NS6_12zip_iteratorINS7_INS6_11hip_rocprim26transform_input_iterator_tIbNSD_35transform_pair_of_input_iterators_tIbNS6_6detail15normal_iteratorINS6_10device_ptrIKdEEEESL_NS6_8equal_toIdEEEENSG_9not_fun_tINSD_8identityEEEEENSD_19counting_iterator_tIlEES8_S8_S8_S8_S8_S8_S8_S8_EEEEPS9_S9_NSD_9__find_if7functorIS9_EEEE10hipError_tPvRmT1_T2_T3_mT4_P12ihipStream_tbEUlT_E0_NS1_11comp_targetILNS1_3genE3ELNS1_11target_archE908ELNS1_3gpuE7ELNS1_3repE0EEENS1_30default_config_static_selectorELNS0_4arch9wavefront6targetE0EEEvS14_
; %bb.0:
	.section	.rodata,"a",@progbits
	.p2align	6, 0x0
	.amdhsa_kernel _ZN7rocprim17ROCPRIM_400000_NS6detail17trampoline_kernelINS0_14default_configENS1_22reduce_config_selectorIN6thrust23THRUST_200600_302600_NS5tupleIblNS6_9null_typeES8_S8_S8_S8_S8_S8_S8_EEEEZNS1_11reduce_implILb1ES3_NS6_12zip_iteratorINS7_INS6_11hip_rocprim26transform_input_iterator_tIbNSD_35transform_pair_of_input_iterators_tIbNS6_6detail15normal_iteratorINS6_10device_ptrIKdEEEESL_NS6_8equal_toIdEEEENSG_9not_fun_tINSD_8identityEEEEENSD_19counting_iterator_tIlEES8_S8_S8_S8_S8_S8_S8_S8_EEEEPS9_S9_NSD_9__find_if7functorIS9_EEEE10hipError_tPvRmT1_T2_T3_mT4_P12ihipStream_tbEUlT_E0_NS1_11comp_targetILNS1_3genE3ELNS1_11target_archE908ELNS1_3gpuE7ELNS1_3repE0EEENS1_30default_config_static_selectorELNS0_4arch9wavefront6targetE0EEEvS14_
		.amdhsa_group_segment_fixed_size 0
		.amdhsa_private_segment_fixed_size 0
		.amdhsa_kernarg_size 104
		.amdhsa_user_sgpr_count 6
		.amdhsa_user_sgpr_private_segment_buffer 1
		.amdhsa_user_sgpr_dispatch_ptr 0
		.amdhsa_user_sgpr_queue_ptr 0
		.amdhsa_user_sgpr_kernarg_segment_ptr 1
		.amdhsa_user_sgpr_dispatch_id 0
		.amdhsa_user_sgpr_flat_scratch_init 0
		.amdhsa_user_sgpr_private_segment_size 0
		.amdhsa_wavefront_size32 1
		.amdhsa_uses_dynamic_stack 0
		.amdhsa_system_sgpr_private_segment_wavefront_offset 0
		.amdhsa_system_sgpr_workgroup_id_x 1
		.amdhsa_system_sgpr_workgroup_id_y 0
		.amdhsa_system_sgpr_workgroup_id_z 0
		.amdhsa_system_sgpr_workgroup_info 0
		.amdhsa_system_vgpr_workitem_id 0
		.amdhsa_next_free_vgpr 1
		.amdhsa_next_free_sgpr 1
		.amdhsa_reserve_vcc 0
		.amdhsa_reserve_flat_scratch 0
		.amdhsa_float_round_mode_32 0
		.amdhsa_float_round_mode_16_64 0
		.amdhsa_float_denorm_mode_32 3
		.amdhsa_float_denorm_mode_16_64 3
		.amdhsa_dx10_clamp 1
		.amdhsa_ieee_mode 1
		.amdhsa_fp16_overflow 0
		.amdhsa_workgroup_processor_mode 1
		.amdhsa_memory_ordered 1
		.amdhsa_forward_progress 1
		.amdhsa_shared_vgpr_count 0
		.amdhsa_exception_fp_ieee_invalid_op 0
		.amdhsa_exception_fp_denorm_src 0
		.amdhsa_exception_fp_ieee_div_zero 0
		.amdhsa_exception_fp_ieee_overflow 0
		.amdhsa_exception_fp_ieee_underflow 0
		.amdhsa_exception_fp_ieee_inexact 0
		.amdhsa_exception_int_div_zero 0
	.end_amdhsa_kernel
	.section	.text._ZN7rocprim17ROCPRIM_400000_NS6detail17trampoline_kernelINS0_14default_configENS1_22reduce_config_selectorIN6thrust23THRUST_200600_302600_NS5tupleIblNS6_9null_typeES8_S8_S8_S8_S8_S8_S8_EEEEZNS1_11reduce_implILb1ES3_NS6_12zip_iteratorINS7_INS6_11hip_rocprim26transform_input_iterator_tIbNSD_35transform_pair_of_input_iterators_tIbNS6_6detail15normal_iteratorINS6_10device_ptrIKdEEEESL_NS6_8equal_toIdEEEENSG_9not_fun_tINSD_8identityEEEEENSD_19counting_iterator_tIlEES8_S8_S8_S8_S8_S8_S8_S8_EEEEPS9_S9_NSD_9__find_if7functorIS9_EEEE10hipError_tPvRmT1_T2_T3_mT4_P12ihipStream_tbEUlT_E0_NS1_11comp_targetILNS1_3genE3ELNS1_11target_archE908ELNS1_3gpuE7ELNS1_3repE0EEENS1_30default_config_static_selectorELNS0_4arch9wavefront6targetE0EEEvS14_,"axG",@progbits,_ZN7rocprim17ROCPRIM_400000_NS6detail17trampoline_kernelINS0_14default_configENS1_22reduce_config_selectorIN6thrust23THRUST_200600_302600_NS5tupleIblNS6_9null_typeES8_S8_S8_S8_S8_S8_S8_EEEEZNS1_11reduce_implILb1ES3_NS6_12zip_iteratorINS7_INS6_11hip_rocprim26transform_input_iterator_tIbNSD_35transform_pair_of_input_iterators_tIbNS6_6detail15normal_iteratorINS6_10device_ptrIKdEEEESL_NS6_8equal_toIdEEEENSG_9not_fun_tINSD_8identityEEEEENSD_19counting_iterator_tIlEES8_S8_S8_S8_S8_S8_S8_S8_EEEEPS9_S9_NSD_9__find_if7functorIS9_EEEE10hipError_tPvRmT1_T2_T3_mT4_P12ihipStream_tbEUlT_E0_NS1_11comp_targetILNS1_3genE3ELNS1_11target_archE908ELNS1_3gpuE7ELNS1_3repE0EEENS1_30default_config_static_selectorELNS0_4arch9wavefront6targetE0EEEvS14_,comdat
.Lfunc_end40:
	.size	_ZN7rocprim17ROCPRIM_400000_NS6detail17trampoline_kernelINS0_14default_configENS1_22reduce_config_selectorIN6thrust23THRUST_200600_302600_NS5tupleIblNS6_9null_typeES8_S8_S8_S8_S8_S8_S8_EEEEZNS1_11reduce_implILb1ES3_NS6_12zip_iteratorINS7_INS6_11hip_rocprim26transform_input_iterator_tIbNSD_35transform_pair_of_input_iterators_tIbNS6_6detail15normal_iteratorINS6_10device_ptrIKdEEEESL_NS6_8equal_toIdEEEENSG_9not_fun_tINSD_8identityEEEEENSD_19counting_iterator_tIlEES8_S8_S8_S8_S8_S8_S8_S8_EEEEPS9_S9_NSD_9__find_if7functorIS9_EEEE10hipError_tPvRmT1_T2_T3_mT4_P12ihipStream_tbEUlT_E0_NS1_11comp_targetILNS1_3genE3ELNS1_11target_archE908ELNS1_3gpuE7ELNS1_3repE0EEENS1_30default_config_static_selectorELNS0_4arch9wavefront6targetE0EEEvS14_, .Lfunc_end40-_ZN7rocprim17ROCPRIM_400000_NS6detail17trampoline_kernelINS0_14default_configENS1_22reduce_config_selectorIN6thrust23THRUST_200600_302600_NS5tupleIblNS6_9null_typeES8_S8_S8_S8_S8_S8_S8_EEEEZNS1_11reduce_implILb1ES3_NS6_12zip_iteratorINS7_INS6_11hip_rocprim26transform_input_iterator_tIbNSD_35transform_pair_of_input_iterators_tIbNS6_6detail15normal_iteratorINS6_10device_ptrIKdEEEESL_NS6_8equal_toIdEEEENSG_9not_fun_tINSD_8identityEEEEENSD_19counting_iterator_tIlEES8_S8_S8_S8_S8_S8_S8_S8_EEEEPS9_S9_NSD_9__find_if7functorIS9_EEEE10hipError_tPvRmT1_T2_T3_mT4_P12ihipStream_tbEUlT_E0_NS1_11comp_targetILNS1_3genE3ELNS1_11target_archE908ELNS1_3gpuE7ELNS1_3repE0EEENS1_30default_config_static_selectorELNS0_4arch9wavefront6targetE0EEEvS14_
                                        ; -- End function
	.set _ZN7rocprim17ROCPRIM_400000_NS6detail17trampoline_kernelINS0_14default_configENS1_22reduce_config_selectorIN6thrust23THRUST_200600_302600_NS5tupleIblNS6_9null_typeES8_S8_S8_S8_S8_S8_S8_EEEEZNS1_11reduce_implILb1ES3_NS6_12zip_iteratorINS7_INS6_11hip_rocprim26transform_input_iterator_tIbNSD_35transform_pair_of_input_iterators_tIbNS6_6detail15normal_iteratorINS6_10device_ptrIKdEEEESL_NS6_8equal_toIdEEEENSG_9not_fun_tINSD_8identityEEEEENSD_19counting_iterator_tIlEES8_S8_S8_S8_S8_S8_S8_S8_EEEEPS9_S9_NSD_9__find_if7functorIS9_EEEE10hipError_tPvRmT1_T2_T3_mT4_P12ihipStream_tbEUlT_E0_NS1_11comp_targetILNS1_3genE3ELNS1_11target_archE908ELNS1_3gpuE7ELNS1_3repE0EEENS1_30default_config_static_selectorELNS0_4arch9wavefront6targetE0EEEvS14_.num_vgpr, 0
	.set _ZN7rocprim17ROCPRIM_400000_NS6detail17trampoline_kernelINS0_14default_configENS1_22reduce_config_selectorIN6thrust23THRUST_200600_302600_NS5tupleIblNS6_9null_typeES8_S8_S8_S8_S8_S8_S8_EEEEZNS1_11reduce_implILb1ES3_NS6_12zip_iteratorINS7_INS6_11hip_rocprim26transform_input_iterator_tIbNSD_35transform_pair_of_input_iterators_tIbNS6_6detail15normal_iteratorINS6_10device_ptrIKdEEEESL_NS6_8equal_toIdEEEENSG_9not_fun_tINSD_8identityEEEEENSD_19counting_iterator_tIlEES8_S8_S8_S8_S8_S8_S8_S8_EEEEPS9_S9_NSD_9__find_if7functorIS9_EEEE10hipError_tPvRmT1_T2_T3_mT4_P12ihipStream_tbEUlT_E0_NS1_11comp_targetILNS1_3genE3ELNS1_11target_archE908ELNS1_3gpuE7ELNS1_3repE0EEENS1_30default_config_static_selectorELNS0_4arch9wavefront6targetE0EEEvS14_.num_agpr, 0
	.set _ZN7rocprim17ROCPRIM_400000_NS6detail17trampoline_kernelINS0_14default_configENS1_22reduce_config_selectorIN6thrust23THRUST_200600_302600_NS5tupleIblNS6_9null_typeES8_S8_S8_S8_S8_S8_S8_EEEEZNS1_11reduce_implILb1ES3_NS6_12zip_iteratorINS7_INS6_11hip_rocprim26transform_input_iterator_tIbNSD_35transform_pair_of_input_iterators_tIbNS6_6detail15normal_iteratorINS6_10device_ptrIKdEEEESL_NS6_8equal_toIdEEEENSG_9not_fun_tINSD_8identityEEEEENSD_19counting_iterator_tIlEES8_S8_S8_S8_S8_S8_S8_S8_EEEEPS9_S9_NSD_9__find_if7functorIS9_EEEE10hipError_tPvRmT1_T2_T3_mT4_P12ihipStream_tbEUlT_E0_NS1_11comp_targetILNS1_3genE3ELNS1_11target_archE908ELNS1_3gpuE7ELNS1_3repE0EEENS1_30default_config_static_selectorELNS0_4arch9wavefront6targetE0EEEvS14_.numbered_sgpr, 0
	.set _ZN7rocprim17ROCPRIM_400000_NS6detail17trampoline_kernelINS0_14default_configENS1_22reduce_config_selectorIN6thrust23THRUST_200600_302600_NS5tupleIblNS6_9null_typeES8_S8_S8_S8_S8_S8_S8_EEEEZNS1_11reduce_implILb1ES3_NS6_12zip_iteratorINS7_INS6_11hip_rocprim26transform_input_iterator_tIbNSD_35transform_pair_of_input_iterators_tIbNS6_6detail15normal_iteratorINS6_10device_ptrIKdEEEESL_NS6_8equal_toIdEEEENSG_9not_fun_tINSD_8identityEEEEENSD_19counting_iterator_tIlEES8_S8_S8_S8_S8_S8_S8_S8_EEEEPS9_S9_NSD_9__find_if7functorIS9_EEEE10hipError_tPvRmT1_T2_T3_mT4_P12ihipStream_tbEUlT_E0_NS1_11comp_targetILNS1_3genE3ELNS1_11target_archE908ELNS1_3gpuE7ELNS1_3repE0EEENS1_30default_config_static_selectorELNS0_4arch9wavefront6targetE0EEEvS14_.num_named_barrier, 0
	.set _ZN7rocprim17ROCPRIM_400000_NS6detail17trampoline_kernelINS0_14default_configENS1_22reduce_config_selectorIN6thrust23THRUST_200600_302600_NS5tupleIblNS6_9null_typeES8_S8_S8_S8_S8_S8_S8_EEEEZNS1_11reduce_implILb1ES3_NS6_12zip_iteratorINS7_INS6_11hip_rocprim26transform_input_iterator_tIbNSD_35transform_pair_of_input_iterators_tIbNS6_6detail15normal_iteratorINS6_10device_ptrIKdEEEESL_NS6_8equal_toIdEEEENSG_9not_fun_tINSD_8identityEEEEENSD_19counting_iterator_tIlEES8_S8_S8_S8_S8_S8_S8_S8_EEEEPS9_S9_NSD_9__find_if7functorIS9_EEEE10hipError_tPvRmT1_T2_T3_mT4_P12ihipStream_tbEUlT_E0_NS1_11comp_targetILNS1_3genE3ELNS1_11target_archE908ELNS1_3gpuE7ELNS1_3repE0EEENS1_30default_config_static_selectorELNS0_4arch9wavefront6targetE0EEEvS14_.private_seg_size, 0
	.set _ZN7rocprim17ROCPRIM_400000_NS6detail17trampoline_kernelINS0_14default_configENS1_22reduce_config_selectorIN6thrust23THRUST_200600_302600_NS5tupleIblNS6_9null_typeES8_S8_S8_S8_S8_S8_S8_EEEEZNS1_11reduce_implILb1ES3_NS6_12zip_iteratorINS7_INS6_11hip_rocprim26transform_input_iterator_tIbNSD_35transform_pair_of_input_iterators_tIbNS6_6detail15normal_iteratorINS6_10device_ptrIKdEEEESL_NS6_8equal_toIdEEEENSG_9not_fun_tINSD_8identityEEEEENSD_19counting_iterator_tIlEES8_S8_S8_S8_S8_S8_S8_S8_EEEEPS9_S9_NSD_9__find_if7functorIS9_EEEE10hipError_tPvRmT1_T2_T3_mT4_P12ihipStream_tbEUlT_E0_NS1_11comp_targetILNS1_3genE3ELNS1_11target_archE908ELNS1_3gpuE7ELNS1_3repE0EEENS1_30default_config_static_selectorELNS0_4arch9wavefront6targetE0EEEvS14_.uses_vcc, 0
	.set _ZN7rocprim17ROCPRIM_400000_NS6detail17trampoline_kernelINS0_14default_configENS1_22reduce_config_selectorIN6thrust23THRUST_200600_302600_NS5tupleIblNS6_9null_typeES8_S8_S8_S8_S8_S8_S8_EEEEZNS1_11reduce_implILb1ES3_NS6_12zip_iteratorINS7_INS6_11hip_rocprim26transform_input_iterator_tIbNSD_35transform_pair_of_input_iterators_tIbNS6_6detail15normal_iteratorINS6_10device_ptrIKdEEEESL_NS6_8equal_toIdEEEENSG_9not_fun_tINSD_8identityEEEEENSD_19counting_iterator_tIlEES8_S8_S8_S8_S8_S8_S8_S8_EEEEPS9_S9_NSD_9__find_if7functorIS9_EEEE10hipError_tPvRmT1_T2_T3_mT4_P12ihipStream_tbEUlT_E0_NS1_11comp_targetILNS1_3genE3ELNS1_11target_archE908ELNS1_3gpuE7ELNS1_3repE0EEENS1_30default_config_static_selectorELNS0_4arch9wavefront6targetE0EEEvS14_.uses_flat_scratch, 0
	.set _ZN7rocprim17ROCPRIM_400000_NS6detail17trampoline_kernelINS0_14default_configENS1_22reduce_config_selectorIN6thrust23THRUST_200600_302600_NS5tupleIblNS6_9null_typeES8_S8_S8_S8_S8_S8_S8_EEEEZNS1_11reduce_implILb1ES3_NS6_12zip_iteratorINS7_INS6_11hip_rocprim26transform_input_iterator_tIbNSD_35transform_pair_of_input_iterators_tIbNS6_6detail15normal_iteratorINS6_10device_ptrIKdEEEESL_NS6_8equal_toIdEEEENSG_9not_fun_tINSD_8identityEEEEENSD_19counting_iterator_tIlEES8_S8_S8_S8_S8_S8_S8_S8_EEEEPS9_S9_NSD_9__find_if7functorIS9_EEEE10hipError_tPvRmT1_T2_T3_mT4_P12ihipStream_tbEUlT_E0_NS1_11comp_targetILNS1_3genE3ELNS1_11target_archE908ELNS1_3gpuE7ELNS1_3repE0EEENS1_30default_config_static_selectorELNS0_4arch9wavefront6targetE0EEEvS14_.has_dyn_sized_stack, 0
	.set _ZN7rocprim17ROCPRIM_400000_NS6detail17trampoline_kernelINS0_14default_configENS1_22reduce_config_selectorIN6thrust23THRUST_200600_302600_NS5tupleIblNS6_9null_typeES8_S8_S8_S8_S8_S8_S8_EEEEZNS1_11reduce_implILb1ES3_NS6_12zip_iteratorINS7_INS6_11hip_rocprim26transform_input_iterator_tIbNSD_35transform_pair_of_input_iterators_tIbNS6_6detail15normal_iteratorINS6_10device_ptrIKdEEEESL_NS6_8equal_toIdEEEENSG_9not_fun_tINSD_8identityEEEEENSD_19counting_iterator_tIlEES8_S8_S8_S8_S8_S8_S8_S8_EEEEPS9_S9_NSD_9__find_if7functorIS9_EEEE10hipError_tPvRmT1_T2_T3_mT4_P12ihipStream_tbEUlT_E0_NS1_11comp_targetILNS1_3genE3ELNS1_11target_archE908ELNS1_3gpuE7ELNS1_3repE0EEENS1_30default_config_static_selectorELNS0_4arch9wavefront6targetE0EEEvS14_.has_recursion, 0
	.set _ZN7rocprim17ROCPRIM_400000_NS6detail17trampoline_kernelINS0_14default_configENS1_22reduce_config_selectorIN6thrust23THRUST_200600_302600_NS5tupleIblNS6_9null_typeES8_S8_S8_S8_S8_S8_S8_EEEEZNS1_11reduce_implILb1ES3_NS6_12zip_iteratorINS7_INS6_11hip_rocprim26transform_input_iterator_tIbNSD_35transform_pair_of_input_iterators_tIbNS6_6detail15normal_iteratorINS6_10device_ptrIKdEEEESL_NS6_8equal_toIdEEEENSG_9not_fun_tINSD_8identityEEEEENSD_19counting_iterator_tIlEES8_S8_S8_S8_S8_S8_S8_S8_EEEEPS9_S9_NSD_9__find_if7functorIS9_EEEE10hipError_tPvRmT1_T2_T3_mT4_P12ihipStream_tbEUlT_E0_NS1_11comp_targetILNS1_3genE3ELNS1_11target_archE908ELNS1_3gpuE7ELNS1_3repE0EEENS1_30default_config_static_selectorELNS0_4arch9wavefront6targetE0EEEvS14_.has_indirect_call, 0
	.section	.AMDGPU.csdata,"",@progbits
; Kernel info:
; codeLenInByte = 0
; TotalNumSgprs: 0
; NumVgprs: 0
; ScratchSize: 0
; MemoryBound: 0
; FloatMode: 240
; IeeeMode: 1
; LDSByteSize: 0 bytes/workgroup (compile time only)
; SGPRBlocks: 0
; VGPRBlocks: 0
; NumSGPRsForWavesPerEU: 1
; NumVGPRsForWavesPerEU: 1
; Occupancy: 16
; WaveLimiterHint : 0
; COMPUTE_PGM_RSRC2:SCRATCH_EN: 0
; COMPUTE_PGM_RSRC2:USER_SGPR: 6
; COMPUTE_PGM_RSRC2:TRAP_HANDLER: 0
; COMPUTE_PGM_RSRC2:TGID_X_EN: 1
; COMPUTE_PGM_RSRC2:TGID_Y_EN: 0
; COMPUTE_PGM_RSRC2:TGID_Z_EN: 0
; COMPUTE_PGM_RSRC2:TIDIG_COMP_CNT: 0
	.section	.text._ZN7rocprim17ROCPRIM_400000_NS6detail17trampoline_kernelINS0_14default_configENS1_22reduce_config_selectorIN6thrust23THRUST_200600_302600_NS5tupleIblNS6_9null_typeES8_S8_S8_S8_S8_S8_S8_EEEEZNS1_11reduce_implILb1ES3_NS6_12zip_iteratorINS7_INS6_11hip_rocprim26transform_input_iterator_tIbNSD_35transform_pair_of_input_iterators_tIbNS6_6detail15normal_iteratorINS6_10device_ptrIKdEEEESL_NS6_8equal_toIdEEEENSG_9not_fun_tINSD_8identityEEEEENSD_19counting_iterator_tIlEES8_S8_S8_S8_S8_S8_S8_S8_EEEEPS9_S9_NSD_9__find_if7functorIS9_EEEE10hipError_tPvRmT1_T2_T3_mT4_P12ihipStream_tbEUlT_E0_NS1_11comp_targetILNS1_3genE2ELNS1_11target_archE906ELNS1_3gpuE6ELNS1_3repE0EEENS1_30default_config_static_selectorELNS0_4arch9wavefront6targetE0EEEvS14_,"axG",@progbits,_ZN7rocprim17ROCPRIM_400000_NS6detail17trampoline_kernelINS0_14default_configENS1_22reduce_config_selectorIN6thrust23THRUST_200600_302600_NS5tupleIblNS6_9null_typeES8_S8_S8_S8_S8_S8_S8_EEEEZNS1_11reduce_implILb1ES3_NS6_12zip_iteratorINS7_INS6_11hip_rocprim26transform_input_iterator_tIbNSD_35transform_pair_of_input_iterators_tIbNS6_6detail15normal_iteratorINS6_10device_ptrIKdEEEESL_NS6_8equal_toIdEEEENSG_9not_fun_tINSD_8identityEEEEENSD_19counting_iterator_tIlEES8_S8_S8_S8_S8_S8_S8_S8_EEEEPS9_S9_NSD_9__find_if7functorIS9_EEEE10hipError_tPvRmT1_T2_T3_mT4_P12ihipStream_tbEUlT_E0_NS1_11comp_targetILNS1_3genE2ELNS1_11target_archE906ELNS1_3gpuE6ELNS1_3repE0EEENS1_30default_config_static_selectorELNS0_4arch9wavefront6targetE0EEEvS14_,comdat
	.protected	_ZN7rocprim17ROCPRIM_400000_NS6detail17trampoline_kernelINS0_14default_configENS1_22reduce_config_selectorIN6thrust23THRUST_200600_302600_NS5tupleIblNS6_9null_typeES8_S8_S8_S8_S8_S8_S8_EEEEZNS1_11reduce_implILb1ES3_NS6_12zip_iteratorINS7_INS6_11hip_rocprim26transform_input_iterator_tIbNSD_35transform_pair_of_input_iterators_tIbNS6_6detail15normal_iteratorINS6_10device_ptrIKdEEEESL_NS6_8equal_toIdEEEENSG_9not_fun_tINSD_8identityEEEEENSD_19counting_iterator_tIlEES8_S8_S8_S8_S8_S8_S8_S8_EEEEPS9_S9_NSD_9__find_if7functorIS9_EEEE10hipError_tPvRmT1_T2_T3_mT4_P12ihipStream_tbEUlT_E0_NS1_11comp_targetILNS1_3genE2ELNS1_11target_archE906ELNS1_3gpuE6ELNS1_3repE0EEENS1_30default_config_static_selectorELNS0_4arch9wavefront6targetE0EEEvS14_ ; -- Begin function _ZN7rocprim17ROCPRIM_400000_NS6detail17trampoline_kernelINS0_14default_configENS1_22reduce_config_selectorIN6thrust23THRUST_200600_302600_NS5tupleIblNS6_9null_typeES8_S8_S8_S8_S8_S8_S8_EEEEZNS1_11reduce_implILb1ES3_NS6_12zip_iteratorINS7_INS6_11hip_rocprim26transform_input_iterator_tIbNSD_35transform_pair_of_input_iterators_tIbNS6_6detail15normal_iteratorINS6_10device_ptrIKdEEEESL_NS6_8equal_toIdEEEENSG_9not_fun_tINSD_8identityEEEEENSD_19counting_iterator_tIlEES8_S8_S8_S8_S8_S8_S8_S8_EEEEPS9_S9_NSD_9__find_if7functorIS9_EEEE10hipError_tPvRmT1_T2_T3_mT4_P12ihipStream_tbEUlT_E0_NS1_11comp_targetILNS1_3genE2ELNS1_11target_archE906ELNS1_3gpuE6ELNS1_3repE0EEENS1_30default_config_static_selectorELNS0_4arch9wavefront6targetE0EEEvS14_
	.globl	_ZN7rocprim17ROCPRIM_400000_NS6detail17trampoline_kernelINS0_14default_configENS1_22reduce_config_selectorIN6thrust23THRUST_200600_302600_NS5tupleIblNS6_9null_typeES8_S8_S8_S8_S8_S8_S8_EEEEZNS1_11reduce_implILb1ES3_NS6_12zip_iteratorINS7_INS6_11hip_rocprim26transform_input_iterator_tIbNSD_35transform_pair_of_input_iterators_tIbNS6_6detail15normal_iteratorINS6_10device_ptrIKdEEEESL_NS6_8equal_toIdEEEENSG_9not_fun_tINSD_8identityEEEEENSD_19counting_iterator_tIlEES8_S8_S8_S8_S8_S8_S8_S8_EEEEPS9_S9_NSD_9__find_if7functorIS9_EEEE10hipError_tPvRmT1_T2_T3_mT4_P12ihipStream_tbEUlT_E0_NS1_11comp_targetILNS1_3genE2ELNS1_11target_archE906ELNS1_3gpuE6ELNS1_3repE0EEENS1_30default_config_static_selectorELNS0_4arch9wavefront6targetE0EEEvS14_
	.p2align	8
	.type	_ZN7rocprim17ROCPRIM_400000_NS6detail17trampoline_kernelINS0_14default_configENS1_22reduce_config_selectorIN6thrust23THRUST_200600_302600_NS5tupleIblNS6_9null_typeES8_S8_S8_S8_S8_S8_S8_EEEEZNS1_11reduce_implILb1ES3_NS6_12zip_iteratorINS7_INS6_11hip_rocprim26transform_input_iterator_tIbNSD_35transform_pair_of_input_iterators_tIbNS6_6detail15normal_iteratorINS6_10device_ptrIKdEEEESL_NS6_8equal_toIdEEEENSG_9not_fun_tINSD_8identityEEEEENSD_19counting_iterator_tIlEES8_S8_S8_S8_S8_S8_S8_S8_EEEEPS9_S9_NSD_9__find_if7functorIS9_EEEE10hipError_tPvRmT1_T2_T3_mT4_P12ihipStream_tbEUlT_E0_NS1_11comp_targetILNS1_3genE2ELNS1_11target_archE906ELNS1_3gpuE6ELNS1_3repE0EEENS1_30default_config_static_selectorELNS0_4arch9wavefront6targetE0EEEvS14_,@function
_ZN7rocprim17ROCPRIM_400000_NS6detail17trampoline_kernelINS0_14default_configENS1_22reduce_config_selectorIN6thrust23THRUST_200600_302600_NS5tupleIblNS6_9null_typeES8_S8_S8_S8_S8_S8_S8_EEEEZNS1_11reduce_implILb1ES3_NS6_12zip_iteratorINS7_INS6_11hip_rocprim26transform_input_iterator_tIbNSD_35transform_pair_of_input_iterators_tIbNS6_6detail15normal_iteratorINS6_10device_ptrIKdEEEESL_NS6_8equal_toIdEEEENSG_9not_fun_tINSD_8identityEEEEENSD_19counting_iterator_tIlEES8_S8_S8_S8_S8_S8_S8_S8_EEEEPS9_S9_NSD_9__find_if7functorIS9_EEEE10hipError_tPvRmT1_T2_T3_mT4_P12ihipStream_tbEUlT_E0_NS1_11comp_targetILNS1_3genE2ELNS1_11target_archE906ELNS1_3gpuE6ELNS1_3repE0EEENS1_30default_config_static_selectorELNS0_4arch9wavefront6targetE0EEEvS14_: ; @_ZN7rocprim17ROCPRIM_400000_NS6detail17trampoline_kernelINS0_14default_configENS1_22reduce_config_selectorIN6thrust23THRUST_200600_302600_NS5tupleIblNS6_9null_typeES8_S8_S8_S8_S8_S8_S8_EEEEZNS1_11reduce_implILb1ES3_NS6_12zip_iteratorINS7_INS6_11hip_rocprim26transform_input_iterator_tIbNSD_35transform_pair_of_input_iterators_tIbNS6_6detail15normal_iteratorINS6_10device_ptrIKdEEEESL_NS6_8equal_toIdEEEENSG_9not_fun_tINSD_8identityEEEEENSD_19counting_iterator_tIlEES8_S8_S8_S8_S8_S8_S8_S8_EEEEPS9_S9_NSD_9__find_if7functorIS9_EEEE10hipError_tPvRmT1_T2_T3_mT4_P12ihipStream_tbEUlT_E0_NS1_11comp_targetILNS1_3genE2ELNS1_11target_archE906ELNS1_3gpuE6ELNS1_3repE0EEENS1_30default_config_static_selectorELNS0_4arch9wavefront6targetE0EEEvS14_
; %bb.0:
	.section	.rodata,"a",@progbits
	.p2align	6, 0x0
	.amdhsa_kernel _ZN7rocprim17ROCPRIM_400000_NS6detail17trampoline_kernelINS0_14default_configENS1_22reduce_config_selectorIN6thrust23THRUST_200600_302600_NS5tupleIblNS6_9null_typeES8_S8_S8_S8_S8_S8_S8_EEEEZNS1_11reduce_implILb1ES3_NS6_12zip_iteratorINS7_INS6_11hip_rocprim26transform_input_iterator_tIbNSD_35transform_pair_of_input_iterators_tIbNS6_6detail15normal_iteratorINS6_10device_ptrIKdEEEESL_NS6_8equal_toIdEEEENSG_9not_fun_tINSD_8identityEEEEENSD_19counting_iterator_tIlEES8_S8_S8_S8_S8_S8_S8_S8_EEEEPS9_S9_NSD_9__find_if7functorIS9_EEEE10hipError_tPvRmT1_T2_T3_mT4_P12ihipStream_tbEUlT_E0_NS1_11comp_targetILNS1_3genE2ELNS1_11target_archE906ELNS1_3gpuE6ELNS1_3repE0EEENS1_30default_config_static_selectorELNS0_4arch9wavefront6targetE0EEEvS14_
		.amdhsa_group_segment_fixed_size 0
		.amdhsa_private_segment_fixed_size 0
		.amdhsa_kernarg_size 104
		.amdhsa_user_sgpr_count 6
		.amdhsa_user_sgpr_private_segment_buffer 1
		.amdhsa_user_sgpr_dispatch_ptr 0
		.amdhsa_user_sgpr_queue_ptr 0
		.amdhsa_user_sgpr_kernarg_segment_ptr 1
		.amdhsa_user_sgpr_dispatch_id 0
		.amdhsa_user_sgpr_flat_scratch_init 0
		.amdhsa_user_sgpr_private_segment_size 0
		.amdhsa_wavefront_size32 1
		.amdhsa_uses_dynamic_stack 0
		.amdhsa_system_sgpr_private_segment_wavefront_offset 0
		.amdhsa_system_sgpr_workgroup_id_x 1
		.amdhsa_system_sgpr_workgroup_id_y 0
		.amdhsa_system_sgpr_workgroup_id_z 0
		.amdhsa_system_sgpr_workgroup_info 0
		.amdhsa_system_vgpr_workitem_id 0
		.amdhsa_next_free_vgpr 1
		.amdhsa_next_free_sgpr 1
		.amdhsa_reserve_vcc 0
		.amdhsa_reserve_flat_scratch 0
		.amdhsa_float_round_mode_32 0
		.amdhsa_float_round_mode_16_64 0
		.amdhsa_float_denorm_mode_32 3
		.amdhsa_float_denorm_mode_16_64 3
		.amdhsa_dx10_clamp 1
		.amdhsa_ieee_mode 1
		.amdhsa_fp16_overflow 0
		.amdhsa_workgroup_processor_mode 1
		.amdhsa_memory_ordered 1
		.amdhsa_forward_progress 1
		.amdhsa_shared_vgpr_count 0
		.amdhsa_exception_fp_ieee_invalid_op 0
		.amdhsa_exception_fp_denorm_src 0
		.amdhsa_exception_fp_ieee_div_zero 0
		.amdhsa_exception_fp_ieee_overflow 0
		.amdhsa_exception_fp_ieee_underflow 0
		.amdhsa_exception_fp_ieee_inexact 0
		.amdhsa_exception_int_div_zero 0
	.end_amdhsa_kernel
	.section	.text._ZN7rocprim17ROCPRIM_400000_NS6detail17trampoline_kernelINS0_14default_configENS1_22reduce_config_selectorIN6thrust23THRUST_200600_302600_NS5tupleIblNS6_9null_typeES8_S8_S8_S8_S8_S8_S8_EEEEZNS1_11reduce_implILb1ES3_NS6_12zip_iteratorINS7_INS6_11hip_rocprim26transform_input_iterator_tIbNSD_35transform_pair_of_input_iterators_tIbNS6_6detail15normal_iteratorINS6_10device_ptrIKdEEEESL_NS6_8equal_toIdEEEENSG_9not_fun_tINSD_8identityEEEEENSD_19counting_iterator_tIlEES8_S8_S8_S8_S8_S8_S8_S8_EEEEPS9_S9_NSD_9__find_if7functorIS9_EEEE10hipError_tPvRmT1_T2_T3_mT4_P12ihipStream_tbEUlT_E0_NS1_11comp_targetILNS1_3genE2ELNS1_11target_archE906ELNS1_3gpuE6ELNS1_3repE0EEENS1_30default_config_static_selectorELNS0_4arch9wavefront6targetE0EEEvS14_,"axG",@progbits,_ZN7rocprim17ROCPRIM_400000_NS6detail17trampoline_kernelINS0_14default_configENS1_22reduce_config_selectorIN6thrust23THRUST_200600_302600_NS5tupleIblNS6_9null_typeES8_S8_S8_S8_S8_S8_S8_EEEEZNS1_11reduce_implILb1ES3_NS6_12zip_iteratorINS7_INS6_11hip_rocprim26transform_input_iterator_tIbNSD_35transform_pair_of_input_iterators_tIbNS6_6detail15normal_iteratorINS6_10device_ptrIKdEEEESL_NS6_8equal_toIdEEEENSG_9not_fun_tINSD_8identityEEEEENSD_19counting_iterator_tIlEES8_S8_S8_S8_S8_S8_S8_S8_EEEEPS9_S9_NSD_9__find_if7functorIS9_EEEE10hipError_tPvRmT1_T2_T3_mT4_P12ihipStream_tbEUlT_E0_NS1_11comp_targetILNS1_3genE2ELNS1_11target_archE906ELNS1_3gpuE6ELNS1_3repE0EEENS1_30default_config_static_selectorELNS0_4arch9wavefront6targetE0EEEvS14_,comdat
.Lfunc_end41:
	.size	_ZN7rocprim17ROCPRIM_400000_NS6detail17trampoline_kernelINS0_14default_configENS1_22reduce_config_selectorIN6thrust23THRUST_200600_302600_NS5tupleIblNS6_9null_typeES8_S8_S8_S8_S8_S8_S8_EEEEZNS1_11reduce_implILb1ES3_NS6_12zip_iteratorINS7_INS6_11hip_rocprim26transform_input_iterator_tIbNSD_35transform_pair_of_input_iterators_tIbNS6_6detail15normal_iteratorINS6_10device_ptrIKdEEEESL_NS6_8equal_toIdEEEENSG_9not_fun_tINSD_8identityEEEEENSD_19counting_iterator_tIlEES8_S8_S8_S8_S8_S8_S8_S8_EEEEPS9_S9_NSD_9__find_if7functorIS9_EEEE10hipError_tPvRmT1_T2_T3_mT4_P12ihipStream_tbEUlT_E0_NS1_11comp_targetILNS1_3genE2ELNS1_11target_archE906ELNS1_3gpuE6ELNS1_3repE0EEENS1_30default_config_static_selectorELNS0_4arch9wavefront6targetE0EEEvS14_, .Lfunc_end41-_ZN7rocprim17ROCPRIM_400000_NS6detail17trampoline_kernelINS0_14default_configENS1_22reduce_config_selectorIN6thrust23THRUST_200600_302600_NS5tupleIblNS6_9null_typeES8_S8_S8_S8_S8_S8_S8_EEEEZNS1_11reduce_implILb1ES3_NS6_12zip_iteratorINS7_INS6_11hip_rocprim26transform_input_iterator_tIbNSD_35transform_pair_of_input_iterators_tIbNS6_6detail15normal_iteratorINS6_10device_ptrIKdEEEESL_NS6_8equal_toIdEEEENSG_9not_fun_tINSD_8identityEEEEENSD_19counting_iterator_tIlEES8_S8_S8_S8_S8_S8_S8_S8_EEEEPS9_S9_NSD_9__find_if7functorIS9_EEEE10hipError_tPvRmT1_T2_T3_mT4_P12ihipStream_tbEUlT_E0_NS1_11comp_targetILNS1_3genE2ELNS1_11target_archE906ELNS1_3gpuE6ELNS1_3repE0EEENS1_30default_config_static_selectorELNS0_4arch9wavefront6targetE0EEEvS14_
                                        ; -- End function
	.set _ZN7rocprim17ROCPRIM_400000_NS6detail17trampoline_kernelINS0_14default_configENS1_22reduce_config_selectorIN6thrust23THRUST_200600_302600_NS5tupleIblNS6_9null_typeES8_S8_S8_S8_S8_S8_S8_EEEEZNS1_11reduce_implILb1ES3_NS6_12zip_iteratorINS7_INS6_11hip_rocprim26transform_input_iterator_tIbNSD_35transform_pair_of_input_iterators_tIbNS6_6detail15normal_iteratorINS6_10device_ptrIKdEEEESL_NS6_8equal_toIdEEEENSG_9not_fun_tINSD_8identityEEEEENSD_19counting_iterator_tIlEES8_S8_S8_S8_S8_S8_S8_S8_EEEEPS9_S9_NSD_9__find_if7functorIS9_EEEE10hipError_tPvRmT1_T2_T3_mT4_P12ihipStream_tbEUlT_E0_NS1_11comp_targetILNS1_3genE2ELNS1_11target_archE906ELNS1_3gpuE6ELNS1_3repE0EEENS1_30default_config_static_selectorELNS0_4arch9wavefront6targetE0EEEvS14_.num_vgpr, 0
	.set _ZN7rocprim17ROCPRIM_400000_NS6detail17trampoline_kernelINS0_14default_configENS1_22reduce_config_selectorIN6thrust23THRUST_200600_302600_NS5tupleIblNS6_9null_typeES8_S8_S8_S8_S8_S8_S8_EEEEZNS1_11reduce_implILb1ES3_NS6_12zip_iteratorINS7_INS6_11hip_rocprim26transform_input_iterator_tIbNSD_35transform_pair_of_input_iterators_tIbNS6_6detail15normal_iteratorINS6_10device_ptrIKdEEEESL_NS6_8equal_toIdEEEENSG_9not_fun_tINSD_8identityEEEEENSD_19counting_iterator_tIlEES8_S8_S8_S8_S8_S8_S8_S8_EEEEPS9_S9_NSD_9__find_if7functorIS9_EEEE10hipError_tPvRmT1_T2_T3_mT4_P12ihipStream_tbEUlT_E0_NS1_11comp_targetILNS1_3genE2ELNS1_11target_archE906ELNS1_3gpuE6ELNS1_3repE0EEENS1_30default_config_static_selectorELNS0_4arch9wavefront6targetE0EEEvS14_.num_agpr, 0
	.set _ZN7rocprim17ROCPRIM_400000_NS6detail17trampoline_kernelINS0_14default_configENS1_22reduce_config_selectorIN6thrust23THRUST_200600_302600_NS5tupleIblNS6_9null_typeES8_S8_S8_S8_S8_S8_S8_EEEEZNS1_11reduce_implILb1ES3_NS6_12zip_iteratorINS7_INS6_11hip_rocprim26transform_input_iterator_tIbNSD_35transform_pair_of_input_iterators_tIbNS6_6detail15normal_iteratorINS6_10device_ptrIKdEEEESL_NS6_8equal_toIdEEEENSG_9not_fun_tINSD_8identityEEEEENSD_19counting_iterator_tIlEES8_S8_S8_S8_S8_S8_S8_S8_EEEEPS9_S9_NSD_9__find_if7functorIS9_EEEE10hipError_tPvRmT1_T2_T3_mT4_P12ihipStream_tbEUlT_E0_NS1_11comp_targetILNS1_3genE2ELNS1_11target_archE906ELNS1_3gpuE6ELNS1_3repE0EEENS1_30default_config_static_selectorELNS0_4arch9wavefront6targetE0EEEvS14_.numbered_sgpr, 0
	.set _ZN7rocprim17ROCPRIM_400000_NS6detail17trampoline_kernelINS0_14default_configENS1_22reduce_config_selectorIN6thrust23THRUST_200600_302600_NS5tupleIblNS6_9null_typeES8_S8_S8_S8_S8_S8_S8_EEEEZNS1_11reduce_implILb1ES3_NS6_12zip_iteratorINS7_INS6_11hip_rocprim26transform_input_iterator_tIbNSD_35transform_pair_of_input_iterators_tIbNS6_6detail15normal_iteratorINS6_10device_ptrIKdEEEESL_NS6_8equal_toIdEEEENSG_9not_fun_tINSD_8identityEEEEENSD_19counting_iterator_tIlEES8_S8_S8_S8_S8_S8_S8_S8_EEEEPS9_S9_NSD_9__find_if7functorIS9_EEEE10hipError_tPvRmT1_T2_T3_mT4_P12ihipStream_tbEUlT_E0_NS1_11comp_targetILNS1_3genE2ELNS1_11target_archE906ELNS1_3gpuE6ELNS1_3repE0EEENS1_30default_config_static_selectorELNS0_4arch9wavefront6targetE0EEEvS14_.num_named_barrier, 0
	.set _ZN7rocprim17ROCPRIM_400000_NS6detail17trampoline_kernelINS0_14default_configENS1_22reduce_config_selectorIN6thrust23THRUST_200600_302600_NS5tupleIblNS6_9null_typeES8_S8_S8_S8_S8_S8_S8_EEEEZNS1_11reduce_implILb1ES3_NS6_12zip_iteratorINS7_INS6_11hip_rocprim26transform_input_iterator_tIbNSD_35transform_pair_of_input_iterators_tIbNS6_6detail15normal_iteratorINS6_10device_ptrIKdEEEESL_NS6_8equal_toIdEEEENSG_9not_fun_tINSD_8identityEEEEENSD_19counting_iterator_tIlEES8_S8_S8_S8_S8_S8_S8_S8_EEEEPS9_S9_NSD_9__find_if7functorIS9_EEEE10hipError_tPvRmT1_T2_T3_mT4_P12ihipStream_tbEUlT_E0_NS1_11comp_targetILNS1_3genE2ELNS1_11target_archE906ELNS1_3gpuE6ELNS1_3repE0EEENS1_30default_config_static_selectorELNS0_4arch9wavefront6targetE0EEEvS14_.private_seg_size, 0
	.set _ZN7rocprim17ROCPRIM_400000_NS6detail17trampoline_kernelINS0_14default_configENS1_22reduce_config_selectorIN6thrust23THRUST_200600_302600_NS5tupleIblNS6_9null_typeES8_S8_S8_S8_S8_S8_S8_EEEEZNS1_11reduce_implILb1ES3_NS6_12zip_iteratorINS7_INS6_11hip_rocprim26transform_input_iterator_tIbNSD_35transform_pair_of_input_iterators_tIbNS6_6detail15normal_iteratorINS6_10device_ptrIKdEEEESL_NS6_8equal_toIdEEEENSG_9not_fun_tINSD_8identityEEEEENSD_19counting_iterator_tIlEES8_S8_S8_S8_S8_S8_S8_S8_EEEEPS9_S9_NSD_9__find_if7functorIS9_EEEE10hipError_tPvRmT1_T2_T3_mT4_P12ihipStream_tbEUlT_E0_NS1_11comp_targetILNS1_3genE2ELNS1_11target_archE906ELNS1_3gpuE6ELNS1_3repE0EEENS1_30default_config_static_selectorELNS0_4arch9wavefront6targetE0EEEvS14_.uses_vcc, 0
	.set _ZN7rocprim17ROCPRIM_400000_NS6detail17trampoline_kernelINS0_14default_configENS1_22reduce_config_selectorIN6thrust23THRUST_200600_302600_NS5tupleIblNS6_9null_typeES8_S8_S8_S8_S8_S8_S8_EEEEZNS1_11reduce_implILb1ES3_NS6_12zip_iteratorINS7_INS6_11hip_rocprim26transform_input_iterator_tIbNSD_35transform_pair_of_input_iterators_tIbNS6_6detail15normal_iteratorINS6_10device_ptrIKdEEEESL_NS6_8equal_toIdEEEENSG_9not_fun_tINSD_8identityEEEEENSD_19counting_iterator_tIlEES8_S8_S8_S8_S8_S8_S8_S8_EEEEPS9_S9_NSD_9__find_if7functorIS9_EEEE10hipError_tPvRmT1_T2_T3_mT4_P12ihipStream_tbEUlT_E0_NS1_11comp_targetILNS1_3genE2ELNS1_11target_archE906ELNS1_3gpuE6ELNS1_3repE0EEENS1_30default_config_static_selectorELNS0_4arch9wavefront6targetE0EEEvS14_.uses_flat_scratch, 0
	.set _ZN7rocprim17ROCPRIM_400000_NS6detail17trampoline_kernelINS0_14default_configENS1_22reduce_config_selectorIN6thrust23THRUST_200600_302600_NS5tupleIblNS6_9null_typeES8_S8_S8_S8_S8_S8_S8_EEEEZNS1_11reduce_implILb1ES3_NS6_12zip_iteratorINS7_INS6_11hip_rocprim26transform_input_iterator_tIbNSD_35transform_pair_of_input_iterators_tIbNS6_6detail15normal_iteratorINS6_10device_ptrIKdEEEESL_NS6_8equal_toIdEEEENSG_9not_fun_tINSD_8identityEEEEENSD_19counting_iterator_tIlEES8_S8_S8_S8_S8_S8_S8_S8_EEEEPS9_S9_NSD_9__find_if7functorIS9_EEEE10hipError_tPvRmT1_T2_T3_mT4_P12ihipStream_tbEUlT_E0_NS1_11comp_targetILNS1_3genE2ELNS1_11target_archE906ELNS1_3gpuE6ELNS1_3repE0EEENS1_30default_config_static_selectorELNS0_4arch9wavefront6targetE0EEEvS14_.has_dyn_sized_stack, 0
	.set _ZN7rocprim17ROCPRIM_400000_NS6detail17trampoline_kernelINS0_14default_configENS1_22reduce_config_selectorIN6thrust23THRUST_200600_302600_NS5tupleIblNS6_9null_typeES8_S8_S8_S8_S8_S8_S8_EEEEZNS1_11reduce_implILb1ES3_NS6_12zip_iteratorINS7_INS6_11hip_rocprim26transform_input_iterator_tIbNSD_35transform_pair_of_input_iterators_tIbNS6_6detail15normal_iteratorINS6_10device_ptrIKdEEEESL_NS6_8equal_toIdEEEENSG_9not_fun_tINSD_8identityEEEEENSD_19counting_iterator_tIlEES8_S8_S8_S8_S8_S8_S8_S8_EEEEPS9_S9_NSD_9__find_if7functorIS9_EEEE10hipError_tPvRmT1_T2_T3_mT4_P12ihipStream_tbEUlT_E0_NS1_11comp_targetILNS1_3genE2ELNS1_11target_archE906ELNS1_3gpuE6ELNS1_3repE0EEENS1_30default_config_static_selectorELNS0_4arch9wavefront6targetE0EEEvS14_.has_recursion, 0
	.set _ZN7rocprim17ROCPRIM_400000_NS6detail17trampoline_kernelINS0_14default_configENS1_22reduce_config_selectorIN6thrust23THRUST_200600_302600_NS5tupleIblNS6_9null_typeES8_S8_S8_S8_S8_S8_S8_EEEEZNS1_11reduce_implILb1ES3_NS6_12zip_iteratorINS7_INS6_11hip_rocprim26transform_input_iterator_tIbNSD_35transform_pair_of_input_iterators_tIbNS6_6detail15normal_iteratorINS6_10device_ptrIKdEEEESL_NS6_8equal_toIdEEEENSG_9not_fun_tINSD_8identityEEEEENSD_19counting_iterator_tIlEES8_S8_S8_S8_S8_S8_S8_S8_EEEEPS9_S9_NSD_9__find_if7functorIS9_EEEE10hipError_tPvRmT1_T2_T3_mT4_P12ihipStream_tbEUlT_E0_NS1_11comp_targetILNS1_3genE2ELNS1_11target_archE906ELNS1_3gpuE6ELNS1_3repE0EEENS1_30default_config_static_selectorELNS0_4arch9wavefront6targetE0EEEvS14_.has_indirect_call, 0
	.section	.AMDGPU.csdata,"",@progbits
; Kernel info:
; codeLenInByte = 0
; TotalNumSgprs: 0
; NumVgprs: 0
; ScratchSize: 0
; MemoryBound: 0
; FloatMode: 240
; IeeeMode: 1
; LDSByteSize: 0 bytes/workgroup (compile time only)
; SGPRBlocks: 0
; VGPRBlocks: 0
; NumSGPRsForWavesPerEU: 1
; NumVGPRsForWavesPerEU: 1
; Occupancy: 16
; WaveLimiterHint : 0
; COMPUTE_PGM_RSRC2:SCRATCH_EN: 0
; COMPUTE_PGM_RSRC2:USER_SGPR: 6
; COMPUTE_PGM_RSRC2:TRAP_HANDLER: 0
; COMPUTE_PGM_RSRC2:TGID_X_EN: 1
; COMPUTE_PGM_RSRC2:TGID_Y_EN: 0
; COMPUTE_PGM_RSRC2:TGID_Z_EN: 0
; COMPUTE_PGM_RSRC2:TIDIG_COMP_CNT: 0
	.section	.text._ZN7rocprim17ROCPRIM_400000_NS6detail17trampoline_kernelINS0_14default_configENS1_22reduce_config_selectorIN6thrust23THRUST_200600_302600_NS5tupleIblNS6_9null_typeES8_S8_S8_S8_S8_S8_S8_EEEEZNS1_11reduce_implILb1ES3_NS6_12zip_iteratorINS7_INS6_11hip_rocprim26transform_input_iterator_tIbNSD_35transform_pair_of_input_iterators_tIbNS6_6detail15normal_iteratorINS6_10device_ptrIKdEEEESL_NS6_8equal_toIdEEEENSG_9not_fun_tINSD_8identityEEEEENSD_19counting_iterator_tIlEES8_S8_S8_S8_S8_S8_S8_S8_EEEEPS9_S9_NSD_9__find_if7functorIS9_EEEE10hipError_tPvRmT1_T2_T3_mT4_P12ihipStream_tbEUlT_E0_NS1_11comp_targetILNS1_3genE10ELNS1_11target_archE1201ELNS1_3gpuE5ELNS1_3repE0EEENS1_30default_config_static_selectorELNS0_4arch9wavefront6targetE0EEEvS14_,"axG",@progbits,_ZN7rocprim17ROCPRIM_400000_NS6detail17trampoline_kernelINS0_14default_configENS1_22reduce_config_selectorIN6thrust23THRUST_200600_302600_NS5tupleIblNS6_9null_typeES8_S8_S8_S8_S8_S8_S8_EEEEZNS1_11reduce_implILb1ES3_NS6_12zip_iteratorINS7_INS6_11hip_rocprim26transform_input_iterator_tIbNSD_35transform_pair_of_input_iterators_tIbNS6_6detail15normal_iteratorINS6_10device_ptrIKdEEEESL_NS6_8equal_toIdEEEENSG_9not_fun_tINSD_8identityEEEEENSD_19counting_iterator_tIlEES8_S8_S8_S8_S8_S8_S8_S8_EEEEPS9_S9_NSD_9__find_if7functorIS9_EEEE10hipError_tPvRmT1_T2_T3_mT4_P12ihipStream_tbEUlT_E0_NS1_11comp_targetILNS1_3genE10ELNS1_11target_archE1201ELNS1_3gpuE5ELNS1_3repE0EEENS1_30default_config_static_selectorELNS0_4arch9wavefront6targetE0EEEvS14_,comdat
	.protected	_ZN7rocprim17ROCPRIM_400000_NS6detail17trampoline_kernelINS0_14default_configENS1_22reduce_config_selectorIN6thrust23THRUST_200600_302600_NS5tupleIblNS6_9null_typeES8_S8_S8_S8_S8_S8_S8_EEEEZNS1_11reduce_implILb1ES3_NS6_12zip_iteratorINS7_INS6_11hip_rocprim26transform_input_iterator_tIbNSD_35transform_pair_of_input_iterators_tIbNS6_6detail15normal_iteratorINS6_10device_ptrIKdEEEESL_NS6_8equal_toIdEEEENSG_9not_fun_tINSD_8identityEEEEENSD_19counting_iterator_tIlEES8_S8_S8_S8_S8_S8_S8_S8_EEEEPS9_S9_NSD_9__find_if7functorIS9_EEEE10hipError_tPvRmT1_T2_T3_mT4_P12ihipStream_tbEUlT_E0_NS1_11comp_targetILNS1_3genE10ELNS1_11target_archE1201ELNS1_3gpuE5ELNS1_3repE0EEENS1_30default_config_static_selectorELNS0_4arch9wavefront6targetE0EEEvS14_ ; -- Begin function _ZN7rocprim17ROCPRIM_400000_NS6detail17trampoline_kernelINS0_14default_configENS1_22reduce_config_selectorIN6thrust23THRUST_200600_302600_NS5tupleIblNS6_9null_typeES8_S8_S8_S8_S8_S8_S8_EEEEZNS1_11reduce_implILb1ES3_NS6_12zip_iteratorINS7_INS6_11hip_rocprim26transform_input_iterator_tIbNSD_35transform_pair_of_input_iterators_tIbNS6_6detail15normal_iteratorINS6_10device_ptrIKdEEEESL_NS6_8equal_toIdEEEENSG_9not_fun_tINSD_8identityEEEEENSD_19counting_iterator_tIlEES8_S8_S8_S8_S8_S8_S8_S8_EEEEPS9_S9_NSD_9__find_if7functorIS9_EEEE10hipError_tPvRmT1_T2_T3_mT4_P12ihipStream_tbEUlT_E0_NS1_11comp_targetILNS1_3genE10ELNS1_11target_archE1201ELNS1_3gpuE5ELNS1_3repE0EEENS1_30default_config_static_selectorELNS0_4arch9wavefront6targetE0EEEvS14_
	.globl	_ZN7rocprim17ROCPRIM_400000_NS6detail17trampoline_kernelINS0_14default_configENS1_22reduce_config_selectorIN6thrust23THRUST_200600_302600_NS5tupleIblNS6_9null_typeES8_S8_S8_S8_S8_S8_S8_EEEEZNS1_11reduce_implILb1ES3_NS6_12zip_iteratorINS7_INS6_11hip_rocprim26transform_input_iterator_tIbNSD_35transform_pair_of_input_iterators_tIbNS6_6detail15normal_iteratorINS6_10device_ptrIKdEEEESL_NS6_8equal_toIdEEEENSG_9not_fun_tINSD_8identityEEEEENSD_19counting_iterator_tIlEES8_S8_S8_S8_S8_S8_S8_S8_EEEEPS9_S9_NSD_9__find_if7functorIS9_EEEE10hipError_tPvRmT1_T2_T3_mT4_P12ihipStream_tbEUlT_E0_NS1_11comp_targetILNS1_3genE10ELNS1_11target_archE1201ELNS1_3gpuE5ELNS1_3repE0EEENS1_30default_config_static_selectorELNS0_4arch9wavefront6targetE0EEEvS14_
	.p2align	8
	.type	_ZN7rocprim17ROCPRIM_400000_NS6detail17trampoline_kernelINS0_14default_configENS1_22reduce_config_selectorIN6thrust23THRUST_200600_302600_NS5tupleIblNS6_9null_typeES8_S8_S8_S8_S8_S8_S8_EEEEZNS1_11reduce_implILb1ES3_NS6_12zip_iteratorINS7_INS6_11hip_rocprim26transform_input_iterator_tIbNSD_35transform_pair_of_input_iterators_tIbNS6_6detail15normal_iteratorINS6_10device_ptrIKdEEEESL_NS6_8equal_toIdEEEENSG_9not_fun_tINSD_8identityEEEEENSD_19counting_iterator_tIlEES8_S8_S8_S8_S8_S8_S8_S8_EEEEPS9_S9_NSD_9__find_if7functorIS9_EEEE10hipError_tPvRmT1_T2_T3_mT4_P12ihipStream_tbEUlT_E0_NS1_11comp_targetILNS1_3genE10ELNS1_11target_archE1201ELNS1_3gpuE5ELNS1_3repE0EEENS1_30default_config_static_selectorELNS0_4arch9wavefront6targetE0EEEvS14_,@function
_ZN7rocprim17ROCPRIM_400000_NS6detail17trampoline_kernelINS0_14default_configENS1_22reduce_config_selectorIN6thrust23THRUST_200600_302600_NS5tupleIblNS6_9null_typeES8_S8_S8_S8_S8_S8_S8_EEEEZNS1_11reduce_implILb1ES3_NS6_12zip_iteratorINS7_INS6_11hip_rocprim26transform_input_iterator_tIbNSD_35transform_pair_of_input_iterators_tIbNS6_6detail15normal_iteratorINS6_10device_ptrIKdEEEESL_NS6_8equal_toIdEEEENSG_9not_fun_tINSD_8identityEEEEENSD_19counting_iterator_tIlEES8_S8_S8_S8_S8_S8_S8_S8_EEEEPS9_S9_NSD_9__find_if7functorIS9_EEEE10hipError_tPvRmT1_T2_T3_mT4_P12ihipStream_tbEUlT_E0_NS1_11comp_targetILNS1_3genE10ELNS1_11target_archE1201ELNS1_3gpuE5ELNS1_3repE0EEENS1_30default_config_static_selectorELNS0_4arch9wavefront6targetE0EEEvS14_: ; @_ZN7rocprim17ROCPRIM_400000_NS6detail17trampoline_kernelINS0_14default_configENS1_22reduce_config_selectorIN6thrust23THRUST_200600_302600_NS5tupleIblNS6_9null_typeES8_S8_S8_S8_S8_S8_S8_EEEEZNS1_11reduce_implILb1ES3_NS6_12zip_iteratorINS7_INS6_11hip_rocprim26transform_input_iterator_tIbNSD_35transform_pair_of_input_iterators_tIbNS6_6detail15normal_iteratorINS6_10device_ptrIKdEEEESL_NS6_8equal_toIdEEEENSG_9not_fun_tINSD_8identityEEEEENSD_19counting_iterator_tIlEES8_S8_S8_S8_S8_S8_S8_S8_EEEEPS9_S9_NSD_9__find_if7functorIS9_EEEE10hipError_tPvRmT1_T2_T3_mT4_P12ihipStream_tbEUlT_E0_NS1_11comp_targetILNS1_3genE10ELNS1_11target_archE1201ELNS1_3gpuE5ELNS1_3repE0EEENS1_30default_config_static_selectorELNS0_4arch9wavefront6targetE0EEEvS14_
; %bb.0:
	.section	.rodata,"a",@progbits
	.p2align	6, 0x0
	.amdhsa_kernel _ZN7rocprim17ROCPRIM_400000_NS6detail17trampoline_kernelINS0_14default_configENS1_22reduce_config_selectorIN6thrust23THRUST_200600_302600_NS5tupleIblNS6_9null_typeES8_S8_S8_S8_S8_S8_S8_EEEEZNS1_11reduce_implILb1ES3_NS6_12zip_iteratorINS7_INS6_11hip_rocprim26transform_input_iterator_tIbNSD_35transform_pair_of_input_iterators_tIbNS6_6detail15normal_iteratorINS6_10device_ptrIKdEEEESL_NS6_8equal_toIdEEEENSG_9not_fun_tINSD_8identityEEEEENSD_19counting_iterator_tIlEES8_S8_S8_S8_S8_S8_S8_S8_EEEEPS9_S9_NSD_9__find_if7functorIS9_EEEE10hipError_tPvRmT1_T2_T3_mT4_P12ihipStream_tbEUlT_E0_NS1_11comp_targetILNS1_3genE10ELNS1_11target_archE1201ELNS1_3gpuE5ELNS1_3repE0EEENS1_30default_config_static_selectorELNS0_4arch9wavefront6targetE0EEEvS14_
		.amdhsa_group_segment_fixed_size 0
		.amdhsa_private_segment_fixed_size 0
		.amdhsa_kernarg_size 104
		.amdhsa_user_sgpr_count 6
		.amdhsa_user_sgpr_private_segment_buffer 1
		.amdhsa_user_sgpr_dispatch_ptr 0
		.amdhsa_user_sgpr_queue_ptr 0
		.amdhsa_user_sgpr_kernarg_segment_ptr 1
		.amdhsa_user_sgpr_dispatch_id 0
		.amdhsa_user_sgpr_flat_scratch_init 0
		.amdhsa_user_sgpr_private_segment_size 0
		.amdhsa_wavefront_size32 1
		.amdhsa_uses_dynamic_stack 0
		.amdhsa_system_sgpr_private_segment_wavefront_offset 0
		.amdhsa_system_sgpr_workgroup_id_x 1
		.amdhsa_system_sgpr_workgroup_id_y 0
		.amdhsa_system_sgpr_workgroup_id_z 0
		.amdhsa_system_sgpr_workgroup_info 0
		.amdhsa_system_vgpr_workitem_id 0
		.amdhsa_next_free_vgpr 1
		.amdhsa_next_free_sgpr 1
		.amdhsa_reserve_vcc 0
		.amdhsa_reserve_flat_scratch 0
		.amdhsa_float_round_mode_32 0
		.amdhsa_float_round_mode_16_64 0
		.amdhsa_float_denorm_mode_32 3
		.amdhsa_float_denorm_mode_16_64 3
		.amdhsa_dx10_clamp 1
		.amdhsa_ieee_mode 1
		.amdhsa_fp16_overflow 0
		.amdhsa_workgroup_processor_mode 1
		.amdhsa_memory_ordered 1
		.amdhsa_forward_progress 1
		.amdhsa_shared_vgpr_count 0
		.amdhsa_exception_fp_ieee_invalid_op 0
		.amdhsa_exception_fp_denorm_src 0
		.amdhsa_exception_fp_ieee_div_zero 0
		.amdhsa_exception_fp_ieee_overflow 0
		.amdhsa_exception_fp_ieee_underflow 0
		.amdhsa_exception_fp_ieee_inexact 0
		.amdhsa_exception_int_div_zero 0
	.end_amdhsa_kernel
	.section	.text._ZN7rocprim17ROCPRIM_400000_NS6detail17trampoline_kernelINS0_14default_configENS1_22reduce_config_selectorIN6thrust23THRUST_200600_302600_NS5tupleIblNS6_9null_typeES8_S8_S8_S8_S8_S8_S8_EEEEZNS1_11reduce_implILb1ES3_NS6_12zip_iteratorINS7_INS6_11hip_rocprim26transform_input_iterator_tIbNSD_35transform_pair_of_input_iterators_tIbNS6_6detail15normal_iteratorINS6_10device_ptrIKdEEEESL_NS6_8equal_toIdEEEENSG_9not_fun_tINSD_8identityEEEEENSD_19counting_iterator_tIlEES8_S8_S8_S8_S8_S8_S8_S8_EEEEPS9_S9_NSD_9__find_if7functorIS9_EEEE10hipError_tPvRmT1_T2_T3_mT4_P12ihipStream_tbEUlT_E0_NS1_11comp_targetILNS1_3genE10ELNS1_11target_archE1201ELNS1_3gpuE5ELNS1_3repE0EEENS1_30default_config_static_selectorELNS0_4arch9wavefront6targetE0EEEvS14_,"axG",@progbits,_ZN7rocprim17ROCPRIM_400000_NS6detail17trampoline_kernelINS0_14default_configENS1_22reduce_config_selectorIN6thrust23THRUST_200600_302600_NS5tupleIblNS6_9null_typeES8_S8_S8_S8_S8_S8_S8_EEEEZNS1_11reduce_implILb1ES3_NS6_12zip_iteratorINS7_INS6_11hip_rocprim26transform_input_iterator_tIbNSD_35transform_pair_of_input_iterators_tIbNS6_6detail15normal_iteratorINS6_10device_ptrIKdEEEESL_NS6_8equal_toIdEEEENSG_9not_fun_tINSD_8identityEEEEENSD_19counting_iterator_tIlEES8_S8_S8_S8_S8_S8_S8_S8_EEEEPS9_S9_NSD_9__find_if7functorIS9_EEEE10hipError_tPvRmT1_T2_T3_mT4_P12ihipStream_tbEUlT_E0_NS1_11comp_targetILNS1_3genE10ELNS1_11target_archE1201ELNS1_3gpuE5ELNS1_3repE0EEENS1_30default_config_static_selectorELNS0_4arch9wavefront6targetE0EEEvS14_,comdat
.Lfunc_end42:
	.size	_ZN7rocprim17ROCPRIM_400000_NS6detail17trampoline_kernelINS0_14default_configENS1_22reduce_config_selectorIN6thrust23THRUST_200600_302600_NS5tupleIblNS6_9null_typeES8_S8_S8_S8_S8_S8_S8_EEEEZNS1_11reduce_implILb1ES3_NS6_12zip_iteratorINS7_INS6_11hip_rocprim26transform_input_iterator_tIbNSD_35transform_pair_of_input_iterators_tIbNS6_6detail15normal_iteratorINS6_10device_ptrIKdEEEESL_NS6_8equal_toIdEEEENSG_9not_fun_tINSD_8identityEEEEENSD_19counting_iterator_tIlEES8_S8_S8_S8_S8_S8_S8_S8_EEEEPS9_S9_NSD_9__find_if7functorIS9_EEEE10hipError_tPvRmT1_T2_T3_mT4_P12ihipStream_tbEUlT_E0_NS1_11comp_targetILNS1_3genE10ELNS1_11target_archE1201ELNS1_3gpuE5ELNS1_3repE0EEENS1_30default_config_static_selectorELNS0_4arch9wavefront6targetE0EEEvS14_, .Lfunc_end42-_ZN7rocprim17ROCPRIM_400000_NS6detail17trampoline_kernelINS0_14default_configENS1_22reduce_config_selectorIN6thrust23THRUST_200600_302600_NS5tupleIblNS6_9null_typeES8_S8_S8_S8_S8_S8_S8_EEEEZNS1_11reduce_implILb1ES3_NS6_12zip_iteratorINS7_INS6_11hip_rocprim26transform_input_iterator_tIbNSD_35transform_pair_of_input_iterators_tIbNS6_6detail15normal_iteratorINS6_10device_ptrIKdEEEESL_NS6_8equal_toIdEEEENSG_9not_fun_tINSD_8identityEEEEENSD_19counting_iterator_tIlEES8_S8_S8_S8_S8_S8_S8_S8_EEEEPS9_S9_NSD_9__find_if7functorIS9_EEEE10hipError_tPvRmT1_T2_T3_mT4_P12ihipStream_tbEUlT_E0_NS1_11comp_targetILNS1_3genE10ELNS1_11target_archE1201ELNS1_3gpuE5ELNS1_3repE0EEENS1_30default_config_static_selectorELNS0_4arch9wavefront6targetE0EEEvS14_
                                        ; -- End function
	.set _ZN7rocprim17ROCPRIM_400000_NS6detail17trampoline_kernelINS0_14default_configENS1_22reduce_config_selectorIN6thrust23THRUST_200600_302600_NS5tupleIblNS6_9null_typeES8_S8_S8_S8_S8_S8_S8_EEEEZNS1_11reduce_implILb1ES3_NS6_12zip_iteratorINS7_INS6_11hip_rocprim26transform_input_iterator_tIbNSD_35transform_pair_of_input_iterators_tIbNS6_6detail15normal_iteratorINS6_10device_ptrIKdEEEESL_NS6_8equal_toIdEEEENSG_9not_fun_tINSD_8identityEEEEENSD_19counting_iterator_tIlEES8_S8_S8_S8_S8_S8_S8_S8_EEEEPS9_S9_NSD_9__find_if7functorIS9_EEEE10hipError_tPvRmT1_T2_T3_mT4_P12ihipStream_tbEUlT_E0_NS1_11comp_targetILNS1_3genE10ELNS1_11target_archE1201ELNS1_3gpuE5ELNS1_3repE0EEENS1_30default_config_static_selectorELNS0_4arch9wavefront6targetE0EEEvS14_.num_vgpr, 0
	.set _ZN7rocprim17ROCPRIM_400000_NS6detail17trampoline_kernelINS0_14default_configENS1_22reduce_config_selectorIN6thrust23THRUST_200600_302600_NS5tupleIblNS6_9null_typeES8_S8_S8_S8_S8_S8_S8_EEEEZNS1_11reduce_implILb1ES3_NS6_12zip_iteratorINS7_INS6_11hip_rocprim26transform_input_iterator_tIbNSD_35transform_pair_of_input_iterators_tIbNS6_6detail15normal_iteratorINS6_10device_ptrIKdEEEESL_NS6_8equal_toIdEEEENSG_9not_fun_tINSD_8identityEEEEENSD_19counting_iterator_tIlEES8_S8_S8_S8_S8_S8_S8_S8_EEEEPS9_S9_NSD_9__find_if7functorIS9_EEEE10hipError_tPvRmT1_T2_T3_mT4_P12ihipStream_tbEUlT_E0_NS1_11comp_targetILNS1_3genE10ELNS1_11target_archE1201ELNS1_3gpuE5ELNS1_3repE0EEENS1_30default_config_static_selectorELNS0_4arch9wavefront6targetE0EEEvS14_.num_agpr, 0
	.set _ZN7rocprim17ROCPRIM_400000_NS6detail17trampoline_kernelINS0_14default_configENS1_22reduce_config_selectorIN6thrust23THRUST_200600_302600_NS5tupleIblNS6_9null_typeES8_S8_S8_S8_S8_S8_S8_EEEEZNS1_11reduce_implILb1ES3_NS6_12zip_iteratorINS7_INS6_11hip_rocprim26transform_input_iterator_tIbNSD_35transform_pair_of_input_iterators_tIbNS6_6detail15normal_iteratorINS6_10device_ptrIKdEEEESL_NS6_8equal_toIdEEEENSG_9not_fun_tINSD_8identityEEEEENSD_19counting_iterator_tIlEES8_S8_S8_S8_S8_S8_S8_S8_EEEEPS9_S9_NSD_9__find_if7functorIS9_EEEE10hipError_tPvRmT1_T2_T3_mT4_P12ihipStream_tbEUlT_E0_NS1_11comp_targetILNS1_3genE10ELNS1_11target_archE1201ELNS1_3gpuE5ELNS1_3repE0EEENS1_30default_config_static_selectorELNS0_4arch9wavefront6targetE0EEEvS14_.numbered_sgpr, 0
	.set _ZN7rocprim17ROCPRIM_400000_NS6detail17trampoline_kernelINS0_14default_configENS1_22reduce_config_selectorIN6thrust23THRUST_200600_302600_NS5tupleIblNS6_9null_typeES8_S8_S8_S8_S8_S8_S8_EEEEZNS1_11reduce_implILb1ES3_NS6_12zip_iteratorINS7_INS6_11hip_rocprim26transform_input_iterator_tIbNSD_35transform_pair_of_input_iterators_tIbNS6_6detail15normal_iteratorINS6_10device_ptrIKdEEEESL_NS6_8equal_toIdEEEENSG_9not_fun_tINSD_8identityEEEEENSD_19counting_iterator_tIlEES8_S8_S8_S8_S8_S8_S8_S8_EEEEPS9_S9_NSD_9__find_if7functorIS9_EEEE10hipError_tPvRmT1_T2_T3_mT4_P12ihipStream_tbEUlT_E0_NS1_11comp_targetILNS1_3genE10ELNS1_11target_archE1201ELNS1_3gpuE5ELNS1_3repE0EEENS1_30default_config_static_selectorELNS0_4arch9wavefront6targetE0EEEvS14_.num_named_barrier, 0
	.set _ZN7rocprim17ROCPRIM_400000_NS6detail17trampoline_kernelINS0_14default_configENS1_22reduce_config_selectorIN6thrust23THRUST_200600_302600_NS5tupleIblNS6_9null_typeES8_S8_S8_S8_S8_S8_S8_EEEEZNS1_11reduce_implILb1ES3_NS6_12zip_iteratorINS7_INS6_11hip_rocprim26transform_input_iterator_tIbNSD_35transform_pair_of_input_iterators_tIbNS6_6detail15normal_iteratorINS6_10device_ptrIKdEEEESL_NS6_8equal_toIdEEEENSG_9not_fun_tINSD_8identityEEEEENSD_19counting_iterator_tIlEES8_S8_S8_S8_S8_S8_S8_S8_EEEEPS9_S9_NSD_9__find_if7functorIS9_EEEE10hipError_tPvRmT1_T2_T3_mT4_P12ihipStream_tbEUlT_E0_NS1_11comp_targetILNS1_3genE10ELNS1_11target_archE1201ELNS1_3gpuE5ELNS1_3repE0EEENS1_30default_config_static_selectorELNS0_4arch9wavefront6targetE0EEEvS14_.private_seg_size, 0
	.set _ZN7rocprim17ROCPRIM_400000_NS6detail17trampoline_kernelINS0_14default_configENS1_22reduce_config_selectorIN6thrust23THRUST_200600_302600_NS5tupleIblNS6_9null_typeES8_S8_S8_S8_S8_S8_S8_EEEEZNS1_11reduce_implILb1ES3_NS6_12zip_iteratorINS7_INS6_11hip_rocprim26transform_input_iterator_tIbNSD_35transform_pair_of_input_iterators_tIbNS6_6detail15normal_iteratorINS6_10device_ptrIKdEEEESL_NS6_8equal_toIdEEEENSG_9not_fun_tINSD_8identityEEEEENSD_19counting_iterator_tIlEES8_S8_S8_S8_S8_S8_S8_S8_EEEEPS9_S9_NSD_9__find_if7functorIS9_EEEE10hipError_tPvRmT1_T2_T3_mT4_P12ihipStream_tbEUlT_E0_NS1_11comp_targetILNS1_3genE10ELNS1_11target_archE1201ELNS1_3gpuE5ELNS1_3repE0EEENS1_30default_config_static_selectorELNS0_4arch9wavefront6targetE0EEEvS14_.uses_vcc, 0
	.set _ZN7rocprim17ROCPRIM_400000_NS6detail17trampoline_kernelINS0_14default_configENS1_22reduce_config_selectorIN6thrust23THRUST_200600_302600_NS5tupleIblNS6_9null_typeES8_S8_S8_S8_S8_S8_S8_EEEEZNS1_11reduce_implILb1ES3_NS6_12zip_iteratorINS7_INS6_11hip_rocprim26transform_input_iterator_tIbNSD_35transform_pair_of_input_iterators_tIbNS6_6detail15normal_iteratorINS6_10device_ptrIKdEEEESL_NS6_8equal_toIdEEEENSG_9not_fun_tINSD_8identityEEEEENSD_19counting_iterator_tIlEES8_S8_S8_S8_S8_S8_S8_S8_EEEEPS9_S9_NSD_9__find_if7functorIS9_EEEE10hipError_tPvRmT1_T2_T3_mT4_P12ihipStream_tbEUlT_E0_NS1_11comp_targetILNS1_3genE10ELNS1_11target_archE1201ELNS1_3gpuE5ELNS1_3repE0EEENS1_30default_config_static_selectorELNS0_4arch9wavefront6targetE0EEEvS14_.uses_flat_scratch, 0
	.set _ZN7rocprim17ROCPRIM_400000_NS6detail17trampoline_kernelINS0_14default_configENS1_22reduce_config_selectorIN6thrust23THRUST_200600_302600_NS5tupleIblNS6_9null_typeES8_S8_S8_S8_S8_S8_S8_EEEEZNS1_11reduce_implILb1ES3_NS6_12zip_iteratorINS7_INS6_11hip_rocprim26transform_input_iterator_tIbNSD_35transform_pair_of_input_iterators_tIbNS6_6detail15normal_iteratorINS6_10device_ptrIKdEEEESL_NS6_8equal_toIdEEEENSG_9not_fun_tINSD_8identityEEEEENSD_19counting_iterator_tIlEES8_S8_S8_S8_S8_S8_S8_S8_EEEEPS9_S9_NSD_9__find_if7functorIS9_EEEE10hipError_tPvRmT1_T2_T3_mT4_P12ihipStream_tbEUlT_E0_NS1_11comp_targetILNS1_3genE10ELNS1_11target_archE1201ELNS1_3gpuE5ELNS1_3repE0EEENS1_30default_config_static_selectorELNS0_4arch9wavefront6targetE0EEEvS14_.has_dyn_sized_stack, 0
	.set _ZN7rocprim17ROCPRIM_400000_NS6detail17trampoline_kernelINS0_14default_configENS1_22reduce_config_selectorIN6thrust23THRUST_200600_302600_NS5tupleIblNS6_9null_typeES8_S8_S8_S8_S8_S8_S8_EEEEZNS1_11reduce_implILb1ES3_NS6_12zip_iteratorINS7_INS6_11hip_rocprim26transform_input_iterator_tIbNSD_35transform_pair_of_input_iterators_tIbNS6_6detail15normal_iteratorINS6_10device_ptrIKdEEEESL_NS6_8equal_toIdEEEENSG_9not_fun_tINSD_8identityEEEEENSD_19counting_iterator_tIlEES8_S8_S8_S8_S8_S8_S8_S8_EEEEPS9_S9_NSD_9__find_if7functorIS9_EEEE10hipError_tPvRmT1_T2_T3_mT4_P12ihipStream_tbEUlT_E0_NS1_11comp_targetILNS1_3genE10ELNS1_11target_archE1201ELNS1_3gpuE5ELNS1_3repE0EEENS1_30default_config_static_selectorELNS0_4arch9wavefront6targetE0EEEvS14_.has_recursion, 0
	.set _ZN7rocprim17ROCPRIM_400000_NS6detail17trampoline_kernelINS0_14default_configENS1_22reduce_config_selectorIN6thrust23THRUST_200600_302600_NS5tupleIblNS6_9null_typeES8_S8_S8_S8_S8_S8_S8_EEEEZNS1_11reduce_implILb1ES3_NS6_12zip_iteratorINS7_INS6_11hip_rocprim26transform_input_iterator_tIbNSD_35transform_pair_of_input_iterators_tIbNS6_6detail15normal_iteratorINS6_10device_ptrIKdEEEESL_NS6_8equal_toIdEEEENSG_9not_fun_tINSD_8identityEEEEENSD_19counting_iterator_tIlEES8_S8_S8_S8_S8_S8_S8_S8_EEEEPS9_S9_NSD_9__find_if7functorIS9_EEEE10hipError_tPvRmT1_T2_T3_mT4_P12ihipStream_tbEUlT_E0_NS1_11comp_targetILNS1_3genE10ELNS1_11target_archE1201ELNS1_3gpuE5ELNS1_3repE0EEENS1_30default_config_static_selectorELNS0_4arch9wavefront6targetE0EEEvS14_.has_indirect_call, 0
	.section	.AMDGPU.csdata,"",@progbits
; Kernel info:
; codeLenInByte = 0
; TotalNumSgprs: 0
; NumVgprs: 0
; ScratchSize: 0
; MemoryBound: 0
; FloatMode: 240
; IeeeMode: 1
; LDSByteSize: 0 bytes/workgroup (compile time only)
; SGPRBlocks: 0
; VGPRBlocks: 0
; NumSGPRsForWavesPerEU: 1
; NumVGPRsForWavesPerEU: 1
; Occupancy: 16
; WaveLimiterHint : 0
; COMPUTE_PGM_RSRC2:SCRATCH_EN: 0
; COMPUTE_PGM_RSRC2:USER_SGPR: 6
; COMPUTE_PGM_RSRC2:TRAP_HANDLER: 0
; COMPUTE_PGM_RSRC2:TGID_X_EN: 1
; COMPUTE_PGM_RSRC2:TGID_Y_EN: 0
; COMPUTE_PGM_RSRC2:TGID_Z_EN: 0
; COMPUTE_PGM_RSRC2:TIDIG_COMP_CNT: 0
	.section	.text._ZN7rocprim17ROCPRIM_400000_NS6detail17trampoline_kernelINS0_14default_configENS1_22reduce_config_selectorIN6thrust23THRUST_200600_302600_NS5tupleIblNS6_9null_typeES8_S8_S8_S8_S8_S8_S8_EEEEZNS1_11reduce_implILb1ES3_NS6_12zip_iteratorINS7_INS6_11hip_rocprim26transform_input_iterator_tIbNSD_35transform_pair_of_input_iterators_tIbNS6_6detail15normal_iteratorINS6_10device_ptrIKdEEEESL_NS6_8equal_toIdEEEENSG_9not_fun_tINSD_8identityEEEEENSD_19counting_iterator_tIlEES8_S8_S8_S8_S8_S8_S8_S8_EEEEPS9_S9_NSD_9__find_if7functorIS9_EEEE10hipError_tPvRmT1_T2_T3_mT4_P12ihipStream_tbEUlT_E0_NS1_11comp_targetILNS1_3genE10ELNS1_11target_archE1200ELNS1_3gpuE4ELNS1_3repE0EEENS1_30default_config_static_selectorELNS0_4arch9wavefront6targetE0EEEvS14_,"axG",@progbits,_ZN7rocprim17ROCPRIM_400000_NS6detail17trampoline_kernelINS0_14default_configENS1_22reduce_config_selectorIN6thrust23THRUST_200600_302600_NS5tupleIblNS6_9null_typeES8_S8_S8_S8_S8_S8_S8_EEEEZNS1_11reduce_implILb1ES3_NS6_12zip_iteratorINS7_INS6_11hip_rocprim26transform_input_iterator_tIbNSD_35transform_pair_of_input_iterators_tIbNS6_6detail15normal_iteratorINS6_10device_ptrIKdEEEESL_NS6_8equal_toIdEEEENSG_9not_fun_tINSD_8identityEEEEENSD_19counting_iterator_tIlEES8_S8_S8_S8_S8_S8_S8_S8_EEEEPS9_S9_NSD_9__find_if7functorIS9_EEEE10hipError_tPvRmT1_T2_T3_mT4_P12ihipStream_tbEUlT_E0_NS1_11comp_targetILNS1_3genE10ELNS1_11target_archE1200ELNS1_3gpuE4ELNS1_3repE0EEENS1_30default_config_static_selectorELNS0_4arch9wavefront6targetE0EEEvS14_,comdat
	.protected	_ZN7rocprim17ROCPRIM_400000_NS6detail17trampoline_kernelINS0_14default_configENS1_22reduce_config_selectorIN6thrust23THRUST_200600_302600_NS5tupleIblNS6_9null_typeES8_S8_S8_S8_S8_S8_S8_EEEEZNS1_11reduce_implILb1ES3_NS6_12zip_iteratorINS7_INS6_11hip_rocprim26transform_input_iterator_tIbNSD_35transform_pair_of_input_iterators_tIbNS6_6detail15normal_iteratorINS6_10device_ptrIKdEEEESL_NS6_8equal_toIdEEEENSG_9not_fun_tINSD_8identityEEEEENSD_19counting_iterator_tIlEES8_S8_S8_S8_S8_S8_S8_S8_EEEEPS9_S9_NSD_9__find_if7functorIS9_EEEE10hipError_tPvRmT1_T2_T3_mT4_P12ihipStream_tbEUlT_E0_NS1_11comp_targetILNS1_3genE10ELNS1_11target_archE1200ELNS1_3gpuE4ELNS1_3repE0EEENS1_30default_config_static_selectorELNS0_4arch9wavefront6targetE0EEEvS14_ ; -- Begin function _ZN7rocprim17ROCPRIM_400000_NS6detail17trampoline_kernelINS0_14default_configENS1_22reduce_config_selectorIN6thrust23THRUST_200600_302600_NS5tupleIblNS6_9null_typeES8_S8_S8_S8_S8_S8_S8_EEEEZNS1_11reduce_implILb1ES3_NS6_12zip_iteratorINS7_INS6_11hip_rocprim26transform_input_iterator_tIbNSD_35transform_pair_of_input_iterators_tIbNS6_6detail15normal_iteratorINS6_10device_ptrIKdEEEESL_NS6_8equal_toIdEEEENSG_9not_fun_tINSD_8identityEEEEENSD_19counting_iterator_tIlEES8_S8_S8_S8_S8_S8_S8_S8_EEEEPS9_S9_NSD_9__find_if7functorIS9_EEEE10hipError_tPvRmT1_T2_T3_mT4_P12ihipStream_tbEUlT_E0_NS1_11comp_targetILNS1_3genE10ELNS1_11target_archE1200ELNS1_3gpuE4ELNS1_3repE0EEENS1_30default_config_static_selectorELNS0_4arch9wavefront6targetE0EEEvS14_
	.globl	_ZN7rocprim17ROCPRIM_400000_NS6detail17trampoline_kernelINS0_14default_configENS1_22reduce_config_selectorIN6thrust23THRUST_200600_302600_NS5tupleIblNS6_9null_typeES8_S8_S8_S8_S8_S8_S8_EEEEZNS1_11reduce_implILb1ES3_NS6_12zip_iteratorINS7_INS6_11hip_rocprim26transform_input_iterator_tIbNSD_35transform_pair_of_input_iterators_tIbNS6_6detail15normal_iteratorINS6_10device_ptrIKdEEEESL_NS6_8equal_toIdEEEENSG_9not_fun_tINSD_8identityEEEEENSD_19counting_iterator_tIlEES8_S8_S8_S8_S8_S8_S8_S8_EEEEPS9_S9_NSD_9__find_if7functorIS9_EEEE10hipError_tPvRmT1_T2_T3_mT4_P12ihipStream_tbEUlT_E0_NS1_11comp_targetILNS1_3genE10ELNS1_11target_archE1200ELNS1_3gpuE4ELNS1_3repE0EEENS1_30default_config_static_selectorELNS0_4arch9wavefront6targetE0EEEvS14_
	.p2align	8
	.type	_ZN7rocprim17ROCPRIM_400000_NS6detail17trampoline_kernelINS0_14default_configENS1_22reduce_config_selectorIN6thrust23THRUST_200600_302600_NS5tupleIblNS6_9null_typeES8_S8_S8_S8_S8_S8_S8_EEEEZNS1_11reduce_implILb1ES3_NS6_12zip_iteratorINS7_INS6_11hip_rocprim26transform_input_iterator_tIbNSD_35transform_pair_of_input_iterators_tIbNS6_6detail15normal_iteratorINS6_10device_ptrIKdEEEESL_NS6_8equal_toIdEEEENSG_9not_fun_tINSD_8identityEEEEENSD_19counting_iterator_tIlEES8_S8_S8_S8_S8_S8_S8_S8_EEEEPS9_S9_NSD_9__find_if7functorIS9_EEEE10hipError_tPvRmT1_T2_T3_mT4_P12ihipStream_tbEUlT_E0_NS1_11comp_targetILNS1_3genE10ELNS1_11target_archE1200ELNS1_3gpuE4ELNS1_3repE0EEENS1_30default_config_static_selectorELNS0_4arch9wavefront6targetE0EEEvS14_,@function
_ZN7rocprim17ROCPRIM_400000_NS6detail17trampoline_kernelINS0_14default_configENS1_22reduce_config_selectorIN6thrust23THRUST_200600_302600_NS5tupleIblNS6_9null_typeES8_S8_S8_S8_S8_S8_S8_EEEEZNS1_11reduce_implILb1ES3_NS6_12zip_iteratorINS7_INS6_11hip_rocprim26transform_input_iterator_tIbNSD_35transform_pair_of_input_iterators_tIbNS6_6detail15normal_iteratorINS6_10device_ptrIKdEEEESL_NS6_8equal_toIdEEEENSG_9not_fun_tINSD_8identityEEEEENSD_19counting_iterator_tIlEES8_S8_S8_S8_S8_S8_S8_S8_EEEEPS9_S9_NSD_9__find_if7functorIS9_EEEE10hipError_tPvRmT1_T2_T3_mT4_P12ihipStream_tbEUlT_E0_NS1_11comp_targetILNS1_3genE10ELNS1_11target_archE1200ELNS1_3gpuE4ELNS1_3repE0EEENS1_30default_config_static_selectorELNS0_4arch9wavefront6targetE0EEEvS14_: ; @_ZN7rocprim17ROCPRIM_400000_NS6detail17trampoline_kernelINS0_14default_configENS1_22reduce_config_selectorIN6thrust23THRUST_200600_302600_NS5tupleIblNS6_9null_typeES8_S8_S8_S8_S8_S8_S8_EEEEZNS1_11reduce_implILb1ES3_NS6_12zip_iteratorINS7_INS6_11hip_rocprim26transform_input_iterator_tIbNSD_35transform_pair_of_input_iterators_tIbNS6_6detail15normal_iteratorINS6_10device_ptrIKdEEEESL_NS6_8equal_toIdEEEENSG_9not_fun_tINSD_8identityEEEEENSD_19counting_iterator_tIlEES8_S8_S8_S8_S8_S8_S8_S8_EEEEPS9_S9_NSD_9__find_if7functorIS9_EEEE10hipError_tPvRmT1_T2_T3_mT4_P12ihipStream_tbEUlT_E0_NS1_11comp_targetILNS1_3genE10ELNS1_11target_archE1200ELNS1_3gpuE4ELNS1_3repE0EEENS1_30default_config_static_selectorELNS0_4arch9wavefront6targetE0EEEvS14_
; %bb.0:
	.section	.rodata,"a",@progbits
	.p2align	6, 0x0
	.amdhsa_kernel _ZN7rocprim17ROCPRIM_400000_NS6detail17trampoline_kernelINS0_14default_configENS1_22reduce_config_selectorIN6thrust23THRUST_200600_302600_NS5tupleIblNS6_9null_typeES8_S8_S8_S8_S8_S8_S8_EEEEZNS1_11reduce_implILb1ES3_NS6_12zip_iteratorINS7_INS6_11hip_rocprim26transform_input_iterator_tIbNSD_35transform_pair_of_input_iterators_tIbNS6_6detail15normal_iteratorINS6_10device_ptrIKdEEEESL_NS6_8equal_toIdEEEENSG_9not_fun_tINSD_8identityEEEEENSD_19counting_iterator_tIlEES8_S8_S8_S8_S8_S8_S8_S8_EEEEPS9_S9_NSD_9__find_if7functorIS9_EEEE10hipError_tPvRmT1_T2_T3_mT4_P12ihipStream_tbEUlT_E0_NS1_11comp_targetILNS1_3genE10ELNS1_11target_archE1200ELNS1_3gpuE4ELNS1_3repE0EEENS1_30default_config_static_selectorELNS0_4arch9wavefront6targetE0EEEvS14_
		.amdhsa_group_segment_fixed_size 0
		.amdhsa_private_segment_fixed_size 0
		.amdhsa_kernarg_size 104
		.amdhsa_user_sgpr_count 6
		.amdhsa_user_sgpr_private_segment_buffer 1
		.amdhsa_user_sgpr_dispatch_ptr 0
		.amdhsa_user_sgpr_queue_ptr 0
		.amdhsa_user_sgpr_kernarg_segment_ptr 1
		.amdhsa_user_sgpr_dispatch_id 0
		.amdhsa_user_sgpr_flat_scratch_init 0
		.amdhsa_user_sgpr_private_segment_size 0
		.amdhsa_wavefront_size32 1
		.amdhsa_uses_dynamic_stack 0
		.amdhsa_system_sgpr_private_segment_wavefront_offset 0
		.amdhsa_system_sgpr_workgroup_id_x 1
		.amdhsa_system_sgpr_workgroup_id_y 0
		.amdhsa_system_sgpr_workgroup_id_z 0
		.amdhsa_system_sgpr_workgroup_info 0
		.amdhsa_system_vgpr_workitem_id 0
		.amdhsa_next_free_vgpr 1
		.amdhsa_next_free_sgpr 1
		.amdhsa_reserve_vcc 0
		.amdhsa_reserve_flat_scratch 0
		.amdhsa_float_round_mode_32 0
		.amdhsa_float_round_mode_16_64 0
		.amdhsa_float_denorm_mode_32 3
		.amdhsa_float_denorm_mode_16_64 3
		.amdhsa_dx10_clamp 1
		.amdhsa_ieee_mode 1
		.amdhsa_fp16_overflow 0
		.amdhsa_workgroup_processor_mode 1
		.amdhsa_memory_ordered 1
		.amdhsa_forward_progress 1
		.amdhsa_shared_vgpr_count 0
		.amdhsa_exception_fp_ieee_invalid_op 0
		.amdhsa_exception_fp_denorm_src 0
		.amdhsa_exception_fp_ieee_div_zero 0
		.amdhsa_exception_fp_ieee_overflow 0
		.amdhsa_exception_fp_ieee_underflow 0
		.amdhsa_exception_fp_ieee_inexact 0
		.amdhsa_exception_int_div_zero 0
	.end_amdhsa_kernel
	.section	.text._ZN7rocprim17ROCPRIM_400000_NS6detail17trampoline_kernelINS0_14default_configENS1_22reduce_config_selectorIN6thrust23THRUST_200600_302600_NS5tupleIblNS6_9null_typeES8_S8_S8_S8_S8_S8_S8_EEEEZNS1_11reduce_implILb1ES3_NS6_12zip_iteratorINS7_INS6_11hip_rocprim26transform_input_iterator_tIbNSD_35transform_pair_of_input_iterators_tIbNS6_6detail15normal_iteratorINS6_10device_ptrIKdEEEESL_NS6_8equal_toIdEEEENSG_9not_fun_tINSD_8identityEEEEENSD_19counting_iterator_tIlEES8_S8_S8_S8_S8_S8_S8_S8_EEEEPS9_S9_NSD_9__find_if7functorIS9_EEEE10hipError_tPvRmT1_T2_T3_mT4_P12ihipStream_tbEUlT_E0_NS1_11comp_targetILNS1_3genE10ELNS1_11target_archE1200ELNS1_3gpuE4ELNS1_3repE0EEENS1_30default_config_static_selectorELNS0_4arch9wavefront6targetE0EEEvS14_,"axG",@progbits,_ZN7rocprim17ROCPRIM_400000_NS6detail17trampoline_kernelINS0_14default_configENS1_22reduce_config_selectorIN6thrust23THRUST_200600_302600_NS5tupleIblNS6_9null_typeES8_S8_S8_S8_S8_S8_S8_EEEEZNS1_11reduce_implILb1ES3_NS6_12zip_iteratorINS7_INS6_11hip_rocprim26transform_input_iterator_tIbNSD_35transform_pair_of_input_iterators_tIbNS6_6detail15normal_iteratorINS6_10device_ptrIKdEEEESL_NS6_8equal_toIdEEEENSG_9not_fun_tINSD_8identityEEEEENSD_19counting_iterator_tIlEES8_S8_S8_S8_S8_S8_S8_S8_EEEEPS9_S9_NSD_9__find_if7functorIS9_EEEE10hipError_tPvRmT1_T2_T3_mT4_P12ihipStream_tbEUlT_E0_NS1_11comp_targetILNS1_3genE10ELNS1_11target_archE1200ELNS1_3gpuE4ELNS1_3repE0EEENS1_30default_config_static_selectorELNS0_4arch9wavefront6targetE0EEEvS14_,comdat
.Lfunc_end43:
	.size	_ZN7rocprim17ROCPRIM_400000_NS6detail17trampoline_kernelINS0_14default_configENS1_22reduce_config_selectorIN6thrust23THRUST_200600_302600_NS5tupleIblNS6_9null_typeES8_S8_S8_S8_S8_S8_S8_EEEEZNS1_11reduce_implILb1ES3_NS6_12zip_iteratorINS7_INS6_11hip_rocprim26transform_input_iterator_tIbNSD_35transform_pair_of_input_iterators_tIbNS6_6detail15normal_iteratorINS6_10device_ptrIKdEEEESL_NS6_8equal_toIdEEEENSG_9not_fun_tINSD_8identityEEEEENSD_19counting_iterator_tIlEES8_S8_S8_S8_S8_S8_S8_S8_EEEEPS9_S9_NSD_9__find_if7functorIS9_EEEE10hipError_tPvRmT1_T2_T3_mT4_P12ihipStream_tbEUlT_E0_NS1_11comp_targetILNS1_3genE10ELNS1_11target_archE1200ELNS1_3gpuE4ELNS1_3repE0EEENS1_30default_config_static_selectorELNS0_4arch9wavefront6targetE0EEEvS14_, .Lfunc_end43-_ZN7rocprim17ROCPRIM_400000_NS6detail17trampoline_kernelINS0_14default_configENS1_22reduce_config_selectorIN6thrust23THRUST_200600_302600_NS5tupleIblNS6_9null_typeES8_S8_S8_S8_S8_S8_S8_EEEEZNS1_11reduce_implILb1ES3_NS6_12zip_iteratorINS7_INS6_11hip_rocprim26transform_input_iterator_tIbNSD_35transform_pair_of_input_iterators_tIbNS6_6detail15normal_iteratorINS6_10device_ptrIKdEEEESL_NS6_8equal_toIdEEEENSG_9not_fun_tINSD_8identityEEEEENSD_19counting_iterator_tIlEES8_S8_S8_S8_S8_S8_S8_S8_EEEEPS9_S9_NSD_9__find_if7functorIS9_EEEE10hipError_tPvRmT1_T2_T3_mT4_P12ihipStream_tbEUlT_E0_NS1_11comp_targetILNS1_3genE10ELNS1_11target_archE1200ELNS1_3gpuE4ELNS1_3repE0EEENS1_30default_config_static_selectorELNS0_4arch9wavefront6targetE0EEEvS14_
                                        ; -- End function
	.set _ZN7rocprim17ROCPRIM_400000_NS6detail17trampoline_kernelINS0_14default_configENS1_22reduce_config_selectorIN6thrust23THRUST_200600_302600_NS5tupleIblNS6_9null_typeES8_S8_S8_S8_S8_S8_S8_EEEEZNS1_11reduce_implILb1ES3_NS6_12zip_iteratorINS7_INS6_11hip_rocprim26transform_input_iterator_tIbNSD_35transform_pair_of_input_iterators_tIbNS6_6detail15normal_iteratorINS6_10device_ptrIKdEEEESL_NS6_8equal_toIdEEEENSG_9not_fun_tINSD_8identityEEEEENSD_19counting_iterator_tIlEES8_S8_S8_S8_S8_S8_S8_S8_EEEEPS9_S9_NSD_9__find_if7functorIS9_EEEE10hipError_tPvRmT1_T2_T3_mT4_P12ihipStream_tbEUlT_E0_NS1_11comp_targetILNS1_3genE10ELNS1_11target_archE1200ELNS1_3gpuE4ELNS1_3repE0EEENS1_30default_config_static_selectorELNS0_4arch9wavefront6targetE0EEEvS14_.num_vgpr, 0
	.set _ZN7rocprim17ROCPRIM_400000_NS6detail17trampoline_kernelINS0_14default_configENS1_22reduce_config_selectorIN6thrust23THRUST_200600_302600_NS5tupleIblNS6_9null_typeES8_S8_S8_S8_S8_S8_S8_EEEEZNS1_11reduce_implILb1ES3_NS6_12zip_iteratorINS7_INS6_11hip_rocprim26transform_input_iterator_tIbNSD_35transform_pair_of_input_iterators_tIbNS6_6detail15normal_iteratorINS6_10device_ptrIKdEEEESL_NS6_8equal_toIdEEEENSG_9not_fun_tINSD_8identityEEEEENSD_19counting_iterator_tIlEES8_S8_S8_S8_S8_S8_S8_S8_EEEEPS9_S9_NSD_9__find_if7functorIS9_EEEE10hipError_tPvRmT1_T2_T3_mT4_P12ihipStream_tbEUlT_E0_NS1_11comp_targetILNS1_3genE10ELNS1_11target_archE1200ELNS1_3gpuE4ELNS1_3repE0EEENS1_30default_config_static_selectorELNS0_4arch9wavefront6targetE0EEEvS14_.num_agpr, 0
	.set _ZN7rocprim17ROCPRIM_400000_NS6detail17trampoline_kernelINS0_14default_configENS1_22reduce_config_selectorIN6thrust23THRUST_200600_302600_NS5tupleIblNS6_9null_typeES8_S8_S8_S8_S8_S8_S8_EEEEZNS1_11reduce_implILb1ES3_NS6_12zip_iteratorINS7_INS6_11hip_rocprim26transform_input_iterator_tIbNSD_35transform_pair_of_input_iterators_tIbNS6_6detail15normal_iteratorINS6_10device_ptrIKdEEEESL_NS6_8equal_toIdEEEENSG_9not_fun_tINSD_8identityEEEEENSD_19counting_iterator_tIlEES8_S8_S8_S8_S8_S8_S8_S8_EEEEPS9_S9_NSD_9__find_if7functorIS9_EEEE10hipError_tPvRmT1_T2_T3_mT4_P12ihipStream_tbEUlT_E0_NS1_11comp_targetILNS1_3genE10ELNS1_11target_archE1200ELNS1_3gpuE4ELNS1_3repE0EEENS1_30default_config_static_selectorELNS0_4arch9wavefront6targetE0EEEvS14_.numbered_sgpr, 0
	.set _ZN7rocprim17ROCPRIM_400000_NS6detail17trampoline_kernelINS0_14default_configENS1_22reduce_config_selectorIN6thrust23THRUST_200600_302600_NS5tupleIblNS6_9null_typeES8_S8_S8_S8_S8_S8_S8_EEEEZNS1_11reduce_implILb1ES3_NS6_12zip_iteratorINS7_INS6_11hip_rocprim26transform_input_iterator_tIbNSD_35transform_pair_of_input_iterators_tIbNS6_6detail15normal_iteratorINS6_10device_ptrIKdEEEESL_NS6_8equal_toIdEEEENSG_9not_fun_tINSD_8identityEEEEENSD_19counting_iterator_tIlEES8_S8_S8_S8_S8_S8_S8_S8_EEEEPS9_S9_NSD_9__find_if7functorIS9_EEEE10hipError_tPvRmT1_T2_T3_mT4_P12ihipStream_tbEUlT_E0_NS1_11comp_targetILNS1_3genE10ELNS1_11target_archE1200ELNS1_3gpuE4ELNS1_3repE0EEENS1_30default_config_static_selectorELNS0_4arch9wavefront6targetE0EEEvS14_.num_named_barrier, 0
	.set _ZN7rocprim17ROCPRIM_400000_NS6detail17trampoline_kernelINS0_14default_configENS1_22reduce_config_selectorIN6thrust23THRUST_200600_302600_NS5tupleIblNS6_9null_typeES8_S8_S8_S8_S8_S8_S8_EEEEZNS1_11reduce_implILb1ES3_NS6_12zip_iteratorINS7_INS6_11hip_rocprim26transform_input_iterator_tIbNSD_35transform_pair_of_input_iterators_tIbNS6_6detail15normal_iteratorINS6_10device_ptrIKdEEEESL_NS6_8equal_toIdEEEENSG_9not_fun_tINSD_8identityEEEEENSD_19counting_iterator_tIlEES8_S8_S8_S8_S8_S8_S8_S8_EEEEPS9_S9_NSD_9__find_if7functorIS9_EEEE10hipError_tPvRmT1_T2_T3_mT4_P12ihipStream_tbEUlT_E0_NS1_11comp_targetILNS1_3genE10ELNS1_11target_archE1200ELNS1_3gpuE4ELNS1_3repE0EEENS1_30default_config_static_selectorELNS0_4arch9wavefront6targetE0EEEvS14_.private_seg_size, 0
	.set _ZN7rocprim17ROCPRIM_400000_NS6detail17trampoline_kernelINS0_14default_configENS1_22reduce_config_selectorIN6thrust23THRUST_200600_302600_NS5tupleIblNS6_9null_typeES8_S8_S8_S8_S8_S8_S8_EEEEZNS1_11reduce_implILb1ES3_NS6_12zip_iteratorINS7_INS6_11hip_rocprim26transform_input_iterator_tIbNSD_35transform_pair_of_input_iterators_tIbNS6_6detail15normal_iteratorINS6_10device_ptrIKdEEEESL_NS6_8equal_toIdEEEENSG_9not_fun_tINSD_8identityEEEEENSD_19counting_iterator_tIlEES8_S8_S8_S8_S8_S8_S8_S8_EEEEPS9_S9_NSD_9__find_if7functorIS9_EEEE10hipError_tPvRmT1_T2_T3_mT4_P12ihipStream_tbEUlT_E0_NS1_11comp_targetILNS1_3genE10ELNS1_11target_archE1200ELNS1_3gpuE4ELNS1_3repE0EEENS1_30default_config_static_selectorELNS0_4arch9wavefront6targetE0EEEvS14_.uses_vcc, 0
	.set _ZN7rocprim17ROCPRIM_400000_NS6detail17trampoline_kernelINS0_14default_configENS1_22reduce_config_selectorIN6thrust23THRUST_200600_302600_NS5tupleIblNS6_9null_typeES8_S8_S8_S8_S8_S8_S8_EEEEZNS1_11reduce_implILb1ES3_NS6_12zip_iteratorINS7_INS6_11hip_rocprim26transform_input_iterator_tIbNSD_35transform_pair_of_input_iterators_tIbNS6_6detail15normal_iteratorINS6_10device_ptrIKdEEEESL_NS6_8equal_toIdEEEENSG_9not_fun_tINSD_8identityEEEEENSD_19counting_iterator_tIlEES8_S8_S8_S8_S8_S8_S8_S8_EEEEPS9_S9_NSD_9__find_if7functorIS9_EEEE10hipError_tPvRmT1_T2_T3_mT4_P12ihipStream_tbEUlT_E0_NS1_11comp_targetILNS1_3genE10ELNS1_11target_archE1200ELNS1_3gpuE4ELNS1_3repE0EEENS1_30default_config_static_selectorELNS0_4arch9wavefront6targetE0EEEvS14_.uses_flat_scratch, 0
	.set _ZN7rocprim17ROCPRIM_400000_NS6detail17trampoline_kernelINS0_14default_configENS1_22reduce_config_selectorIN6thrust23THRUST_200600_302600_NS5tupleIblNS6_9null_typeES8_S8_S8_S8_S8_S8_S8_EEEEZNS1_11reduce_implILb1ES3_NS6_12zip_iteratorINS7_INS6_11hip_rocprim26transform_input_iterator_tIbNSD_35transform_pair_of_input_iterators_tIbNS6_6detail15normal_iteratorINS6_10device_ptrIKdEEEESL_NS6_8equal_toIdEEEENSG_9not_fun_tINSD_8identityEEEEENSD_19counting_iterator_tIlEES8_S8_S8_S8_S8_S8_S8_S8_EEEEPS9_S9_NSD_9__find_if7functorIS9_EEEE10hipError_tPvRmT1_T2_T3_mT4_P12ihipStream_tbEUlT_E0_NS1_11comp_targetILNS1_3genE10ELNS1_11target_archE1200ELNS1_3gpuE4ELNS1_3repE0EEENS1_30default_config_static_selectorELNS0_4arch9wavefront6targetE0EEEvS14_.has_dyn_sized_stack, 0
	.set _ZN7rocprim17ROCPRIM_400000_NS6detail17trampoline_kernelINS0_14default_configENS1_22reduce_config_selectorIN6thrust23THRUST_200600_302600_NS5tupleIblNS6_9null_typeES8_S8_S8_S8_S8_S8_S8_EEEEZNS1_11reduce_implILb1ES3_NS6_12zip_iteratorINS7_INS6_11hip_rocprim26transform_input_iterator_tIbNSD_35transform_pair_of_input_iterators_tIbNS6_6detail15normal_iteratorINS6_10device_ptrIKdEEEESL_NS6_8equal_toIdEEEENSG_9not_fun_tINSD_8identityEEEEENSD_19counting_iterator_tIlEES8_S8_S8_S8_S8_S8_S8_S8_EEEEPS9_S9_NSD_9__find_if7functorIS9_EEEE10hipError_tPvRmT1_T2_T3_mT4_P12ihipStream_tbEUlT_E0_NS1_11comp_targetILNS1_3genE10ELNS1_11target_archE1200ELNS1_3gpuE4ELNS1_3repE0EEENS1_30default_config_static_selectorELNS0_4arch9wavefront6targetE0EEEvS14_.has_recursion, 0
	.set _ZN7rocprim17ROCPRIM_400000_NS6detail17trampoline_kernelINS0_14default_configENS1_22reduce_config_selectorIN6thrust23THRUST_200600_302600_NS5tupleIblNS6_9null_typeES8_S8_S8_S8_S8_S8_S8_EEEEZNS1_11reduce_implILb1ES3_NS6_12zip_iteratorINS7_INS6_11hip_rocprim26transform_input_iterator_tIbNSD_35transform_pair_of_input_iterators_tIbNS6_6detail15normal_iteratorINS6_10device_ptrIKdEEEESL_NS6_8equal_toIdEEEENSG_9not_fun_tINSD_8identityEEEEENSD_19counting_iterator_tIlEES8_S8_S8_S8_S8_S8_S8_S8_EEEEPS9_S9_NSD_9__find_if7functorIS9_EEEE10hipError_tPvRmT1_T2_T3_mT4_P12ihipStream_tbEUlT_E0_NS1_11comp_targetILNS1_3genE10ELNS1_11target_archE1200ELNS1_3gpuE4ELNS1_3repE0EEENS1_30default_config_static_selectorELNS0_4arch9wavefront6targetE0EEEvS14_.has_indirect_call, 0
	.section	.AMDGPU.csdata,"",@progbits
; Kernel info:
; codeLenInByte = 0
; TotalNumSgprs: 0
; NumVgprs: 0
; ScratchSize: 0
; MemoryBound: 0
; FloatMode: 240
; IeeeMode: 1
; LDSByteSize: 0 bytes/workgroup (compile time only)
; SGPRBlocks: 0
; VGPRBlocks: 0
; NumSGPRsForWavesPerEU: 1
; NumVGPRsForWavesPerEU: 1
; Occupancy: 16
; WaveLimiterHint : 0
; COMPUTE_PGM_RSRC2:SCRATCH_EN: 0
; COMPUTE_PGM_RSRC2:USER_SGPR: 6
; COMPUTE_PGM_RSRC2:TRAP_HANDLER: 0
; COMPUTE_PGM_RSRC2:TGID_X_EN: 1
; COMPUTE_PGM_RSRC2:TGID_Y_EN: 0
; COMPUTE_PGM_RSRC2:TGID_Z_EN: 0
; COMPUTE_PGM_RSRC2:TIDIG_COMP_CNT: 0
	.section	.text._ZN7rocprim17ROCPRIM_400000_NS6detail17trampoline_kernelINS0_14default_configENS1_22reduce_config_selectorIN6thrust23THRUST_200600_302600_NS5tupleIblNS6_9null_typeES8_S8_S8_S8_S8_S8_S8_EEEEZNS1_11reduce_implILb1ES3_NS6_12zip_iteratorINS7_INS6_11hip_rocprim26transform_input_iterator_tIbNSD_35transform_pair_of_input_iterators_tIbNS6_6detail15normal_iteratorINS6_10device_ptrIKdEEEESL_NS6_8equal_toIdEEEENSG_9not_fun_tINSD_8identityEEEEENSD_19counting_iterator_tIlEES8_S8_S8_S8_S8_S8_S8_S8_EEEEPS9_S9_NSD_9__find_if7functorIS9_EEEE10hipError_tPvRmT1_T2_T3_mT4_P12ihipStream_tbEUlT_E0_NS1_11comp_targetILNS1_3genE9ELNS1_11target_archE1100ELNS1_3gpuE3ELNS1_3repE0EEENS1_30default_config_static_selectorELNS0_4arch9wavefront6targetE0EEEvS14_,"axG",@progbits,_ZN7rocprim17ROCPRIM_400000_NS6detail17trampoline_kernelINS0_14default_configENS1_22reduce_config_selectorIN6thrust23THRUST_200600_302600_NS5tupleIblNS6_9null_typeES8_S8_S8_S8_S8_S8_S8_EEEEZNS1_11reduce_implILb1ES3_NS6_12zip_iteratorINS7_INS6_11hip_rocprim26transform_input_iterator_tIbNSD_35transform_pair_of_input_iterators_tIbNS6_6detail15normal_iteratorINS6_10device_ptrIKdEEEESL_NS6_8equal_toIdEEEENSG_9not_fun_tINSD_8identityEEEEENSD_19counting_iterator_tIlEES8_S8_S8_S8_S8_S8_S8_S8_EEEEPS9_S9_NSD_9__find_if7functorIS9_EEEE10hipError_tPvRmT1_T2_T3_mT4_P12ihipStream_tbEUlT_E0_NS1_11comp_targetILNS1_3genE9ELNS1_11target_archE1100ELNS1_3gpuE3ELNS1_3repE0EEENS1_30default_config_static_selectorELNS0_4arch9wavefront6targetE0EEEvS14_,comdat
	.protected	_ZN7rocprim17ROCPRIM_400000_NS6detail17trampoline_kernelINS0_14default_configENS1_22reduce_config_selectorIN6thrust23THRUST_200600_302600_NS5tupleIblNS6_9null_typeES8_S8_S8_S8_S8_S8_S8_EEEEZNS1_11reduce_implILb1ES3_NS6_12zip_iteratorINS7_INS6_11hip_rocprim26transform_input_iterator_tIbNSD_35transform_pair_of_input_iterators_tIbNS6_6detail15normal_iteratorINS6_10device_ptrIKdEEEESL_NS6_8equal_toIdEEEENSG_9not_fun_tINSD_8identityEEEEENSD_19counting_iterator_tIlEES8_S8_S8_S8_S8_S8_S8_S8_EEEEPS9_S9_NSD_9__find_if7functorIS9_EEEE10hipError_tPvRmT1_T2_T3_mT4_P12ihipStream_tbEUlT_E0_NS1_11comp_targetILNS1_3genE9ELNS1_11target_archE1100ELNS1_3gpuE3ELNS1_3repE0EEENS1_30default_config_static_selectorELNS0_4arch9wavefront6targetE0EEEvS14_ ; -- Begin function _ZN7rocprim17ROCPRIM_400000_NS6detail17trampoline_kernelINS0_14default_configENS1_22reduce_config_selectorIN6thrust23THRUST_200600_302600_NS5tupleIblNS6_9null_typeES8_S8_S8_S8_S8_S8_S8_EEEEZNS1_11reduce_implILb1ES3_NS6_12zip_iteratorINS7_INS6_11hip_rocprim26transform_input_iterator_tIbNSD_35transform_pair_of_input_iterators_tIbNS6_6detail15normal_iteratorINS6_10device_ptrIKdEEEESL_NS6_8equal_toIdEEEENSG_9not_fun_tINSD_8identityEEEEENSD_19counting_iterator_tIlEES8_S8_S8_S8_S8_S8_S8_S8_EEEEPS9_S9_NSD_9__find_if7functorIS9_EEEE10hipError_tPvRmT1_T2_T3_mT4_P12ihipStream_tbEUlT_E0_NS1_11comp_targetILNS1_3genE9ELNS1_11target_archE1100ELNS1_3gpuE3ELNS1_3repE0EEENS1_30default_config_static_selectorELNS0_4arch9wavefront6targetE0EEEvS14_
	.globl	_ZN7rocprim17ROCPRIM_400000_NS6detail17trampoline_kernelINS0_14default_configENS1_22reduce_config_selectorIN6thrust23THRUST_200600_302600_NS5tupleIblNS6_9null_typeES8_S8_S8_S8_S8_S8_S8_EEEEZNS1_11reduce_implILb1ES3_NS6_12zip_iteratorINS7_INS6_11hip_rocprim26transform_input_iterator_tIbNSD_35transform_pair_of_input_iterators_tIbNS6_6detail15normal_iteratorINS6_10device_ptrIKdEEEESL_NS6_8equal_toIdEEEENSG_9not_fun_tINSD_8identityEEEEENSD_19counting_iterator_tIlEES8_S8_S8_S8_S8_S8_S8_S8_EEEEPS9_S9_NSD_9__find_if7functorIS9_EEEE10hipError_tPvRmT1_T2_T3_mT4_P12ihipStream_tbEUlT_E0_NS1_11comp_targetILNS1_3genE9ELNS1_11target_archE1100ELNS1_3gpuE3ELNS1_3repE0EEENS1_30default_config_static_selectorELNS0_4arch9wavefront6targetE0EEEvS14_
	.p2align	8
	.type	_ZN7rocprim17ROCPRIM_400000_NS6detail17trampoline_kernelINS0_14default_configENS1_22reduce_config_selectorIN6thrust23THRUST_200600_302600_NS5tupleIblNS6_9null_typeES8_S8_S8_S8_S8_S8_S8_EEEEZNS1_11reduce_implILb1ES3_NS6_12zip_iteratorINS7_INS6_11hip_rocprim26transform_input_iterator_tIbNSD_35transform_pair_of_input_iterators_tIbNS6_6detail15normal_iteratorINS6_10device_ptrIKdEEEESL_NS6_8equal_toIdEEEENSG_9not_fun_tINSD_8identityEEEEENSD_19counting_iterator_tIlEES8_S8_S8_S8_S8_S8_S8_S8_EEEEPS9_S9_NSD_9__find_if7functorIS9_EEEE10hipError_tPvRmT1_T2_T3_mT4_P12ihipStream_tbEUlT_E0_NS1_11comp_targetILNS1_3genE9ELNS1_11target_archE1100ELNS1_3gpuE3ELNS1_3repE0EEENS1_30default_config_static_selectorELNS0_4arch9wavefront6targetE0EEEvS14_,@function
_ZN7rocprim17ROCPRIM_400000_NS6detail17trampoline_kernelINS0_14default_configENS1_22reduce_config_selectorIN6thrust23THRUST_200600_302600_NS5tupleIblNS6_9null_typeES8_S8_S8_S8_S8_S8_S8_EEEEZNS1_11reduce_implILb1ES3_NS6_12zip_iteratorINS7_INS6_11hip_rocprim26transform_input_iterator_tIbNSD_35transform_pair_of_input_iterators_tIbNS6_6detail15normal_iteratorINS6_10device_ptrIKdEEEESL_NS6_8equal_toIdEEEENSG_9not_fun_tINSD_8identityEEEEENSD_19counting_iterator_tIlEES8_S8_S8_S8_S8_S8_S8_S8_EEEEPS9_S9_NSD_9__find_if7functorIS9_EEEE10hipError_tPvRmT1_T2_T3_mT4_P12ihipStream_tbEUlT_E0_NS1_11comp_targetILNS1_3genE9ELNS1_11target_archE1100ELNS1_3gpuE3ELNS1_3repE0EEENS1_30default_config_static_selectorELNS0_4arch9wavefront6targetE0EEEvS14_: ; @_ZN7rocprim17ROCPRIM_400000_NS6detail17trampoline_kernelINS0_14default_configENS1_22reduce_config_selectorIN6thrust23THRUST_200600_302600_NS5tupleIblNS6_9null_typeES8_S8_S8_S8_S8_S8_S8_EEEEZNS1_11reduce_implILb1ES3_NS6_12zip_iteratorINS7_INS6_11hip_rocprim26transform_input_iterator_tIbNSD_35transform_pair_of_input_iterators_tIbNS6_6detail15normal_iteratorINS6_10device_ptrIKdEEEESL_NS6_8equal_toIdEEEENSG_9not_fun_tINSD_8identityEEEEENSD_19counting_iterator_tIlEES8_S8_S8_S8_S8_S8_S8_S8_EEEEPS9_S9_NSD_9__find_if7functorIS9_EEEE10hipError_tPvRmT1_T2_T3_mT4_P12ihipStream_tbEUlT_E0_NS1_11comp_targetILNS1_3genE9ELNS1_11target_archE1100ELNS1_3gpuE3ELNS1_3repE0EEENS1_30default_config_static_selectorELNS0_4arch9wavefront6targetE0EEEvS14_
; %bb.0:
	.section	.rodata,"a",@progbits
	.p2align	6, 0x0
	.amdhsa_kernel _ZN7rocprim17ROCPRIM_400000_NS6detail17trampoline_kernelINS0_14default_configENS1_22reduce_config_selectorIN6thrust23THRUST_200600_302600_NS5tupleIblNS6_9null_typeES8_S8_S8_S8_S8_S8_S8_EEEEZNS1_11reduce_implILb1ES3_NS6_12zip_iteratorINS7_INS6_11hip_rocprim26transform_input_iterator_tIbNSD_35transform_pair_of_input_iterators_tIbNS6_6detail15normal_iteratorINS6_10device_ptrIKdEEEESL_NS6_8equal_toIdEEEENSG_9not_fun_tINSD_8identityEEEEENSD_19counting_iterator_tIlEES8_S8_S8_S8_S8_S8_S8_S8_EEEEPS9_S9_NSD_9__find_if7functorIS9_EEEE10hipError_tPvRmT1_T2_T3_mT4_P12ihipStream_tbEUlT_E0_NS1_11comp_targetILNS1_3genE9ELNS1_11target_archE1100ELNS1_3gpuE3ELNS1_3repE0EEENS1_30default_config_static_selectorELNS0_4arch9wavefront6targetE0EEEvS14_
		.amdhsa_group_segment_fixed_size 0
		.amdhsa_private_segment_fixed_size 0
		.amdhsa_kernarg_size 104
		.amdhsa_user_sgpr_count 6
		.amdhsa_user_sgpr_private_segment_buffer 1
		.amdhsa_user_sgpr_dispatch_ptr 0
		.amdhsa_user_sgpr_queue_ptr 0
		.amdhsa_user_sgpr_kernarg_segment_ptr 1
		.amdhsa_user_sgpr_dispatch_id 0
		.amdhsa_user_sgpr_flat_scratch_init 0
		.amdhsa_user_sgpr_private_segment_size 0
		.amdhsa_wavefront_size32 1
		.amdhsa_uses_dynamic_stack 0
		.amdhsa_system_sgpr_private_segment_wavefront_offset 0
		.amdhsa_system_sgpr_workgroup_id_x 1
		.amdhsa_system_sgpr_workgroup_id_y 0
		.amdhsa_system_sgpr_workgroup_id_z 0
		.amdhsa_system_sgpr_workgroup_info 0
		.amdhsa_system_vgpr_workitem_id 0
		.amdhsa_next_free_vgpr 1
		.amdhsa_next_free_sgpr 1
		.amdhsa_reserve_vcc 0
		.amdhsa_reserve_flat_scratch 0
		.amdhsa_float_round_mode_32 0
		.amdhsa_float_round_mode_16_64 0
		.amdhsa_float_denorm_mode_32 3
		.amdhsa_float_denorm_mode_16_64 3
		.amdhsa_dx10_clamp 1
		.amdhsa_ieee_mode 1
		.amdhsa_fp16_overflow 0
		.amdhsa_workgroup_processor_mode 1
		.amdhsa_memory_ordered 1
		.amdhsa_forward_progress 1
		.amdhsa_shared_vgpr_count 0
		.amdhsa_exception_fp_ieee_invalid_op 0
		.amdhsa_exception_fp_denorm_src 0
		.amdhsa_exception_fp_ieee_div_zero 0
		.amdhsa_exception_fp_ieee_overflow 0
		.amdhsa_exception_fp_ieee_underflow 0
		.amdhsa_exception_fp_ieee_inexact 0
		.amdhsa_exception_int_div_zero 0
	.end_amdhsa_kernel
	.section	.text._ZN7rocprim17ROCPRIM_400000_NS6detail17trampoline_kernelINS0_14default_configENS1_22reduce_config_selectorIN6thrust23THRUST_200600_302600_NS5tupleIblNS6_9null_typeES8_S8_S8_S8_S8_S8_S8_EEEEZNS1_11reduce_implILb1ES3_NS6_12zip_iteratorINS7_INS6_11hip_rocprim26transform_input_iterator_tIbNSD_35transform_pair_of_input_iterators_tIbNS6_6detail15normal_iteratorINS6_10device_ptrIKdEEEESL_NS6_8equal_toIdEEEENSG_9not_fun_tINSD_8identityEEEEENSD_19counting_iterator_tIlEES8_S8_S8_S8_S8_S8_S8_S8_EEEEPS9_S9_NSD_9__find_if7functorIS9_EEEE10hipError_tPvRmT1_T2_T3_mT4_P12ihipStream_tbEUlT_E0_NS1_11comp_targetILNS1_3genE9ELNS1_11target_archE1100ELNS1_3gpuE3ELNS1_3repE0EEENS1_30default_config_static_selectorELNS0_4arch9wavefront6targetE0EEEvS14_,"axG",@progbits,_ZN7rocprim17ROCPRIM_400000_NS6detail17trampoline_kernelINS0_14default_configENS1_22reduce_config_selectorIN6thrust23THRUST_200600_302600_NS5tupleIblNS6_9null_typeES8_S8_S8_S8_S8_S8_S8_EEEEZNS1_11reduce_implILb1ES3_NS6_12zip_iteratorINS7_INS6_11hip_rocprim26transform_input_iterator_tIbNSD_35transform_pair_of_input_iterators_tIbNS6_6detail15normal_iteratorINS6_10device_ptrIKdEEEESL_NS6_8equal_toIdEEEENSG_9not_fun_tINSD_8identityEEEEENSD_19counting_iterator_tIlEES8_S8_S8_S8_S8_S8_S8_S8_EEEEPS9_S9_NSD_9__find_if7functorIS9_EEEE10hipError_tPvRmT1_T2_T3_mT4_P12ihipStream_tbEUlT_E0_NS1_11comp_targetILNS1_3genE9ELNS1_11target_archE1100ELNS1_3gpuE3ELNS1_3repE0EEENS1_30default_config_static_selectorELNS0_4arch9wavefront6targetE0EEEvS14_,comdat
.Lfunc_end44:
	.size	_ZN7rocprim17ROCPRIM_400000_NS6detail17trampoline_kernelINS0_14default_configENS1_22reduce_config_selectorIN6thrust23THRUST_200600_302600_NS5tupleIblNS6_9null_typeES8_S8_S8_S8_S8_S8_S8_EEEEZNS1_11reduce_implILb1ES3_NS6_12zip_iteratorINS7_INS6_11hip_rocprim26transform_input_iterator_tIbNSD_35transform_pair_of_input_iterators_tIbNS6_6detail15normal_iteratorINS6_10device_ptrIKdEEEESL_NS6_8equal_toIdEEEENSG_9not_fun_tINSD_8identityEEEEENSD_19counting_iterator_tIlEES8_S8_S8_S8_S8_S8_S8_S8_EEEEPS9_S9_NSD_9__find_if7functorIS9_EEEE10hipError_tPvRmT1_T2_T3_mT4_P12ihipStream_tbEUlT_E0_NS1_11comp_targetILNS1_3genE9ELNS1_11target_archE1100ELNS1_3gpuE3ELNS1_3repE0EEENS1_30default_config_static_selectorELNS0_4arch9wavefront6targetE0EEEvS14_, .Lfunc_end44-_ZN7rocprim17ROCPRIM_400000_NS6detail17trampoline_kernelINS0_14default_configENS1_22reduce_config_selectorIN6thrust23THRUST_200600_302600_NS5tupleIblNS6_9null_typeES8_S8_S8_S8_S8_S8_S8_EEEEZNS1_11reduce_implILb1ES3_NS6_12zip_iteratorINS7_INS6_11hip_rocprim26transform_input_iterator_tIbNSD_35transform_pair_of_input_iterators_tIbNS6_6detail15normal_iteratorINS6_10device_ptrIKdEEEESL_NS6_8equal_toIdEEEENSG_9not_fun_tINSD_8identityEEEEENSD_19counting_iterator_tIlEES8_S8_S8_S8_S8_S8_S8_S8_EEEEPS9_S9_NSD_9__find_if7functorIS9_EEEE10hipError_tPvRmT1_T2_T3_mT4_P12ihipStream_tbEUlT_E0_NS1_11comp_targetILNS1_3genE9ELNS1_11target_archE1100ELNS1_3gpuE3ELNS1_3repE0EEENS1_30default_config_static_selectorELNS0_4arch9wavefront6targetE0EEEvS14_
                                        ; -- End function
	.set _ZN7rocprim17ROCPRIM_400000_NS6detail17trampoline_kernelINS0_14default_configENS1_22reduce_config_selectorIN6thrust23THRUST_200600_302600_NS5tupleIblNS6_9null_typeES8_S8_S8_S8_S8_S8_S8_EEEEZNS1_11reduce_implILb1ES3_NS6_12zip_iteratorINS7_INS6_11hip_rocprim26transform_input_iterator_tIbNSD_35transform_pair_of_input_iterators_tIbNS6_6detail15normal_iteratorINS6_10device_ptrIKdEEEESL_NS6_8equal_toIdEEEENSG_9not_fun_tINSD_8identityEEEEENSD_19counting_iterator_tIlEES8_S8_S8_S8_S8_S8_S8_S8_EEEEPS9_S9_NSD_9__find_if7functorIS9_EEEE10hipError_tPvRmT1_T2_T3_mT4_P12ihipStream_tbEUlT_E0_NS1_11comp_targetILNS1_3genE9ELNS1_11target_archE1100ELNS1_3gpuE3ELNS1_3repE0EEENS1_30default_config_static_selectorELNS0_4arch9wavefront6targetE0EEEvS14_.num_vgpr, 0
	.set _ZN7rocprim17ROCPRIM_400000_NS6detail17trampoline_kernelINS0_14default_configENS1_22reduce_config_selectorIN6thrust23THRUST_200600_302600_NS5tupleIblNS6_9null_typeES8_S8_S8_S8_S8_S8_S8_EEEEZNS1_11reduce_implILb1ES3_NS6_12zip_iteratorINS7_INS6_11hip_rocprim26transform_input_iterator_tIbNSD_35transform_pair_of_input_iterators_tIbNS6_6detail15normal_iteratorINS6_10device_ptrIKdEEEESL_NS6_8equal_toIdEEEENSG_9not_fun_tINSD_8identityEEEEENSD_19counting_iterator_tIlEES8_S8_S8_S8_S8_S8_S8_S8_EEEEPS9_S9_NSD_9__find_if7functorIS9_EEEE10hipError_tPvRmT1_T2_T3_mT4_P12ihipStream_tbEUlT_E0_NS1_11comp_targetILNS1_3genE9ELNS1_11target_archE1100ELNS1_3gpuE3ELNS1_3repE0EEENS1_30default_config_static_selectorELNS0_4arch9wavefront6targetE0EEEvS14_.num_agpr, 0
	.set _ZN7rocprim17ROCPRIM_400000_NS6detail17trampoline_kernelINS0_14default_configENS1_22reduce_config_selectorIN6thrust23THRUST_200600_302600_NS5tupleIblNS6_9null_typeES8_S8_S8_S8_S8_S8_S8_EEEEZNS1_11reduce_implILb1ES3_NS6_12zip_iteratorINS7_INS6_11hip_rocprim26transform_input_iterator_tIbNSD_35transform_pair_of_input_iterators_tIbNS6_6detail15normal_iteratorINS6_10device_ptrIKdEEEESL_NS6_8equal_toIdEEEENSG_9not_fun_tINSD_8identityEEEEENSD_19counting_iterator_tIlEES8_S8_S8_S8_S8_S8_S8_S8_EEEEPS9_S9_NSD_9__find_if7functorIS9_EEEE10hipError_tPvRmT1_T2_T3_mT4_P12ihipStream_tbEUlT_E0_NS1_11comp_targetILNS1_3genE9ELNS1_11target_archE1100ELNS1_3gpuE3ELNS1_3repE0EEENS1_30default_config_static_selectorELNS0_4arch9wavefront6targetE0EEEvS14_.numbered_sgpr, 0
	.set _ZN7rocprim17ROCPRIM_400000_NS6detail17trampoline_kernelINS0_14default_configENS1_22reduce_config_selectorIN6thrust23THRUST_200600_302600_NS5tupleIblNS6_9null_typeES8_S8_S8_S8_S8_S8_S8_EEEEZNS1_11reduce_implILb1ES3_NS6_12zip_iteratorINS7_INS6_11hip_rocprim26transform_input_iterator_tIbNSD_35transform_pair_of_input_iterators_tIbNS6_6detail15normal_iteratorINS6_10device_ptrIKdEEEESL_NS6_8equal_toIdEEEENSG_9not_fun_tINSD_8identityEEEEENSD_19counting_iterator_tIlEES8_S8_S8_S8_S8_S8_S8_S8_EEEEPS9_S9_NSD_9__find_if7functorIS9_EEEE10hipError_tPvRmT1_T2_T3_mT4_P12ihipStream_tbEUlT_E0_NS1_11comp_targetILNS1_3genE9ELNS1_11target_archE1100ELNS1_3gpuE3ELNS1_3repE0EEENS1_30default_config_static_selectorELNS0_4arch9wavefront6targetE0EEEvS14_.num_named_barrier, 0
	.set _ZN7rocprim17ROCPRIM_400000_NS6detail17trampoline_kernelINS0_14default_configENS1_22reduce_config_selectorIN6thrust23THRUST_200600_302600_NS5tupleIblNS6_9null_typeES8_S8_S8_S8_S8_S8_S8_EEEEZNS1_11reduce_implILb1ES3_NS6_12zip_iteratorINS7_INS6_11hip_rocprim26transform_input_iterator_tIbNSD_35transform_pair_of_input_iterators_tIbNS6_6detail15normal_iteratorINS6_10device_ptrIKdEEEESL_NS6_8equal_toIdEEEENSG_9not_fun_tINSD_8identityEEEEENSD_19counting_iterator_tIlEES8_S8_S8_S8_S8_S8_S8_S8_EEEEPS9_S9_NSD_9__find_if7functorIS9_EEEE10hipError_tPvRmT1_T2_T3_mT4_P12ihipStream_tbEUlT_E0_NS1_11comp_targetILNS1_3genE9ELNS1_11target_archE1100ELNS1_3gpuE3ELNS1_3repE0EEENS1_30default_config_static_selectorELNS0_4arch9wavefront6targetE0EEEvS14_.private_seg_size, 0
	.set _ZN7rocprim17ROCPRIM_400000_NS6detail17trampoline_kernelINS0_14default_configENS1_22reduce_config_selectorIN6thrust23THRUST_200600_302600_NS5tupleIblNS6_9null_typeES8_S8_S8_S8_S8_S8_S8_EEEEZNS1_11reduce_implILb1ES3_NS6_12zip_iteratorINS7_INS6_11hip_rocprim26transform_input_iterator_tIbNSD_35transform_pair_of_input_iterators_tIbNS6_6detail15normal_iteratorINS6_10device_ptrIKdEEEESL_NS6_8equal_toIdEEEENSG_9not_fun_tINSD_8identityEEEEENSD_19counting_iterator_tIlEES8_S8_S8_S8_S8_S8_S8_S8_EEEEPS9_S9_NSD_9__find_if7functorIS9_EEEE10hipError_tPvRmT1_T2_T3_mT4_P12ihipStream_tbEUlT_E0_NS1_11comp_targetILNS1_3genE9ELNS1_11target_archE1100ELNS1_3gpuE3ELNS1_3repE0EEENS1_30default_config_static_selectorELNS0_4arch9wavefront6targetE0EEEvS14_.uses_vcc, 0
	.set _ZN7rocprim17ROCPRIM_400000_NS6detail17trampoline_kernelINS0_14default_configENS1_22reduce_config_selectorIN6thrust23THRUST_200600_302600_NS5tupleIblNS6_9null_typeES8_S8_S8_S8_S8_S8_S8_EEEEZNS1_11reduce_implILb1ES3_NS6_12zip_iteratorINS7_INS6_11hip_rocprim26transform_input_iterator_tIbNSD_35transform_pair_of_input_iterators_tIbNS6_6detail15normal_iteratorINS6_10device_ptrIKdEEEESL_NS6_8equal_toIdEEEENSG_9not_fun_tINSD_8identityEEEEENSD_19counting_iterator_tIlEES8_S8_S8_S8_S8_S8_S8_S8_EEEEPS9_S9_NSD_9__find_if7functorIS9_EEEE10hipError_tPvRmT1_T2_T3_mT4_P12ihipStream_tbEUlT_E0_NS1_11comp_targetILNS1_3genE9ELNS1_11target_archE1100ELNS1_3gpuE3ELNS1_3repE0EEENS1_30default_config_static_selectorELNS0_4arch9wavefront6targetE0EEEvS14_.uses_flat_scratch, 0
	.set _ZN7rocprim17ROCPRIM_400000_NS6detail17trampoline_kernelINS0_14default_configENS1_22reduce_config_selectorIN6thrust23THRUST_200600_302600_NS5tupleIblNS6_9null_typeES8_S8_S8_S8_S8_S8_S8_EEEEZNS1_11reduce_implILb1ES3_NS6_12zip_iteratorINS7_INS6_11hip_rocprim26transform_input_iterator_tIbNSD_35transform_pair_of_input_iterators_tIbNS6_6detail15normal_iteratorINS6_10device_ptrIKdEEEESL_NS6_8equal_toIdEEEENSG_9not_fun_tINSD_8identityEEEEENSD_19counting_iterator_tIlEES8_S8_S8_S8_S8_S8_S8_S8_EEEEPS9_S9_NSD_9__find_if7functorIS9_EEEE10hipError_tPvRmT1_T2_T3_mT4_P12ihipStream_tbEUlT_E0_NS1_11comp_targetILNS1_3genE9ELNS1_11target_archE1100ELNS1_3gpuE3ELNS1_3repE0EEENS1_30default_config_static_selectorELNS0_4arch9wavefront6targetE0EEEvS14_.has_dyn_sized_stack, 0
	.set _ZN7rocprim17ROCPRIM_400000_NS6detail17trampoline_kernelINS0_14default_configENS1_22reduce_config_selectorIN6thrust23THRUST_200600_302600_NS5tupleIblNS6_9null_typeES8_S8_S8_S8_S8_S8_S8_EEEEZNS1_11reduce_implILb1ES3_NS6_12zip_iteratorINS7_INS6_11hip_rocprim26transform_input_iterator_tIbNSD_35transform_pair_of_input_iterators_tIbNS6_6detail15normal_iteratorINS6_10device_ptrIKdEEEESL_NS6_8equal_toIdEEEENSG_9not_fun_tINSD_8identityEEEEENSD_19counting_iterator_tIlEES8_S8_S8_S8_S8_S8_S8_S8_EEEEPS9_S9_NSD_9__find_if7functorIS9_EEEE10hipError_tPvRmT1_T2_T3_mT4_P12ihipStream_tbEUlT_E0_NS1_11comp_targetILNS1_3genE9ELNS1_11target_archE1100ELNS1_3gpuE3ELNS1_3repE0EEENS1_30default_config_static_selectorELNS0_4arch9wavefront6targetE0EEEvS14_.has_recursion, 0
	.set _ZN7rocprim17ROCPRIM_400000_NS6detail17trampoline_kernelINS0_14default_configENS1_22reduce_config_selectorIN6thrust23THRUST_200600_302600_NS5tupleIblNS6_9null_typeES8_S8_S8_S8_S8_S8_S8_EEEEZNS1_11reduce_implILb1ES3_NS6_12zip_iteratorINS7_INS6_11hip_rocprim26transform_input_iterator_tIbNSD_35transform_pair_of_input_iterators_tIbNS6_6detail15normal_iteratorINS6_10device_ptrIKdEEEESL_NS6_8equal_toIdEEEENSG_9not_fun_tINSD_8identityEEEEENSD_19counting_iterator_tIlEES8_S8_S8_S8_S8_S8_S8_S8_EEEEPS9_S9_NSD_9__find_if7functorIS9_EEEE10hipError_tPvRmT1_T2_T3_mT4_P12ihipStream_tbEUlT_E0_NS1_11comp_targetILNS1_3genE9ELNS1_11target_archE1100ELNS1_3gpuE3ELNS1_3repE0EEENS1_30default_config_static_selectorELNS0_4arch9wavefront6targetE0EEEvS14_.has_indirect_call, 0
	.section	.AMDGPU.csdata,"",@progbits
; Kernel info:
; codeLenInByte = 0
; TotalNumSgprs: 0
; NumVgprs: 0
; ScratchSize: 0
; MemoryBound: 0
; FloatMode: 240
; IeeeMode: 1
; LDSByteSize: 0 bytes/workgroup (compile time only)
; SGPRBlocks: 0
; VGPRBlocks: 0
; NumSGPRsForWavesPerEU: 1
; NumVGPRsForWavesPerEU: 1
; Occupancy: 16
; WaveLimiterHint : 0
; COMPUTE_PGM_RSRC2:SCRATCH_EN: 0
; COMPUTE_PGM_RSRC2:USER_SGPR: 6
; COMPUTE_PGM_RSRC2:TRAP_HANDLER: 0
; COMPUTE_PGM_RSRC2:TGID_X_EN: 1
; COMPUTE_PGM_RSRC2:TGID_Y_EN: 0
; COMPUTE_PGM_RSRC2:TGID_Z_EN: 0
; COMPUTE_PGM_RSRC2:TIDIG_COMP_CNT: 0
	.section	.text._ZN7rocprim17ROCPRIM_400000_NS6detail17trampoline_kernelINS0_14default_configENS1_22reduce_config_selectorIN6thrust23THRUST_200600_302600_NS5tupleIblNS6_9null_typeES8_S8_S8_S8_S8_S8_S8_EEEEZNS1_11reduce_implILb1ES3_NS6_12zip_iteratorINS7_INS6_11hip_rocprim26transform_input_iterator_tIbNSD_35transform_pair_of_input_iterators_tIbNS6_6detail15normal_iteratorINS6_10device_ptrIKdEEEESL_NS6_8equal_toIdEEEENSG_9not_fun_tINSD_8identityEEEEENSD_19counting_iterator_tIlEES8_S8_S8_S8_S8_S8_S8_S8_EEEEPS9_S9_NSD_9__find_if7functorIS9_EEEE10hipError_tPvRmT1_T2_T3_mT4_P12ihipStream_tbEUlT_E0_NS1_11comp_targetILNS1_3genE8ELNS1_11target_archE1030ELNS1_3gpuE2ELNS1_3repE0EEENS1_30default_config_static_selectorELNS0_4arch9wavefront6targetE0EEEvS14_,"axG",@progbits,_ZN7rocprim17ROCPRIM_400000_NS6detail17trampoline_kernelINS0_14default_configENS1_22reduce_config_selectorIN6thrust23THRUST_200600_302600_NS5tupleIblNS6_9null_typeES8_S8_S8_S8_S8_S8_S8_EEEEZNS1_11reduce_implILb1ES3_NS6_12zip_iteratorINS7_INS6_11hip_rocprim26transform_input_iterator_tIbNSD_35transform_pair_of_input_iterators_tIbNS6_6detail15normal_iteratorINS6_10device_ptrIKdEEEESL_NS6_8equal_toIdEEEENSG_9not_fun_tINSD_8identityEEEEENSD_19counting_iterator_tIlEES8_S8_S8_S8_S8_S8_S8_S8_EEEEPS9_S9_NSD_9__find_if7functorIS9_EEEE10hipError_tPvRmT1_T2_T3_mT4_P12ihipStream_tbEUlT_E0_NS1_11comp_targetILNS1_3genE8ELNS1_11target_archE1030ELNS1_3gpuE2ELNS1_3repE0EEENS1_30default_config_static_selectorELNS0_4arch9wavefront6targetE0EEEvS14_,comdat
	.protected	_ZN7rocprim17ROCPRIM_400000_NS6detail17trampoline_kernelINS0_14default_configENS1_22reduce_config_selectorIN6thrust23THRUST_200600_302600_NS5tupleIblNS6_9null_typeES8_S8_S8_S8_S8_S8_S8_EEEEZNS1_11reduce_implILb1ES3_NS6_12zip_iteratorINS7_INS6_11hip_rocprim26transform_input_iterator_tIbNSD_35transform_pair_of_input_iterators_tIbNS6_6detail15normal_iteratorINS6_10device_ptrIKdEEEESL_NS6_8equal_toIdEEEENSG_9not_fun_tINSD_8identityEEEEENSD_19counting_iterator_tIlEES8_S8_S8_S8_S8_S8_S8_S8_EEEEPS9_S9_NSD_9__find_if7functorIS9_EEEE10hipError_tPvRmT1_T2_T3_mT4_P12ihipStream_tbEUlT_E0_NS1_11comp_targetILNS1_3genE8ELNS1_11target_archE1030ELNS1_3gpuE2ELNS1_3repE0EEENS1_30default_config_static_selectorELNS0_4arch9wavefront6targetE0EEEvS14_ ; -- Begin function _ZN7rocprim17ROCPRIM_400000_NS6detail17trampoline_kernelINS0_14default_configENS1_22reduce_config_selectorIN6thrust23THRUST_200600_302600_NS5tupleIblNS6_9null_typeES8_S8_S8_S8_S8_S8_S8_EEEEZNS1_11reduce_implILb1ES3_NS6_12zip_iteratorINS7_INS6_11hip_rocprim26transform_input_iterator_tIbNSD_35transform_pair_of_input_iterators_tIbNS6_6detail15normal_iteratorINS6_10device_ptrIKdEEEESL_NS6_8equal_toIdEEEENSG_9not_fun_tINSD_8identityEEEEENSD_19counting_iterator_tIlEES8_S8_S8_S8_S8_S8_S8_S8_EEEEPS9_S9_NSD_9__find_if7functorIS9_EEEE10hipError_tPvRmT1_T2_T3_mT4_P12ihipStream_tbEUlT_E0_NS1_11comp_targetILNS1_3genE8ELNS1_11target_archE1030ELNS1_3gpuE2ELNS1_3repE0EEENS1_30default_config_static_selectorELNS0_4arch9wavefront6targetE0EEEvS14_
	.globl	_ZN7rocprim17ROCPRIM_400000_NS6detail17trampoline_kernelINS0_14default_configENS1_22reduce_config_selectorIN6thrust23THRUST_200600_302600_NS5tupleIblNS6_9null_typeES8_S8_S8_S8_S8_S8_S8_EEEEZNS1_11reduce_implILb1ES3_NS6_12zip_iteratorINS7_INS6_11hip_rocprim26transform_input_iterator_tIbNSD_35transform_pair_of_input_iterators_tIbNS6_6detail15normal_iteratorINS6_10device_ptrIKdEEEESL_NS6_8equal_toIdEEEENSG_9not_fun_tINSD_8identityEEEEENSD_19counting_iterator_tIlEES8_S8_S8_S8_S8_S8_S8_S8_EEEEPS9_S9_NSD_9__find_if7functorIS9_EEEE10hipError_tPvRmT1_T2_T3_mT4_P12ihipStream_tbEUlT_E0_NS1_11comp_targetILNS1_3genE8ELNS1_11target_archE1030ELNS1_3gpuE2ELNS1_3repE0EEENS1_30default_config_static_selectorELNS0_4arch9wavefront6targetE0EEEvS14_
	.p2align	8
	.type	_ZN7rocprim17ROCPRIM_400000_NS6detail17trampoline_kernelINS0_14default_configENS1_22reduce_config_selectorIN6thrust23THRUST_200600_302600_NS5tupleIblNS6_9null_typeES8_S8_S8_S8_S8_S8_S8_EEEEZNS1_11reduce_implILb1ES3_NS6_12zip_iteratorINS7_INS6_11hip_rocprim26transform_input_iterator_tIbNSD_35transform_pair_of_input_iterators_tIbNS6_6detail15normal_iteratorINS6_10device_ptrIKdEEEESL_NS6_8equal_toIdEEEENSG_9not_fun_tINSD_8identityEEEEENSD_19counting_iterator_tIlEES8_S8_S8_S8_S8_S8_S8_S8_EEEEPS9_S9_NSD_9__find_if7functorIS9_EEEE10hipError_tPvRmT1_T2_T3_mT4_P12ihipStream_tbEUlT_E0_NS1_11comp_targetILNS1_3genE8ELNS1_11target_archE1030ELNS1_3gpuE2ELNS1_3repE0EEENS1_30default_config_static_selectorELNS0_4arch9wavefront6targetE0EEEvS14_,@function
_ZN7rocprim17ROCPRIM_400000_NS6detail17trampoline_kernelINS0_14default_configENS1_22reduce_config_selectorIN6thrust23THRUST_200600_302600_NS5tupleIblNS6_9null_typeES8_S8_S8_S8_S8_S8_S8_EEEEZNS1_11reduce_implILb1ES3_NS6_12zip_iteratorINS7_INS6_11hip_rocprim26transform_input_iterator_tIbNSD_35transform_pair_of_input_iterators_tIbNS6_6detail15normal_iteratorINS6_10device_ptrIKdEEEESL_NS6_8equal_toIdEEEENSG_9not_fun_tINSD_8identityEEEEENSD_19counting_iterator_tIlEES8_S8_S8_S8_S8_S8_S8_S8_EEEEPS9_S9_NSD_9__find_if7functorIS9_EEEE10hipError_tPvRmT1_T2_T3_mT4_P12ihipStream_tbEUlT_E0_NS1_11comp_targetILNS1_3genE8ELNS1_11target_archE1030ELNS1_3gpuE2ELNS1_3repE0EEENS1_30default_config_static_selectorELNS0_4arch9wavefront6targetE0EEEvS14_: ; @_ZN7rocprim17ROCPRIM_400000_NS6detail17trampoline_kernelINS0_14default_configENS1_22reduce_config_selectorIN6thrust23THRUST_200600_302600_NS5tupleIblNS6_9null_typeES8_S8_S8_S8_S8_S8_S8_EEEEZNS1_11reduce_implILb1ES3_NS6_12zip_iteratorINS7_INS6_11hip_rocprim26transform_input_iterator_tIbNSD_35transform_pair_of_input_iterators_tIbNS6_6detail15normal_iteratorINS6_10device_ptrIKdEEEESL_NS6_8equal_toIdEEEENSG_9not_fun_tINSD_8identityEEEEENSD_19counting_iterator_tIlEES8_S8_S8_S8_S8_S8_S8_S8_EEEEPS9_S9_NSD_9__find_if7functorIS9_EEEE10hipError_tPvRmT1_T2_T3_mT4_P12ihipStream_tbEUlT_E0_NS1_11comp_targetILNS1_3genE8ELNS1_11target_archE1030ELNS1_3gpuE2ELNS1_3repE0EEENS1_30default_config_static_selectorELNS0_4arch9wavefront6targetE0EEEvS14_
; %bb.0:
	s_clause 0x2
	s_load_dwordx8 s[8:15], s[4:5], 0x20
	s_load_dwordx4 s[0:3], s[4:5], 0x0
	s_load_dwordx4 s[16:19], s[4:5], 0x40
	s_mov_b32 s23, 0
	v_mbcnt_lo_u32_b32 v7, -1, 0
	s_mov_b32 s7, s23
	s_waitcnt lgkmcnt(0)
	s_lshl_b64 s[20:21], s[10:11], 3
	s_add_u32 s26, s0, s20
	s_addc_u32 s27, s1, s21
	s_add_u32 s20, s2, s20
	s_addc_u32 s21, s3, s21
	s_lshl_b32 s22, s6, 9
	s_lshr_b64 s[24:25], s[12:13], 9
	s_lshl_b64 s[0:1], s[22:23], 3
	s_add_u32 s2, s26, s0
	s_addc_u32 s3, s27, s1
	s_add_u32 s20, s20, s0
	s_addc_u32 s21, s21, s1
	;; [unrolled: 2-line block ×4, first 2 shown]
	s_cmp_lg_u64 s[24:25], s[6:7]
	s_cbranch_scc0 .LBB45_18
; %bb.1:
	v_lshlrev_b32_e32 v8, 3, v0
	v_add_co_u32 v1, s0, s2, v8
	v_add_co_ci_u32_e64 v2, null, s3, 0, s0
	v_add_co_u32 v3, s0, s20, v8
	v_add_co_ci_u32_e64 v4, null, s21, 0, s0
	v_add_co_u32 v1, vcc_lo, 0x800, v1
	v_add_co_ci_u32_e64 v2, null, 0, v2, vcc_lo
	v_add_co_u32 v3, vcc_lo, 0x800, v3
	v_add_co_ci_u32_e64 v4, null, 0, v4, vcc_lo
	s_clause 0x1
	global_load_dwordx2 v[5:6], v8, s[2:3]
	global_load_dwordx2 v[8:9], v8, s[20:21]
	global_load_dwordx2 v[1:2], v[1:2], off
	global_load_dwordx2 v[3:4], v[3:4], off
	v_add_co_u32 v10, s0, s10, v0
	v_add_co_ci_u32_e64 v11, null, s11, 0, s0
	v_add_co_u32 v12, vcc_lo, 0x100, v10
	v_add_co_ci_u32_e64 v13, null, 0, v11, vcc_lo
	s_waitcnt vmcnt(2)
	v_cmp_neq_f64_e32 vcc_lo, v[5:6], v[8:9]
	s_waitcnt vmcnt(0)
	v_cmp_neq_f64_e64 s0, v[1:2], v[3:4]
	v_cndmask_b32_e32 v2, v13, v11, vcc_lo
	v_cndmask_b32_e32 v1, v12, v10, vcc_lo
	s_or_b32 s0, vcc_lo, s0
	v_cndmask_b32_e64 v5, 0, 1, s0
	v_mov_b32_dpp v4, v2 quad_perm:[1,0,3,2] row_mask:0xf bank_mask:0xf
	v_mov_b32_dpp v3, v1 quad_perm:[1,0,3,2] row_mask:0xf bank_mask:0xf
	;; [unrolled: 1-line block ×3, first 2 shown]
	v_cmp_lt_i64_e32 vcc_lo, v[1:2], v[3:4]
	v_and_b32_e32 v6, 1, v6
	s_and_b32 vcc_lo, s0, vcc_lo
	v_cndmask_b32_e32 v3, v3, v1, vcc_lo
	v_cndmask_b32_e32 v4, v4, v2, vcc_lo
	v_cmp_eq_u32_e32 vcc_lo, 1, v6
	v_cndmask_b32_e32 v2, v2, v4, vcc_lo
	v_cndmask_b32_e32 v1, v1, v3, vcc_lo
	v_cndmask_b32_e64 v5, v5, 1, vcc_lo
	v_mov_b32_dpp v4, v2 quad_perm:[2,3,0,1] row_mask:0xf bank_mask:0xf
	v_mov_b32_dpp v3, v1 quad_perm:[2,3,0,1] row_mask:0xf bank_mask:0xf
	v_and_b32_e32 v8, 1, v5
	v_mov_b32_dpp v6, v5 quad_perm:[2,3,0,1] row_mask:0xf bank_mask:0xf
	v_cmp_lt_i64_e32 vcc_lo, v[1:2], v[3:4]
	v_cmp_eq_u32_e64 s0, 1, v8
	v_and_b32_e32 v6, 1, v6
	s_and_b32 vcc_lo, s0, vcc_lo
	v_cmp_eq_u32_e64 s1, 1, v6
	v_cndmask_b32_e32 v3, v3, v1, vcc_lo
	v_cndmask_b32_e32 v4, v4, v2, vcc_lo
	v_cndmask_b32_e64 v5, v5, 1, s1
	v_cndmask_b32_e64 v1, v1, v3, s1
	;; [unrolled: 1-line block ×3, first 2 shown]
	v_and_b32_e32 v8, 1, v5
	v_mov_b32_dpp v3, v1 row_ror:4 row_mask:0xf bank_mask:0xf
	v_mov_b32_dpp v4, v2 row_ror:4 row_mask:0xf bank_mask:0xf
	;; [unrolled: 1-line block ×3, first 2 shown]
	v_cmp_eq_u32_e64 s0, 1, v8
	v_cmp_lt_i64_e32 vcc_lo, v[1:2], v[3:4]
	v_and_b32_e32 v6, 1, v6
	s_and_b32 vcc_lo, s0, vcc_lo
	v_cmp_eq_u32_e64 s1, 1, v6
	v_cndmask_b32_e32 v3, v3, v1, vcc_lo
	v_cndmask_b32_e32 v4, v4, v2, vcc_lo
	v_cndmask_b32_e64 v5, v5, 1, s1
	v_cndmask_b32_e64 v1, v1, v3, s1
	;; [unrolled: 1-line block ×3, first 2 shown]
	v_and_b32_e32 v8, 1, v5
	v_mov_b32_dpp v3, v1 row_ror:8 row_mask:0xf bank_mask:0xf
	v_mov_b32_dpp v4, v2 row_ror:8 row_mask:0xf bank_mask:0xf
	;; [unrolled: 1-line block ×3, first 2 shown]
	v_cmp_eq_u32_e64 s0, 1, v8
	v_cmp_lt_i64_e32 vcc_lo, v[1:2], v[3:4]
	v_and_b32_e32 v6, 1, v6
	s_and_b32 vcc_lo, s0, vcc_lo
	v_cmp_eq_u32_e64 s1, 1, v6
	v_cndmask_b32_e32 v3, v3, v1, vcc_lo
	v_cndmask_b32_e32 v4, v4, v2, vcc_lo
	v_cndmask_b32_e64 v5, v5, 1, s1
	v_cndmask_b32_e64 v1, v1, v3, s1
	;; [unrolled: 1-line block ×3, first 2 shown]
	ds_swizzle_b32 v6, v5 offset:swizzle(BROADCAST,32,15)
	ds_swizzle_b32 v3, v1 offset:swizzle(BROADCAST,32,15)
	ds_swizzle_b32 v4, v2 offset:swizzle(BROADCAST,32,15)
	v_and_b32_e32 v8, 1, v5
	v_cmp_eq_u32_e64 s0, 1, v8
	s_waitcnt lgkmcnt(2)
	v_and_b32_e32 v6, 1, v6
	s_waitcnt lgkmcnt(0)
	v_cmp_lt_i64_e32 vcc_lo, v[1:2], v[3:4]
	v_cmp_eq_u32_e64 s1, 1, v6
	v_mov_b32_e32 v6, 0
	s_and_b32 vcc_lo, s0, vcc_lo
	s_mov_b32 s0, exec_lo
	v_cndmask_b32_e32 v3, v3, v1, vcc_lo
	v_cndmask_b32_e32 v4, v4, v2, vcc_lo
	v_cndmask_b32_e64 v5, v5, 1, s1
	v_cndmask_b32_e64 v1, v1, v3, s1
	;; [unrolled: 1-line block ×3, first 2 shown]
	ds_bpermute_b32 v8, v6, v5 offset:124
	ds_bpermute_b32 v1, v6, v1 offset:124
	;; [unrolled: 1-line block ×3, first 2 shown]
	v_cmpx_eq_u32_e32 0, v7
	s_cbranch_execz .LBB45_3
; %bb.2:
	v_lshrrev_b32_e32 v3, 1, v0
	v_and_b32_e32 v3, 0x70, v3
	s_waitcnt lgkmcnt(2)
	ds_write_b8 v3, v8
	s_waitcnt lgkmcnt(1)
	ds_write_b64 v3, v[1:2] offset:8
.LBB45_3:
	s_or_b32 exec_lo, exec_lo, s0
	s_mov_b32 s0, exec_lo
	s_waitcnt lgkmcnt(0)
	s_barrier
	buffer_gl0_inv
	v_cmpx_gt_u32_e32 32, v0
	s_cbranch_execz .LBB45_17
; %bb.4:
	v_and_b32_e32 v8, 7, v7
	v_lshlrev_b32_e32 v1, 4, v8
	v_cmp_ne_u32_e32 vcc_lo, 7, v8
	ds_read_u8 v10, v1
	ds_read_b64 v[3:4], v1 offset:8
	v_add_co_ci_u32_e64 v2, null, 0, v7, vcc_lo
	v_lshlrev_b32_e32 v2, 2, v2
	s_waitcnt lgkmcnt(1)
	v_and_b32_e32 v1, 0xff, v10
	s_waitcnt lgkmcnt(0)
	ds_bpermute_b32 v5, v2, v3
	ds_bpermute_b32 v6, v2, v4
	;; [unrolled: 1-line block ×3, first 2 shown]
	s_waitcnt lgkmcnt(0)
	v_and_b32_e32 v1, v10, v11
	v_and_b32_e32 v1, 1, v1
	v_cmp_eq_u32_e32 vcc_lo, 1, v1
                                        ; implicit-def: $vgpr1_vgpr2
	s_and_saveexec_b32 s1, vcc_lo
	s_xor_b32 s1, exec_lo, s1
; %bb.5:
	v_cmp_lt_i64_e32 vcc_lo, v[5:6], v[3:4]
                                        ; implicit-def: $vgpr10
                                        ; implicit-def: $vgpr11
	v_cndmask_b32_e32 v2, v4, v6, vcc_lo
	v_cndmask_b32_e32 v1, v3, v5, vcc_lo
                                        ; implicit-def: $vgpr5_vgpr6
                                        ; implicit-def: $vgpr3_vgpr4
; %bb.6:
	s_or_saveexec_b32 s1, s1
	v_mov_b32_e32 v9, 1
	s_xor_b32 exec_lo, exec_lo, s1
; %bb.7:
	v_and_b32_e32 v1, 1, v10
	v_and_b32_e32 v9, 0xff, v11
	v_cmp_eq_u32_e32 vcc_lo, 1, v1
	v_cndmask_b32_e32 v2, v6, v4, vcc_lo
	v_cndmask_b32_e32 v1, v5, v3, vcc_lo
	v_cndmask_b32_e64 v9, v9, 1, vcc_lo
; %bb.8:
	s_or_b32 exec_lo, exec_lo, s1
	v_cmp_gt_u32_e32 vcc_lo, 6, v8
	v_cndmask_b32_e64 v3, 0, 2, vcc_lo
	v_add_lshl_u32 v3, v3, v7, 2
	ds_bpermute_b32 v8, v3, v9
	ds_bpermute_b32 v5, v3, v1
	;; [unrolled: 1-line block ×3, first 2 shown]
	s_waitcnt lgkmcnt(2)
	v_and_b32_e32 v3, v9, v8
	v_and_b32_e32 v3, 1, v3
	v_cmp_eq_u32_e32 vcc_lo, 1, v3
                                        ; implicit-def: $vgpr3_vgpr4
	s_and_saveexec_b32 s1, vcc_lo
	s_xor_b32 s1, exec_lo, s1
	s_cbranch_execz .LBB45_10
; %bb.9:
	s_waitcnt lgkmcnt(0)
	v_cmp_lt_i64_e32 vcc_lo, v[5:6], v[1:2]
                                        ; implicit-def: $vgpr9
                                        ; implicit-def: $vgpr8
	v_cndmask_b32_e32 v4, v2, v6, vcc_lo
	v_cndmask_b32_e32 v3, v1, v5, vcc_lo
                                        ; implicit-def: $vgpr5_vgpr6
                                        ; implicit-def: $vgpr1_vgpr2
.LBB45_10:
	s_or_saveexec_b32 s1, s1
	v_lshlrev_b32_e32 v11, 2, v7
	v_mov_b32_e32 v10, 1
	s_xor_b32 exec_lo, exec_lo, s1
	s_cbranch_execz .LBB45_12
; %bb.11:
	v_and_b32_e32 v3, 1, v9
	v_and_b32_e32 v8, 0xff, v8
	v_cmp_eq_u32_e32 vcc_lo, 1, v3
	s_waitcnt lgkmcnt(0)
	v_cndmask_b32_e32 v4, v6, v2, vcc_lo
	v_cndmask_b32_e32 v3, v5, v1, vcc_lo
	v_cndmask_b32_e64 v10, v8, 1, vcc_lo
.LBB45_12:
	s_or_b32 exec_lo, exec_lo, s1
	v_or_b32_e32 v1, 16, v11
	ds_bpermute_b32 v9, v1, v10
	s_waitcnt lgkmcnt(2)
	ds_bpermute_b32 v5, v1, v3
	s_waitcnt lgkmcnt(2)
	;; [unrolled: 2-line block ×3, first 2 shown]
	v_and_b32_e32 v1, v10, v9
	v_and_b32_e32 v1, 1, v1
	v_cmp_eq_u32_e32 vcc_lo, 1, v1
                                        ; implicit-def: $vgpr1_vgpr2
	s_and_saveexec_b32 s1, vcc_lo
	s_xor_b32 s1, exec_lo, s1
	s_cbranch_execz .LBB45_14
; %bb.13:
	s_waitcnt lgkmcnt(0)
	v_cmp_lt_i64_e32 vcc_lo, v[5:6], v[3:4]
                                        ; implicit-def: $vgpr10
                                        ; implicit-def: $vgpr9
	v_cndmask_b32_e32 v2, v4, v6, vcc_lo
	v_cndmask_b32_e32 v1, v3, v5, vcc_lo
                                        ; implicit-def: $vgpr5_vgpr6
                                        ; implicit-def: $vgpr3_vgpr4
.LBB45_14:
	s_or_saveexec_b32 s1, s1
	v_mov_b32_e32 v8, 1
	s_xor_b32 exec_lo, exec_lo, s1
	s_cbranch_execz .LBB45_16
; %bb.15:
	v_and_b32_e32 v1, 1, v10
	v_cmp_eq_u32_e32 vcc_lo, 1, v1
	s_waitcnt lgkmcnt(0)
	v_cndmask_b32_e32 v2, v6, v4, vcc_lo
	v_cndmask_b32_e32 v1, v5, v3, vcc_lo
	v_cndmask_b32_e64 v8, v9, 1, vcc_lo
.LBB45_16:
	s_or_b32 exec_lo, exec_lo, s1
.LBB45_17:
	s_or_b32 exec_lo, exec_lo, s0
	s_load_dwordx2 s[8:9], s[4:5], 0x58
	s_branch .LBB45_76
.LBB45_18:
                                        ; implicit-def: $vgpr1_vgpr2
                                        ; implicit-def: $vgpr8
	s_load_dwordx2 s[8:9], s[4:5], 0x58
	s_cbranch_execz .LBB45_76
; %bb.19:
	v_mov_b32_e32 v3, 0
	v_mov_b32_e32 v1, 0
	s_waitcnt lgkmcnt(0)
	v_mov_b32_e32 v5, 0
	v_mov_b32_e32 v4, 0
	v_mov_b32_e32 v2, 0
	v_mov_b32_e32 v6, 0
	s_sub_i32 s22, s12, s22
	s_mov_b32 s0, exec_lo
	v_cmpx_gt_u32_e64 s22, v0
	s_cbranch_execz .LBB45_21
; %bb.20:
	v_lshlrev_b32_e32 v1, 3, v0
	s_clause 0x1
	global_load_dwordx2 v[8:9], v1, s[2:3]
	global_load_dwordx2 v[10:11], v1, s[20:21]
	v_add_co_u32 v1, s1, s10, v0
	v_add_co_ci_u32_e64 v2, null, s11, 0, s1
	s_waitcnt vmcnt(0)
	v_cmp_neq_f64_e32 vcc_lo, v[8:9], v[10:11]
	v_cndmask_b32_e64 v6, 0, 1, vcc_lo
.LBB45_21:
	s_or_b32 exec_lo, exec_lo, s0
	v_or_b32_e32 v8, 0x100, v0
	v_cmp_gt_u32_e32 vcc_lo, s22, v8
	s_and_saveexec_b32 s1, vcc_lo
	s_cbranch_execz .LBB45_23
; %bb.22:
	v_lshlrev_b32_e32 v3, 3, v8
	s_clause 0x1
	global_load_dwordx2 v[9:10], v3, s[2:3]
	global_load_dwordx2 v[11:12], v3, s[20:21]
	v_add_co_u32 v3, s0, s10, v8
	v_add_co_ci_u32_e64 v4, null, s11, 0, s0
	s_waitcnt vmcnt(0)
	v_cmp_neq_f64_e64 s0, v[9:10], v[11:12]
	v_cndmask_b32_e64 v5, 0, 1, s0
.LBB45_23:
	s_or_b32 exec_lo, exec_lo, s1
	v_and_b32_e32 v8, 1, v5
	v_cmp_lt_i64_e64 s0, v[3:4], v[1:2]
	v_and_b32_e32 v9, 1, v6
	v_and_b32_e32 v5, 0xffff, v5
	;; [unrolled: 1-line block ×3, first 2 shown]
	v_cmp_eq_u32_e64 s1, 1, v8
	v_cmp_eq_u32_e64 s2, 1, v9
	s_and_b32 s0, s1, s0
	s_mov_b32 s1, exec_lo
	v_cndmask_b32_e64 v8, v2, v4, s0
	v_cndmask_b32_e64 v9, v1, v3, s0
	v_cmp_ne_u32_e64 s0, 31, v7
	v_cndmask_b32_e64 v5, v5, 1, s2
	v_cndmask_b32_e64 v4, v4, v8, s2
	v_cndmask_b32_e64 v3, v3, v9, s2
	v_add_co_ci_u32_e64 v10, null, 0, v7, s0
	v_cndmask_b32_e32 v8, v6, v5, vcc_lo
	v_cndmask_b32_e32 v2, v2, v4, vcc_lo
	;; [unrolled: 1-line block ×3, first 2 shown]
	v_lshlrev_b32_e32 v9, 2, v10
	v_and_b32_e32 v5, 0xe0, v0
	s_min_u32 s0, s22, 0x100
	ds_bpermute_b32 v6, v9, v8
	ds_bpermute_b32 v3, v9, v1
	;; [unrolled: 1-line block ×3, first 2 shown]
	v_sub_nc_u32_e64 v5, s0, v5 clamp
	v_add_nc_u32_e32 v9, 1, v7
	v_cmpx_lt_u32_e64 v9, v5
	s_cbranch_execz .LBB45_29
; %bb.24:
	s_waitcnt lgkmcnt(2)
	v_and_b32_e32 v9, v8, v6
	s_mov_b32 s2, exec_lo
	v_cmpx_ne_u32_e32 0, v9
	s_xor_b32 s2, exec_lo, s2
	s_cbranch_execz .LBB45_26
; %bb.25:
	s_waitcnt lgkmcnt(0)
	v_cmp_lt_i64_e32 vcc_lo, v[3:4], v[1:2]
                                        ; implicit-def: $vgpr8
                                        ; implicit-def: $vgpr6
	v_cndmask_b32_e32 v2, v2, v4, vcc_lo
	v_cndmask_b32_e32 v1, v1, v3, vcc_lo
                                        ; implicit-def: $vgpr3_vgpr4
.LBB45_26:
	s_or_saveexec_b32 s2, s2
	v_mov_b32_e32 v9, 1
	s_xor_b32 exec_lo, exec_lo, s2
	s_cbranch_execz .LBB45_28
; %bb.27:
	v_and_b32_e32 v8, 1, v8
	v_and_b32_e32 v6, 0xff, v6
	v_cmp_eq_u32_e32 vcc_lo, 1, v8
	s_waitcnt lgkmcnt(0)
	v_cndmask_b32_e32 v2, v4, v2, vcc_lo
	v_cndmask_b32_e32 v1, v3, v1, vcc_lo
	v_cndmask_b32_e64 v9, v6, 1, vcc_lo
.LBB45_28:
	s_or_b32 exec_lo, exec_lo, s2
	v_mov_b32_e32 v8, v9
.LBB45_29:
	s_or_b32 exec_lo, exec_lo, s1
	v_cmp_gt_u32_e32 vcc_lo, 30, v7
	v_add_nc_u32_e32 v9, 2, v7
	s_mov_b32 s1, exec_lo
	s_waitcnt lgkmcnt(1)
	v_cndmask_b32_e64 v3, 0, 2, vcc_lo
	s_waitcnt lgkmcnt(0)
	v_add_lshl_u32 v4, v3, v7, 2
	ds_bpermute_b32 v6, v4, v8
	ds_bpermute_b32 v3, v4, v1
	ds_bpermute_b32 v4, v4, v2
	v_cmpx_lt_u32_e64 v9, v5
	s_cbranch_execz .LBB45_35
; %bb.30:
	s_waitcnt lgkmcnt(2)
	v_and_b32_e32 v9, v8, v6
	s_mov_b32 s2, exec_lo
	v_and_b32_e32 v9, 1, v9
	v_cmpx_eq_u32_e32 1, v9
	s_xor_b32 s2, exec_lo, s2
	s_cbranch_execz .LBB45_32
; %bb.31:
	s_waitcnt lgkmcnt(0)
	v_cmp_lt_i64_e32 vcc_lo, v[3:4], v[1:2]
                                        ; implicit-def: $vgpr8
                                        ; implicit-def: $vgpr6
	v_cndmask_b32_e32 v2, v2, v4, vcc_lo
	v_cndmask_b32_e32 v1, v1, v3, vcc_lo
                                        ; implicit-def: $vgpr3_vgpr4
.LBB45_32:
	s_or_saveexec_b32 s2, s2
	v_mov_b32_e32 v9, 1
	s_xor_b32 exec_lo, exec_lo, s2
	s_cbranch_execz .LBB45_34
; %bb.33:
	v_and_b32_e32 v8, 1, v8
	v_and_b32_e32 v6, 0xff, v6
	v_cmp_eq_u32_e32 vcc_lo, 1, v8
	s_waitcnt lgkmcnt(0)
	v_cndmask_b32_e32 v2, v4, v2, vcc_lo
	v_cndmask_b32_e32 v1, v3, v1, vcc_lo
	v_cndmask_b32_e64 v9, v6, 1, vcc_lo
.LBB45_34:
	s_or_b32 exec_lo, exec_lo, s2
	v_mov_b32_e32 v8, v9
.LBB45_35:
	s_or_b32 exec_lo, exec_lo, s1
	v_cmp_gt_u32_e32 vcc_lo, 28, v7
	v_add_nc_u32_e32 v9, 4, v7
	s_mov_b32 s1, exec_lo
	s_waitcnt lgkmcnt(1)
	v_cndmask_b32_e64 v3, 0, 4, vcc_lo
	s_waitcnt lgkmcnt(0)
	v_add_lshl_u32 v4, v3, v7, 2
	ds_bpermute_b32 v6, v4, v8
	ds_bpermute_b32 v3, v4, v1
	ds_bpermute_b32 v4, v4, v2
	v_cmpx_lt_u32_e64 v9, v5
	s_cbranch_execz .LBB45_41
; %bb.36:
	s_waitcnt lgkmcnt(2)
	v_and_b32_e32 v9, v8, v6
	s_mov_b32 s2, exec_lo
	v_and_b32_e32 v9, 1, v9
	v_cmpx_eq_u32_e32 1, v9
	s_xor_b32 s2, exec_lo, s2
	s_cbranch_execz .LBB45_38
; %bb.37:
	s_waitcnt lgkmcnt(0)
	v_cmp_lt_i64_e32 vcc_lo, v[3:4], v[1:2]
                                        ; implicit-def: $vgpr8
                                        ; implicit-def: $vgpr6
	v_cndmask_b32_e32 v2, v2, v4, vcc_lo
	v_cndmask_b32_e32 v1, v1, v3, vcc_lo
                                        ; implicit-def: $vgpr3_vgpr4
.LBB45_38:
	s_or_saveexec_b32 s2, s2
	v_mov_b32_e32 v9, 1
	s_xor_b32 exec_lo, exec_lo, s2
	s_cbranch_execz .LBB45_40
; %bb.39:
	v_and_b32_e32 v8, 1, v8
	v_and_b32_e32 v6, 0xff, v6
	v_cmp_eq_u32_e32 vcc_lo, 1, v8
	s_waitcnt lgkmcnt(0)
	v_cndmask_b32_e32 v2, v4, v2, vcc_lo
	v_cndmask_b32_e32 v1, v3, v1, vcc_lo
	v_cndmask_b32_e64 v9, v6, 1, vcc_lo
.LBB45_40:
	s_or_b32 exec_lo, exec_lo, s2
	v_mov_b32_e32 v8, v9
.LBB45_41:
	;; [unrolled: 46-line block ×3, first 2 shown]
	s_or_b32 exec_lo, exec_lo, s1
	s_waitcnt lgkmcnt(2)
	v_lshlrev_b32_e32 v6, 2, v7
	v_add_nc_u32_e32 v10, 16, v7
	s_waitcnt lgkmcnt(0)
	v_or_b32_e32 v4, 64, v6
	v_cmp_lt_u32_e32 vcc_lo, v10, v5
	v_mov_b32_e32 v5, v8
	ds_bpermute_b32 v9, v4, v8
	ds_bpermute_b32 v3, v4, v1
	;; [unrolled: 1-line block ×3, first 2 shown]
	s_and_saveexec_b32 s1, vcc_lo
	s_cbranch_execz .LBB45_53
; %bb.48:
	s_waitcnt lgkmcnt(2)
	v_and_b32_e32 v5, v8, v9
	s_mov_b32 s2, exec_lo
	v_and_b32_e32 v5, 1, v5
	v_cmpx_eq_u32_e32 1, v5
	s_xor_b32 s2, exec_lo, s2
	s_cbranch_execz .LBB45_50
; %bb.49:
	s_waitcnt lgkmcnt(0)
	v_cmp_lt_i64_e32 vcc_lo, v[3:4], v[1:2]
                                        ; implicit-def: $vgpr8
                                        ; implicit-def: $vgpr9
	v_cndmask_b32_e32 v2, v2, v4, vcc_lo
	v_cndmask_b32_e32 v1, v1, v3, vcc_lo
                                        ; implicit-def: $vgpr3_vgpr4
.LBB45_50:
	s_or_saveexec_b32 s2, s2
	v_mov_b32_e32 v5, 1
	s_xor_b32 exec_lo, exec_lo, s2
	s_cbranch_execz .LBB45_52
; %bb.51:
	v_and_b32_e32 v5, 1, v8
	v_cmp_eq_u32_e32 vcc_lo, 1, v5
	v_cndmask_b32_e64 v5, v9, 1, vcc_lo
	s_waitcnt lgkmcnt(0)
	v_cndmask_b32_e32 v2, v4, v2, vcc_lo
	v_cndmask_b32_e32 v1, v3, v1, vcc_lo
.LBB45_52:
	s_or_b32 exec_lo, exec_lo, s2
	v_and_b32_e32 v8, 0xff, v5
.LBB45_53:
	s_or_b32 exec_lo, exec_lo, s1
	s_mov_b32 s1, exec_lo
	v_cmpx_eq_u32_e32 0, v7
	s_cbranch_execz .LBB45_55
; %bb.54:
	s_waitcnt lgkmcnt(1)
	v_lshrrev_b32_e32 v3, 1, v0
	v_and_b32_e32 v3, 0x70, v3
	ds_write_b8 v3, v5 offset:128
	ds_write_b64 v3, v[1:2] offset:136
.LBB45_55:
	s_or_b32 exec_lo, exec_lo, s1
	s_mov_b32 s1, exec_lo
	s_waitcnt lgkmcnt(0)
	s_barrier
	buffer_gl0_inv
	v_cmpx_gt_u32_e32 8, v0
	s_cbranch_execz .LBB45_75
; %bb.56:
	v_lshlrev_b32_e32 v1, 4, v7
	v_and_b32_e32 v5, 7, v7
	s_add_i32 s0, s0, 31
	s_mov_b32 s2, exec_lo
	s_lshr_b32 s0, s0, 5
	ds_read_u8 v9, v1 offset:128
	ds_read_b64 v[1:2], v1 offset:136
	v_cmp_ne_u32_e32 vcc_lo, 7, v5
	v_add_nc_u32_e32 v11, 1, v5
	v_add_co_ci_u32_e64 v3, null, 0, v7, vcc_lo
	v_lshlrev_b32_e32 v4, 2, v3
	s_waitcnt lgkmcnt(1)
	v_and_b32_e32 v8, 0xff, v9
	s_waitcnt lgkmcnt(0)
	ds_bpermute_b32 v3, v4, v1
	ds_bpermute_b32 v10, v4, v8
	;; [unrolled: 1-line block ×3, first 2 shown]
	v_cmpx_gt_u32_e64 s0, v11
	s_cbranch_execz .LBB45_62
; %bb.57:
	s_waitcnt lgkmcnt(1)
	v_and_b32_e32 v8, v8, v10
	s_mov_b32 s3, exec_lo
	v_and_b32_e32 v8, 1, v8
	v_cmpx_eq_u32_e32 1, v8
	s_xor_b32 s3, exec_lo, s3
	s_cbranch_execz .LBB45_59
; %bb.58:
	s_waitcnt lgkmcnt(0)
	v_cmp_lt_i64_e32 vcc_lo, v[3:4], v[1:2]
                                        ; implicit-def: $vgpr9
                                        ; implicit-def: $vgpr10
	v_cndmask_b32_e32 v2, v2, v4, vcc_lo
	v_cndmask_b32_e32 v1, v1, v3, vcc_lo
                                        ; implicit-def: $vgpr3_vgpr4
.LBB45_59:
	s_or_saveexec_b32 s3, s3
	v_mov_b32_e32 v8, 1
	s_xor_b32 exec_lo, exec_lo, s3
	s_cbranch_execz .LBB45_61
; %bb.60:
	v_and_b32_e32 v8, 1, v9
	v_cmp_eq_u32_e32 vcc_lo, 1, v8
	v_and_b32_e32 v8, 0xff, v10
	s_waitcnt lgkmcnt(0)
	v_cndmask_b32_e32 v2, v4, v2, vcc_lo
	v_cndmask_b32_e32 v1, v3, v1, vcc_lo
	v_cndmask_b32_e64 v8, v8, 1, vcc_lo
.LBB45_61:
	s_or_b32 exec_lo, exec_lo, s3
.LBB45_62:
	s_or_b32 exec_lo, exec_lo, s2
	v_cmp_gt_u32_e32 vcc_lo, 6, v5
	v_add_nc_u32_e32 v9, 2, v5
	s_mov_b32 s2, exec_lo
	s_waitcnt lgkmcnt(2)
	v_cndmask_b32_e64 v3, 0, 2, vcc_lo
	s_waitcnt lgkmcnt(0)
	v_add_lshl_u32 v4, v3, v7, 2
	ds_bpermute_b32 v7, v4, v8
	ds_bpermute_b32 v3, v4, v1
	;; [unrolled: 1-line block ×3, first 2 shown]
	v_cmpx_gt_u32_e64 s0, v9
	s_cbranch_execz .LBB45_68
; %bb.63:
	s_waitcnt lgkmcnt(2)
	v_and_b32_e32 v9, v8, v7
	s_mov_b32 s3, exec_lo
	v_and_b32_e32 v9, 1, v9
	v_cmpx_eq_u32_e32 1, v9
	s_xor_b32 s3, exec_lo, s3
	s_cbranch_execz .LBB45_65
; %bb.64:
	s_waitcnt lgkmcnt(0)
	v_cmp_lt_i64_e32 vcc_lo, v[3:4], v[1:2]
                                        ; implicit-def: $vgpr8
                                        ; implicit-def: $vgpr7
	v_cndmask_b32_e32 v2, v2, v4, vcc_lo
	v_cndmask_b32_e32 v1, v1, v3, vcc_lo
                                        ; implicit-def: $vgpr3_vgpr4
.LBB45_65:
	s_or_saveexec_b32 s3, s3
	v_mov_b32_e32 v9, 1
	s_xor_b32 exec_lo, exec_lo, s3
	s_cbranch_execz .LBB45_67
; %bb.66:
	v_and_b32_e32 v8, 1, v8
	v_and_b32_e32 v7, 0xff, v7
	v_cmp_eq_u32_e32 vcc_lo, 1, v8
	s_waitcnt lgkmcnt(0)
	v_cndmask_b32_e32 v2, v4, v2, vcc_lo
	v_cndmask_b32_e32 v1, v3, v1, vcc_lo
	v_cndmask_b32_e64 v9, v7, 1, vcc_lo
.LBB45_67:
	s_or_b32 exec_lo, exec_lo, s3
	v_mov_b32_e32 v8, v9
.LBB45_68:
	s_or_b32 exec_lo, exec_lo, s2
	s_waitcnt lgkmcnt(0)
	v_or_b32_e32 v4, 16, v6
	v_add_nc_u32_e32 v5, 4, v5
	ds_bpermute_b32 v6, v4, v8
	ds_bpermute_b32 v3, v4, v1
	;; [unrolled: 1-line block ×3, first 2 shown]
	v_cmp_gt_u32_e32 vcc_lo, s0, v5
	s_and_saveexec_b32 s0, vcc_lo
	s_cbranch_execz .LBB45_74
; %bb.69:
	s_waitcnt lgkmcnt(2)
	v_and_b32_e32 v5, v8, v6
	s_mov_b32 s2, exec_lo
	v_and_b32_e32 v5, 1, v5
	v_cmpx_eq_u32_e32 1, v5
	s_xor_b32 s2, exec_lo, s2
	s_cbranch_execz .LBB45_71
; %bb.70:
	s_waitcnt lgkmcnt(0)
	v_cmp_lt_i64_e32 vcc_lo, v[3:4], v[1:2]
                                        ; implicit-def: $vgpr8
                                        ; implicit-def: $vgpr6
	v_cndmask_b32_e32 v2, v2, v4, vcc_lo
	v_cndmask_b32_e32 v1, v1, v3, vcc_lo
                                        ; implicit-def: $vgpr3_vgpr4
.LBB45_71:
	s_or_saveexec_b32 s2, s2
	v_mov_b32_e32 v5, 1
	s_xor_b32 exec_lo, exec_lo, s2
	s_cbranch_execz .LBB45_73
; %bb.72:
	v_and_b32_e32 v5, 1, v8
	v_cmp_eq_u32_e32 vcc_lo, 1, v5
	s_waitcnt lgkmcnt(0)
	v_cndmask_b32_e32 v2, v4, v2, vcc_lo
	v_cndmask_b32_e32 v1, v3, v1, vcc_lo
	v_cndmask_b32_e64 v5, v6, 1, vcc_lo
.LBB45_73:
	s_or_b32 exec_lo, exec_lo, s2
	v_mov_b32_e32 v8, v5
.LBB45_74:
	s_or_b32 exec_lo, exec_lo, s0
.LBB45_75:
	s_or_b32 exec_lo, exec_lo, s1
.LBB45_76:
	s_load_dword s0, s[4:5], 0x50
	s_mov_b32 s1, exec_lo
	v_cmpx_eq_u32_e32 0, v0
	s_cbranch_execz .LBB45_78
; %bb.77:
	s_mul_i32 s1, s18, s17
	s_mul_hi_u32 s2, s18, s16
	s_mul_i32 s3, s19, s16
	s_add_i32 s1, s2, s1
	s_mul_i32 s2, s18, s16
	s_add_i32 s3, s1, s3
	v_mov_b32_e32 v0, 0
	s_lshl_b64 s[2:3], s[2:3], 4
	s_add_u32 s1, s14, s2
	s_addc_u32 s4, s15, s3
	s_cmp_eq_u64 s[12:13], 0
	s_cselect_b32 s5, -1, 0
	s_lshl_b64 s[2:3], s[6:7], 4
	s_waitcnt lgkmcnt(0)
	v_cndmask_b32_e64 v3, v8, s0, s5
	v_cndmask_b32_e64 v2, v2, s9, s5
	;; [unrolled: 1-line block ×3, first 2 shown]
	s_add_u32 s0, s1, s2
	s_addc_u32 s1, s4, s3
	global_store_byte v0, v3, s[0:1]
	global_store_dwordx2 v0, v[1:2], s[0:1] offset:8
.LBB45_78:
	s_endpgm
	.section	.rodata,"a",@progbits
	.p2align	6, 0x0
	.amdhsa_kernel _ZN7rocprim17ROCPRIM_400000_NS6detail17trampoline_kernelINS0_14default_configENS1_22reduce_config_selectorIN6thrust23THRUST_200600_302600_NS5tupleIblNS6_9null_typeES8_S8_S8_S8_S8_S8_S8_EEEEZNS1_11reduce_implILb1ES3_NS6_12zip_iteratorINS7_INS6_11hip_rocprim26transform_input_iterator_tIbNSD_35transform_pair_of_input_iterators_tIbNS6_6detail15normal_iteratorINS6_10device_ptrIKdEEEESL_NS6_8equal_toIdEEEENSG_9not_fun_tINSD_8identityEEEEENSD_19counting_iterator_tIlEES8_S8_S8_S8_S8_S8_S8_S8_EEEEPS9_S9_NSD_9__find_if7functorIS9_EEEE10hipError_tPvRmT1_T2_T3_mT4_P12ihipStream_tbEUlT_E0_NS1_11comp_targetILNS1_3genE8ELNS1_11target_archE1030ELNS1_3gpuE2ELNS1_3repE0EEENS1_30default_config_static_selectorELNS0_4arch9wavefront6targetE0EEEvS14_
		.amdhsa_group_segment_fixed_size 256
		.amdhsa_private_segment_fixed_size 0
		.amdhsa_kernarg_size 104
		.amdhsa_user_sgpr_count 6
		.amdhsa_user_sgpr_private_segment_buffer 1
		.amdhsa_user_sgpr_dispatch_ptr 0
		.amdhsa_user_sgpr_queue_ptr 0
		.amdhsa_user_sgpr_kernarg_segment_ptr 1
		.amdhsa_user_sgpr_dispatch_id 0
		.amdhsa_user_sgpr_flat_scratch_init 0
		.amdhsa_user_sgpr_private_segment_size 0
		.amdhsa_wavefront_size32 1
		.amdhsa_uses_dynamic_stack 0
		.amdhsa_system_sgpr_private_segment_wavefront_offset 0
		.amdhsa_system_sgpr_workgroup_id_x 1
		.amdhsa_system_sgpr_workgroup_id_y 0
		.amdhsa_system_sgpr_workgroup_id_z 0
		.amdhsa_system_sgpr_workgroup_info 0
		.amdhsa_system_vgpr_workitem_id 0
		.amdhsa_next_free_vgpr 14
		.amdhsa_next_free_sgpr 28
		.amdhsa_reserve_vcc 1
		.amdhsa_reserve_flat_scratch 0
		.amdhsa_float_round_mode_32 0
		.amdhsa_float_round_mode_16_64 0
		.amdhsa_float_denorm_mode_32 3
		.amdhsa_float_denorm_mode_16_64 3
		.amdhsa_dx10_clamp 1
		.amdhsa_ieee_mode 1
		.amdhsa_fp16_overflow 0
		.amdhsa_workgroup_processor_mode 1
		.amdhsa_memory_ordered 1
		.amdhsa_forward_progress 1
		.amdhsa_shared_vgpr_count 0
		.amdhsa_exception_fp_ieee_invalid_op 0
		.amdhsa_exception_fp_denorm_src 0
		.amdhsa_exception_fp_ieee_div_zero 0
		.amdhsa_exception_fp_ieee_overflow 0
		.amdhsa_exception_fp_ieee_underflow 0
		.amdhsa_exception_fp_ieee_inexact 0
		.amdhsa_exception_int_div_zero 0
	.end_amdhsa_kernel
	.section	.text._ZN7rocprim17ROCPRIM_400000_NS6detail17trampoline_kernelINS0_14default_configENS1_22reduce_config_selectorIN6thrust23THRUST_200600_302600_NS5tupleIblNS6_9null_typeES8_S8_S8_S8_S8_S8_S8_EEEEZNS1_11reduce_implILb1ES3_NS6_12zip_iteratorINS7_INS6_11hip_rocprim26transform_input_iterator_tIbNSD_35transform_pair_of_input_iterators_tIbNS6_6detail15normal_iteratorINS6_10device_ptrIKdEEEESL_NS6_8equal_toIdEEEENSG_9not_fun_tINSD_8identityEEEEENSD_19counting_iterator_tIlEES8_S8_S8_S8_S8_S8_S8_S8_EEEEPS9_S9_NSD_9__find_if7functorIS9_EEEE10hipError_tPvRmT1_T2_T3_mT4_P12ihipStream_tbEUlT_E0_NS1_11comp_targetILNS1_3genE8ELNS1_11target_archE1030ELNS1_3gpuE2ELNS1_3repE0EEENS1_30default_config_static_selectorELNS0_4arch9wavefront6targetE0EEEvS14_,"axG",@progbits,_ZN7rocprim17ROCPRIM_400000_NS6detail17trampoline_kernelINS0_14default_configENS1_22reduce_config_selectorIN6thrust23THRUST_200600_302600_NS5tupleIblNS6_9null_typeES8_S8_S8_S8_S8_S8_S8_EEEEZNS1_11reduce_implILb1ES3_NS6_12zip_iteratorINS7_INS6_11hip_rocprim26transform_input_iterator_tIbNSD_35transform_pair_of_input_iterators_tIbNS6_6detail15normal_iteratorINS6_10device_ptrIKdEEEESL_NS6_8equal_toIdEEEENSG_9not_fun_tINSD_8identityEEEEENSD_19counting_iterator_tIlEES8_S8_S8_S8_S8_S8_S8_S8_EEEEPS9_S9_NSD_9__find_if7functorIS9_EEEE10hipError_tPvRmT1_T2_T3_mT4_P12ihipStream_tbEUlT_E0_NS1_11comp_targetILNS1_3genE8ELNS1_11target_archE1030ELNS1_3gpuE2ELNS1_3repE0EEENS1_30default_config_static_selectorELNS0_4arch9wavefront6targetE0EEEvS14_,comdat
.Lfunc_end45:
	.size	_ZN7rocprim17ROCPRIM_400000_NS6detail17trampoline_kernelINS0_14default_configENS1_22reduce_config_selectorIN6thrust23THRUST_200600_302600_NS5tupleIblNS6_9null_typeES8_S8_S8_S8_S8_S8_S8_EEEEZNS1_11reduce_implILb1ES3_NS6_12zip_iteratorINS7_INS6_11hip_rocprim26transform_input_iterator_tIbNSD_35transform_pair_of_input_iterators_tIbNS6_6detail15normal_iteratorINS6_10device_ptrIKdEEEESL_NS6_8equal_toIdEEEENSG_9not_fun_tINSD_8identityEEEEENSD_19counting_iterator_tIlEES8_S8_S8_S8_S8_S8_S8_S8_EEEEPS9_S9_NSD_9__find_if7functorIS9_EEEE10hipError_tPvRmT1_T2_T3_mT4_P12ihipStream_tbEUlT_E0_NS1_11comp_targetILNS1_3genE8ELNS1_11target_archE1030ELNS1_3gpuE2ELNS1_3repE0EEENS1_30default_config_static_selectorELNS0_4arch9wavefront6targetE0EEEvS14_, .Lfunc_end45-_ZN7rocprim17ROCPRIM_400000_NS6detail17trampoline_kernelINS0_14default_configENS1_22reduce_config_selectorIN6thrust23THRUST_200600_302600_NS5tupleIblNS6_9null_typeES8_S8_S8_S8_S8_S8_S8_EEEEZNS1_11reduce_implILb1ES3_NS6_12zip_iteratorINS7_INS6_11hip_rocprim26transform_input_iterator_tIbNSD_35transform_pair_of_input_iterators_tIbNS6_6detail15normal_iteratorINS6_10device_ptrIKdEEEESL_NS6_8equal_toIdEEEENSG_9not_fun_tINSD_8identityEEEEENSD_19counting_iterator_tIlEES8_S8_S8_S8_S8_S8_S8_S8_EEEEPS9_S9_NSD_9__find_if7functorIS9_EEEE10hipError_tPvRmT1_T2_T3_mT4_P12ihipStream_tbEUlT_E0_NS1_11comp_targetILNS1_3genE8ELNS1_11target_archE1030ELNS1_3gpuE2ELNS1_3repE0EEENS1_30default_config_static_selectorELNS0_4arch9wavefront6targetE0EEEvS14_
                                        ; -- End function
	.set _ZN7rocprim17ROCPRIM_400000_NS6detail17trampoline_kernelINS0_14default_configENS1_22reduce_config_selectorIN6thrust23THRUST_200600_302600_NS5tupleIblNS6_9null_typeES8_S8_S8_S8_S8_S8_S8_EEEEZNS1_11reduce_implILb1ES3_NS6_12zip_iteratorINS7_INS6_11hip_rocprim26transform_input_iterator_tIbNSD_35transform_pair_of_input_iterators_tIbNS6_6detail15normal_iteratorINS6_10device_ptrIKdEEEESL_NS6_8equal_toIdEEEENSG_9not_fun_tINSD_8identityEEEEENSD_19counting_iterator_tIlEES8_S8_S8_S8_S8_S8_S8_S8_EEEEPS9_S9_NSD_9__find_if7functorIS9_EEEE10hipError_tPvRmT1_T2_T3_mT4_P12ihipStream_tbEUlT_E0_NS1_11comp_targetILNS1_3genE8ELNS1_11target_archE1030ELNS1_3gpuE2ELNS1_3repE0EEENS1_30default_config_static_selectorELNS0_4arch9wavefront6targetE0EEEvS14_.num_vgpr, 14
	.set _ZN7rocprim17ROCPRIM_400000_NS6detail17trampoline_kernelINS0_14default_configENS1_22reduce_config_selectorIN6thrust23THRUST_200600_302600_NS5tupleIblNS6_9null_typeES8_S8_S8_S8_S8_S8_S8_EEEEZNS1_11reduce_implILb1ES3_NS6_12zip_iteratorINS7_INS6_11hip_rocprim26transform_input_iterator_tIbNSD_35transform_pair_of_input_iterators_tIbNS6_6detail15normal_iteratorINS6_10device_ptrIKdEEEESL_NS6_8equal_toIdEEEENSG_9not_fun_tINSD_8identityEEEEENSD_19counting_iterator_tIlEES8_S8_S8_S8_S8_S8_S8_S8_EEEEPS9_S9_NSD_9__find_if7functorIS9_EEEE10hipError_tPvRmT1_T2_T3_mT4_P12ihipStream_tbEUlT_E0_NS1_11comp_targetILNS1_3genE8ELNS1_11target_archE1030ELNS1_3gpuE2ELNS1_3repE0EEENS1_30default_config_static_selectorELNS0_4arch9wavefront6targetE0EEEvS14_.num_agpr, 0
	.set _ZN7rocprim17ROCPRIM_400000_NS6detail17trampoline_kernelINS0_14default_configENS1_22reduce_config_selectorIN6thrust23THRUST_200600_302600_NS5tupleIblNS6_9null_typeES8_S8_S8_S8_S8_S8_S8_EEEEZNS1_11reduce_implILb1ES3_NS6_12zip_iteratorINS7_INS6_11hip_rocprim26transform_input_iterator_tIbNSD_35transform_pair_of_input_iterators_tIbNS6_6detail15normal_iteratorINS6_10device_ptrIKdEEEESL_NS6_8equal_toIdEEEENSG_9not_fun_tINSD_8identityEEEEENSD_19counting_iterator_tIlEES8_S8_S8_S8_S8_S8_S8_S8_EEEEPS9_S9_NSD_9__find_if7functorIS9_EEEE10hipError_tPvRmT1_T2_T3_mT4_P12ihipStream_tbEUlT_E0_NS1_11comp_targetILNS1_3genE8ELNS1_11target_archE1030ELNS1_3gpuE2ELNS1_3repE0EEENS1_30default_config_static_selectorELNS0_4arch9wavefront6targetE0EEEvS14_.numbered_sgpr, 28
	.set _ZN7rocprim17ROCPRIM_400000_NS6detail17trampoline_kernelINS0_14default_configENS1_22reduce_config_selectorIN6thrust23THRUST_200600_302600_NS5tupleIblNS6_9null_typeES8_S8_S8_S8_S8_S8_S8_EEEEZNS1_11reduce_implILb1ES3_NS6_12zip_iteratorINS7_INS6_11hip_rocprim26transform_input_iterator_tIbNSD_35transform_pair_of_input_iterators_tIbNS6_6detail15normal_iteratorINS6_10device_ptrIKdEEEESL_NS6_8equal_toIdEEEENSG_9not_fun_tINSD_8identityEEEEENSD_19counting_iterator_tIlEES8_S8_S8_S8_S8_S8_S8_S8_EEEEPS9_S9_NSD_9__find_if7functorIS9_EEEE10hipError_tPvRmT1_T2_T3_mT4_P12ihipStream_tbEUlT_E0_NS1_11comp_targetILNS1_3genE8ELNS1_11target_archE1030ELNS1_3gpuE2ELNS1_3repE0EEENS1_30default_config_static_selectorELNS0_4arch9wavefront6targetE0EEEvS14_.num_named_barrier, 0
	.set _ZN7rocprim17ROCPRIM_400000_NS6detail17trampoline_kernelINS0_14default_configENS1_22reduce_config_selectorIN6thrust23THRUST_200600_302600_NS5tupleIblNS6_9null_typeES8_S8_S8_S8_S8_S8_S8_EEEEZNS1_11reduce_implILb1ES3_NS6_12zip_iteratorINS7_INS6_11hip_rocprim26transform_input_iterator_tIbNSD_35transform_pair_of_input_iterators_tIbNS6_6detail15normal_iteratorINS6_10device_ptrIKdEEEESL_NS6_8equal_toIdEEEENSG_9not_fun_tINSD_8identityEEEEENSD_19counting_iterator_tIlEES8_S8_S8_S8_S8_S8_S8_S8_EEEEPS9_S9_NSD_9__find_if7functorIS9_EEEE10hipError_tPvRmT1_T2_T3_mT4_P12ihipStream_tbEUlT_E0_NS1_11comp_targetILNS1_3genE8ELNS1_11target_archE1030ELNS1_3gpuE2ELNS1_3repE0EEENS1_30default_config_static_selectorELNS0_4arch9wavefront6targetE0EEEvS14_.private_seg_size, 0
	.set _ZN7rocprim17ROCPRIM_400000_NS6detail17trampoline_kernelINS0_14default_configENS1_22reduce_config_selectorIN6thrust23THRUST_200600_302600_NS5tupleIblNS6_9null_typeES8_S8_S8_S8_S8_S8_S8_EEEEZNS1_11reduce_implILb1ES3_NS6_12zip_iteratorINS7_INS6_11hip_rocprim26transform_input_iterator_tIbNSD_35transform_pair_of_input_iterators_tIbNS6_6detail15normal_iteratorINS6_10device_ptrIKdEEEESL_NS6_8equal_toIdEEEENSG_9not_fun_tINSD_8identityEEEEENSD_19counting_iterator_tIlEES8_S8_S8_S8_S8_S8_S8_S8_EEEEPS9_S9_NSD_9__find_if7functorIS9_EEEE10hipError_tPvRmT1_T2_T3_mT4_P12ihipStream_tbEUlT_E0_NS1_11comp_targetILNS1_3genE8ELNS1_11target_archE1030ELNS1_3gpuE2ELNS1_3repE0EEENS1_30default_config_static_selectorELNS0_4arch9wavefront6targetE0EEEvS14_.uses_vcc, 1
	.set _ZN7rocprim17ROCPRIM_400000_NS6detail17trampoline_kernelINS0_14default_configENS1_22reduce_config_selectorIN6thrust23THRUST_200600_302600_NS5tupleIblNS6_9null_typeES8_S8_S8_S8_S8_S8_S8_EEEEZNS1_11reduce_implILb1ES3_NS6_12zip_iteratorINS7_INS6_11hip_rocprim26transform_input_iterator_tIbNSD_35transform_pair_of_input_iterators_tIbNS6_6detail15normal_iteratorINS6_10device_ptrIKdEEEESL_NS6_8equal_toIdEEEENSG_9not_fun_tINSD_8identityEEEEENSD_19counting_iterator_tIlEES8_S8_S8_S8_S8_S8_S8_S8_EEEEPS9_S9_NSD_9__find_if7functorIS9_EEEE10hipError_tPvRmT1_T2_T3_mT4_P12ihipStream_tbEUlT_E0_NS1_11comp_targetILNS1_3genE8ELNS1_11target_archE1030ELNS1_3gpuE2ELNS1_3repE0EEENS1_30default_config_static_selectorELNS0_4arch9wavefront6targetE0EEEvS14_.uses_flat_scratch, 0
	.set _ZN7rocprim17ROCPRIM_400000_NS6detail17trampoline_kernelINS0_14default_configENS1_22reduce_config_selectorIN6thrust23THRUST_200600_302600_NS5tupleIblNS6_9null_typeES8_S8_S8_S8_S8_S8_S8_EEEEZNS1_11reduce_implILb1ES3_NS6_12zip_iteratorINS7_INS6_11hip_rocprim26transform_input_iterator_tIbNSD_35transform_pair_of_input_iterators_tIbNS6_6detail15normal_iteratorINS6_10device_ptrIKdEEEESL_NS6_8equal_toIdEEEENSG_9not_fun_tINSD_8identityEEEEENSD_19counting_iterator_tIlEES8_S8_S8_S8_S8_S8_S8_S8_EEEEPS9_S9_NSD_9__find_if7functorIS9_EEEE10hipError_tPvRmT1_T2_T3_mT4_P12ihipStream_tbEUlT_E0_NS1_11comp_targetILNS1_3genE8ELNS1_11target_archE1030ELNS1_3gpuE2ELNS1_3repE0EEENS1_30default_config_static_selectorELNS0_4arch9wavefront6targetE0EEEvS14_.has_dyn_sized_stack, 0
	.set _ZN7rocprim17ROCPRIM_400000_NS6detail17trampoline_kernelINS0_14default_configENS1_22reduce_config_selectorIN6thrust23THRUST_200600_302600_NS5tupleIblNS6_9null_typeES8_S8_S8_S8_S8_S8_S8_EEEEZNS1_11reduce_implILb1ES3_NS6_12zip_iteratorINS7_INS6_11hip_rocprim26transform_input_iterator_tIbNSD_35transform_pair_of_input_iterators_tIbNS6_6detail15normal_iteratorINS6_10device_ptrIKdEEEESL_NS6_8equal_toIdEEEENSG_9not_fun_tINSD_8identityEEEEENSD_19counting_iterator_tIlEES8_S8_S8_S8_S8_S8_S8_S8_EEEEPS9_S9_NSD_9__find_if7functorIS9_EEEE10hipError_tPvRmT1_T2_T3_mT4_P12ihipStream_tbEUlT_E0_NS1_11comp_targetILNS1_3genE8ELNS1_11target_archE1030ELNS1_3gpuE2ELNS1_3repE0EEENS1_30default_config_static_selectorELNS0_4arch9wavefront6targetE0EEEvS14_.has_recursion, 0
	.set _ZN7rocprim17ROCPRIM_400000_NS6detail17trampoline_kernelINS0_14default_configENS1_22reduce_config_selectorIN6thrust23THRUST_200600_302600_NS5tupleIblNS6_9null_typeES8_S8_S8_S8_S8_S8_S8_EEEEZNS1_11reduce_implILb1ES3_NS6_12zip_iteratorINS7_INS6_11hip_rocprim26transform_input_iterator_tIbNSD_35transform_pair_of_input_iterators_tIbNS6_6detail15normal_iteratorINS6_10device_ptrIKdEEEESL_NS6_8equal_toIdEEEENSG_9not_fun_tINSD_8identityEEEEENSD_19counting_iterator_tIlEES8_S8_S8_S8_S8_S8_S8_S8_EEEEPS9_S9_NSD_9__find_if7functorIS9_EEEE10hipError_tPvRmT1_T2_T3_mT4_P12ihipStream_tbEUlT_E0_NS1_11comp_targetILNS1_3genE8ELNS1_11target_archE1030ELNS1_3gpuE2ELNS1_3repE0EEENS1_30default_config_static_selectorELNS0_4arch9wavefront6targetE0EEEvS14_.has_indirect_call, 0
	.section	.AMDGPU.csdata,"",@progbits
; Kernel info:
; codeLenInByte = 3248
; TotalNumSgprs: 30
; NumVgprs: 14
; ScratchSize: 0
; MemoryBound: 0
; FloatMode: 240
; IeeeMode: 1
; LDSByteSize: 256 bytes/workgroup (compile time only)
; SGPRBlocks: 0
; VGPRBlocks: 1
; NumSGPRsForWavesPerEU: 30
; NumVGPRsForWavesPerEU: 14
; Occupancy: 16
; WaveLimiterHint : 0
; COMPUTE_PGM_RSRC2:SCRATCH_EN: 0
; COMPUTE_PGM_RSRC2:USER_SGPR: 6
; COMPUTE_PGM_RSRC2:TRAP_HANDLER: 0
; COMPUTE_PGM_RSRC2:TGID_X_EN: 1
; COMPUTE_PGM_RSRC2:TGID_Y_EN: 0
; COMPUTE_PGM_RSRC2:TGID_Z_EN: 0
; COMPUTE_PGM_RSRC2:TIDIG_COMP_CNT: 0
	.section	.text._ZN7rocprim17ROCPRIM_400000_NS6detail17trampoline_kernelINS0_14default_configENS1_22reduce_config_selectorIN6thrust23THRUST_200600_302600_NS5tupleIblNS6_9null_typeES8_S8_S8_S8_S8_S8_S8_EEEEZNS1_11reduce_implILb1ES3_NS6_12zip_iteratorINS7_INS6_11hip_rocprim26transform_input_iterator_tIbNSD_35transform_pair_of_input_iterators_tIbNS6_6detail15normal_iteratorINS6_10device_ptrIKdEEEESL_NS6_8equal_toIdEEEENSG_9not_fun_tINSD_8identityEEEEENSD_19counting_iterator_tIlEES8_S8_S8_S8_S8_S8_S8_S8_EEEEPS9_S9_NSD_9__find_if7functorIS9_EEEE10hipError_tPvRmT1_T2_T3_mT4_P12ihipStream_tbEUlT_E1_NS1_11comp_targetILNS1_3genE0ELNS1_11target_archE4294967295ELNS1_3gpuE0ELNS1_3repE0EEENS1_30default_config_static_selectorELNS0_4arch9wavefront6targetE0EEEvS14_,"axG",@progbits,_ZN7rocprim17ROCPRIM_400000_NS6detail17trampoline_kernelINS0_14default_configENS1_22reduce_config_selectorIN6thrust23THRUST_200600_302600_NS5tupleIblNS6_9null_typeES8_S8_S8_S8_S8_S8_S8_EEEEZNS1_11reduce_implILb1ES3_NS6_12zip_iteratorINS7_INS6_11hip_rocprim26transform_input_iterator_tIbNSD_35transform_pair_of_input_iterators_tIbNS6_6detail15normal_iteratorINS6_10device_ptrIKdEEEESL_NS6_8equal_toIdEEEENSG_9not_fun_tINSD_8identityEEEEENSD_19counting_iterator_tIlEES8_S8_S8_S8_S8_S8_S8_S8_EEEEPS9_S9_NSD_9__find_if7functorIS9_EEEE10hipError_tPvRmT1_T2_T3_mT4_P12ihipStream_tbEUlT_E1_NS1_11comp_targetILNS1_3genE0ELNS1_11target_archE4294967295ELNS1_3gpuE0ELNS1_3repE0EEENS1_30default_config_static_selectorELNS0_4arch9wavefront6targetE0EEEvS14_,comdat
	.protected	_ZN7rocprim17ROCPRIM_400000_NS6detail17trampoline_kernelINS0_14default_configENS1_22reduce_config_selectorIN6thrust23THRUST_200600_302600_NS5tupleIblNS6_9null_typeES8_S8_S8_S8_S8_S8_S8_EEEEZNS1_11reduce_implILb1ES3_NS6_12zip_iteratorINS7_INS6_11hip_rocprim26transform_input_iterator_tIbNSD_35transform_pair_of_input_iterators_tIbNS6_6detail15normal_iteratorINS6_10device_ptrIKdEEEESL_NS6_8equal_toIdEEEENSG_9not_fun_tINSD_8identityEEEEENSD_19counting_iterator_tIlEES8_S8_S8_S8_S8_S8_S8_S8_EEEEPS9_S9_NSD_9__find_if7functorIS9_EEEE10hipError_tPvRmT1_T2_T3_mT4_P12ihipStream_tbEUlT_E1_NS1_11comp_targetILNS1_3genE0ELNS1_11target_archE4294967295ELNS1_3gpuE0ELNS1_3repE0EEENS1_30default_config_static_selectorELNS0_4arch9wavefront6targetE0EEEvS14_ ; -- Begin function _ZN7rocprim17ROCPRIM_400000_NS6detail17trampoline_kernelINS0_14default_configENS1_22reduce_config_selectorIN6thrust23THRUST_200600_302600_NS5tupleIblNS6_9null_typeES8_S8_S8_S8_S8_S8_S8_EEEEZNS1_11reduce_implILb1ES3_NS6_12zip_iteratorINS7_INS6_11hip_rocprim26transform_input_iterator_tIbNSD_35transform_pair_of_input_iterators_tIbNS6_6detail15normal_iteratorINS6_10device_ptrIKdEEEESL_NS6_8equal_toIdEEEENSG_9not_fun_tINSD_8identityEEEEENSD_19counting_iterator_tIlEES8_S8_S8_S8_S8_S8_S8_S8_EEEEPS9_S9_NSD_9__find_if7functorIS9_EEEE10hipError_tPvRmT1_T2_T3_mT4_P12ihipStream_tbEUlT_E1_NS1_11comp_targetILNS1_3genE0ELNS1_11target_archE4294967295ELNS1_3gpuE0ELNS1_3repE0EEENS1_30default_config_static_selectorELNS0_4arch9wavefront6targetE0EEEvS14_
	.globl	_ZN7rocprim17ROCPRIM_400000_NS6detail17trampoline_kernelINS0_14default_configENS1_22reduce_config_selectorIN6thrust23THRUST_200600_302600_NS5tupleIblNS6_9null_typeES8_S8_S8_S8_S8_S8_S8_EEEEZNS1_11reduce_implILb1ES3_NS6_12zip_iteratorINS7_INS6_11hip_rocprim26transform_input_iterator_tIbNSD_35transform_pair_of_input_iterators_tIbNS6_6detail15normal_iteratorINS6_10device_ptrIKdEEEESL_NS6_8equal_toIdEEEENSG_9not_fun_tINSD_8identityEEEEENSD_19counting_iterator_tIlEES8_S8_S8_S8_S8_S8_S8_S8_EEEEPS9_S9_NSD_9__find_if7functorIS9_EEEE10hipError_tPvRmT1_T2_T3_mT4_P12ihipStream_tbEUlT_E1_NS1_11comp_targetILNS1_3genE0ELNS1_11target_archE4294967295ELNS1_3gpuE0ELNS1_3repE0EEENS1_30default_config_static_selectorELNS0_4arch9wavefront6targetE0EEEvS14_
	.p2align	8
	.type	_ZN7rocprim17ROCPRIM_400000_NS6detail17trampoline_kernelINS0_14default_configENS1_22reduce_config_selectorIN6thrust23THRUST_200600_302600_NS5tupleIblNS6_9null_typeES8_S8_S8_S8_S8_S8_S8_EEEEZNS1_11reduce_implILb1ES3_NS6_12zip_iteratorINS7_INS6_11hip_rocprim26transform_input_iterator_tIbNSD_35transform_pair_of_input_iterators_tIbNS6_6detail15normal_iteratorINS6_10device_ptrIKdEEEESL_NS6_8equal_toIdEEEENSG_9not_fun_tINSD_8identityEEEEENSD_19counting_iterator_tIlEES8_S8_S8_S8_S8_S8_S8_S8_EEEEPS9_S9_NSD_9__find_if7functorIS9_EEEE10hipError_tPvRmT1_T2_T3_mT4_P12ihipStream_tbEUlT_E1_NS1_11comp_targetILNS1_3genE0ELNS1_11target_archE4294967295ELNS1_3gpuE0ELNS1_3repE0EEENS1_30default_config_static_selectorELNS0_4arch9wavefront6targetE0EEEvS14_,@function
_ZN7rocprim17ROCPRIM_400000_NS6detail17trampoline_kernelINS0_14default_configENS1_22reduce_config_selectorIN6thrust23THRUST_200600_302600_NS5tupleIblNS6_9null_typeES8_S8_S8_S8_S8_S8_S8_EEEEZNS1_11reduce_implILb1ES3_NS6_12zip_iteratorINS7_INS6_11hip_rocprim26transform_input_iterator_tIbNSD_35transform_pair_of_input_iterators_tIbNS6_6detail15normal_iteratorINS6_10device_ptrIKdEEEESL_NS6_8equal_toIdEEEENSG_9not_fun_tINSD_8identityEEEEENSD_19counting_iterator_tIlEES8_S8_S8_S8_S8_S8_S8_S8_EEEEPS9_S9_NSD_9__find_if7functorIS9_EEEE10hipError_tPvRmT1_T2_T3_mT4_P12ihipStream_tbEUlT_E1_NS1_11comp_targetILNS1_3genE0ELNS1_11target_archE4294967295ELNS1_3gpuE0ELNS1_3repE0EEENS1_30default_config_static_selectorELNS0_4arch9wavefront6targetE0EEEvS14_: ; @_ZN7rocprim17ROCPRIM_400000_NS6detail17trampoline_kernelINS0_14default_configENS1_22reduce_config_selectorIN6thrust23THRUST_200600_302600_NS5tupleIblNS6_9null_typeES8_S8_S8_S8_S8_S8_S8_EEEEZNS1_11reduce_implILb1ES3_NS6_12zip_iteratorINS7_INS6_11hip_rocprim26transform_input_iterator_tIbNSD_35transform_pair_of_input_iterators_tIbNS6_6detail15normal_iteratorINS6_10device_ptrIKdEEEESL_NS6_8equal_toIdEEEENSG_9not_fun_tINSD_8identityEEEEENSD_19counting_iterator_tIlEES8_S8_S8_S8_S8_S8_S8_S8_EEEEPS9_S9_NSD_9__find_if7functorIS9_EEEE10hipError_tPvRmT1_T2_T3_mT4_P12ihipStream_tbEUlT_E1_NS1_11comp_targetILNS1_3genE0ELNS1_11target_archE4294967295ELNS1_3gpuE0ELNS1_3repE0EEENS1_30default_config_static_selectorELNS0_4arch9wavefront6targetE0EEEvS14_
; %bb.0:
	.section	.rodata,"a",@progbits
	.p2align	6, 0x0
	.amdhsa_kernel _ZN7rocprim17ROCPRIM_400000_NS6detail17trampoline_kernelINS0_14default_configENS1_22reduce_config_selectorIN6thrust23THRUST_200600_302600_NS5tupleIblNS6_9null_typeES8_S8_S8_S8_S8_S8_S8_EEEEZNS1_11reduce_implILb1ES3_NS6_12zip_iteratorINS7_INS6_11hip_rocprim26transform_input_iterator_tIbNSD_35transform_pair_of_input_iterators_tIbNS6_6detail15normal_iteratorINS6_10device_ptrIKdEEEESL_NS6_8equal_toIdEEEENSG_9not_fun_tINSD_8identityEEEEENSD_19counting_iterator_tIlEES8_S8_S8_S8_S8_S8_S8_S8_EEEEPS9_S9_NSD_9__find_if7functorIS9_EEEE10hipError_tPvRmT1_T2_T3_mT4_P12ihipStream_tbEUlT_E1_NS1_11comp_targetILNS1_3genE0ELNS1_11target_archE4294967295ELNS1_3gpuE0ELNS1_3repE0EEENS1_30default_config_static_selectorELNS0_4arch9wavefront6targetE0EEEvS14_
		.amdhsa_group_segment_fixed_size 0
		.amdhsa_private_segment_fixed_size 0
		.amdhsa_kernarg_size 88
		.amdhsa_user_sgpr_count 6
		.amdhsa_user_sgpr_private_segment_buffer 1
		.amdhsa_user_sgpr_dispatch_ptr 0
		.amdhsa_user_sgpr_queue_ptr 0
		.amdhsa_user_sgpr_kernarg_segment_ptr 1
		.amdhsa_user_sgpr_dispatch_id 0
		.amdhsa_user_sgpr_flat_scratch_init 0
		.amdhsa_user_sgpr_private_segment_size 0
		.amdhsa_wavefront_size32 1
		.amdhsa_uses_dynamic_stack 0
		.amdhsa_system_sgpr_private_segment_wavefront_offset 0
		.amdhsa_system_sgpr_workgroup_id_x 1
		.amdhsa_system_sgpr_workgroup_id_y 0
		.amdhsa_system_sgpr_workgroup_id_z 0
		.amdhsa_system_sgpr_workgroup_info 0
		.amdhsa_system_vgpr_workitem_id 0
		.amdhsa_next_free_vgpr 1
		.amdhsa_next_free_sgpr 1
		.amdhsa_reserve_vcc 0
		.amdhsa_reserve_flat_scratch 0
		.amdhsa_float_round_mode_32 0
		.amdhsa_float_round_mode_16_64 0
		.amdhsa_float_denorm_mode_32 3
		.amdhsa_float_denorm_mode_16_64 3
		.amdhsa_dx10_clamp 1
		.amdhsa_ieee_mode 1
		.amdhsa_fp16_overflow 0
		.amdhsa_workgroup_processor_mode 1
		.amdhsa_memory_ordered 1
		.amdhsa_forward_progress 1
		.amdhsa_shared_vgpr_count 0
		.amdhsa_exception_fp_ieee_invalid_op 0
		.amdhsa_exception_fp_denorm_src 0
		.amdhsa_exception_fp_ieee_div_zero 0
		.amdhsa_exception_fp_ieee_overflow 0
		.amdhsa_exception_fp_ieee_underflow 0
		.amdhsa_exception_fp_ieee_inexact 0
		.amdhsa_exception_int_div_zero 0
	.end_amdhsa_kernel
	.section	.text._ZN7rocprim17ROCPRIM_400000_NS6detail17trampoline_kernelINS0_14default_configENS1_22reduce_config_selectorIN6thrust23THRUST_200600_302600_NS5tupleIblNS6_9null_typeES8_S8_S8_S8_S8_S8_S8_EEEEZNS1_11reduce_implILb1ES3_NS6_12zip_iteratorINS7_INS6_11hip_rocprim26transform_input_iterator_tIbNSD_35transform_pair_of_input_iterators_tIbNS6_6detail15normal_iteratorINS6_10device_ptrIKdEEEESL_NS6_8equal_toIdEEEENSG_9not_fun_tINSD_8identityEEEEENSD_19counting_iterator_tIlEES8_S8_S8_S8_S8_S8_S8_S8_EEEEPS9_S9_NSD_9__find_if7functorIS9_EEEE10hipError_tPvRmT1_T2_T3_mT4_P12ihipStream_tbEUlT_E1_NS1_11comp_targetILNS1_3genE0ELNS1_11target_archE4294967295ELNS1_3gpuE0ELNS1_3repE0EEENS1_30default_config_static_selectorELNS0_4arch9wavefront6targetE0EEEvS14_,"axG",@progbits,_ZN7rocprim17ROCPRIM_400000_NS6detail17trampoline_kernelINS0_14default_configENS1_22reduce_config_selectorIN6thrust23THRUST_200600_302600_NS5tupleIblNS6_9null_typeES8_S8_S8_S8_S8_S8_S8_EEEEZNS1_11reduce_implILb1ES3_NS6_12zip_iteratorINS7_INS6_11hip_rocprim26transform_input_iterator_tIbNSD_35transform_pair_of_input_iterators_tIbNS6_6detail15normal_iteratorINS6_10device_ptrIKdEEEESL_NS6_8equal_toIdEEEENSG_9not_fun_tINSD_8identityEEEEENSD_19counting_iterator_tIlEES8_S8_S8_S8_S8_S8_S8_S8_EEEEPS9_S9_NSD_9__find_if7functorIS9_EEEE10hipError_tPvRmT1_T2_T3_mT4_P12ihipStream_tbEUlT_E1_NS1_11comp_targetILNS1_3genE0ELNS1_11target_archE4294967295ELNS1_3gpuE0ELNS1_3repE0EEENS1_30default_config_static_selectorELNS0_4arch9wavefront6targetE0EEEvS14_,comdat
.Lfunc_end46:
	.size	_ZN7rocprim17ROCPRIM_400000_NS6detail17trampoline_kernelINS0_14default_configENS1_22reduce_config_selectorIN6thrust23THRUST_200600_302600_NS5tupleIblNS6_9null_typeES8_S8_S8_S8_S8_S8_S8_EEEEZNS1_11reduce_implILb1ES3_NS6_12zip_iteratorINS7_INS6_11hip_rocprim26transform_input_iterator_tIbNSD_35transform_pair_of_input_iterators_tIbNS6_6detail15normal_iteratorINS6_10device_ptrIKdEEEESL_NS6_8equal_toIdEEEENSG_9not_fun_tINSD_8identityEEEEENSD_19counting_iterator_tIlEES8_S8_S8_S8_S8_S8_S8_S8_EEEEPS9_S9_NSD_9__find_if7functorIS9_EEEE10hipError_tPvRmT1_T2_T3_mT4_P12ihipStream_tbEUlT_E1_NS1_11comp_targetILNS1_3genE0ELNS1_11target_archE4294967295ELNS1_3gpuE0ELNS1_3repE0EEENS1_30default_config_static_selectorELNS0_4arch9wavefront6targetE0EEEvS14_, .Lfunc_end46-_ZN7rocprim17ROCPRIM_400000_NS6detail17trampoline_kernelINS0_14default_configENS1_22reduce_config_selectorIN6thrust23THRUST_200600_302600_NS5tupleIblNS6_9null_typeES8_S8_S8_S8_S8_S8_S8_EEEEZNS1_11reduce_implILb1ES3_NS6_12zip_iteratorINS7_INS6_11hip_rocprim26transform_input_iterator_tIbNSD_35transform_pair_of_input_iterators_tIbNS6_6detail15normal_iteratorINS6_10device_ptrIKdEEEESL_NS6_8equal_toIdEEEENSG_9not_fun_tINSD_8identityEEEEENSD_19counting_iterator_tIlEES8_S8_S8_S8_S8_S8_S8_S8_EEEEPS9_S9_NSD_9__find_if7functorIS9_EEEE10hipError_tPvRmT1_T2_T3_mT4_P12ihipStream_tbEUlT_E1_NS1_11comp_targetILNS1_3genE0ELNS1_11target_archE4294967295ELNS1_3gpuE0ELNS1_3repE0EEENS1_30default_config_static_selectorELNS0_4arch9wavefront6targetE0EEEvS14_
                                        ; -- End function
	.set _ZN7rocprim17ROCPRIM_400000_NS6detail17trampoline_kernelINS0_14default_configENS1_22reduce_config_selectorIN6thrust23THRUST_200600_302600_NS5tupleIblNS6_9null_typeES8_S8_S8_S8_S8_S8_S8_EEEEZNS1_11reduce_implILb1ES3_NS6_12zip_iteratorINS7_INS6_11hip_rocprim26transform_input_iterator_tIbNSD_35transform_pair_of_input_iterators_tIbNS6_6detail15normal_iteratorINS6_10device_ptrIKdEEEESL_NS6_8equal_toIdEEEENSG_9not_fun_tINSD_8identityEEEEENSD_19counting_iterator_tIlEES8_S8_S8_S8_S8_S8_S8_S8_EEEEPS9_S9_NSD_9__find_if7functorIS9_EEEE10hipError_tPvRmT1_T2_T3_mT4_P12ihipStream_tbEUlT_E1_NS1_11comp_targetILNS1_3genE0ELNS1_11target_archE4294967295ELNS1_3gpuE0ELNS1_3repE0EEENS1_30default_config_static_selectorELNS0_4arch9wavefront6targetE0EEEvS14_.num_vgpr, 0
	.set _ZN7rocprim17ROCPRIM_400000_NS6detail17trampoline_kernelINS0_14default_configENS1_22reduce_config_selectorIN6thrust23THRUST_200600_302600_NS5tupleIblNS6_9null_typeES8_S8_S8_S8_S8_S8_S8_EEEEZNS1_11reduce_implILb1ES3_NS6_12zip_iteratorINS7_INS6_11hip_rocprim26transform_input_iterator_tIbNSD_35transform_pair_of_input_iterators_tIbNS6_6detail15normal_iteratorINS6_10device_ptrIKdEEEESL_NS6_8equal_toIdEEEENSG_9not_fun_tINSD_8identityEEEEENSD_19counting_iterator_tIlEES8_S8_S8_S8_S8_S8_S8_S8_EEEEPS9_S9_NSD_9__find_if7functorIS9_EEEE10hipError_tPvRmT1_T2_T3_mT4_P12ihipStream_tbEUlT_E1_NS1_11comp_targetILNS1_3genE0ELNS1_11target_archE4294967295ELNS1_3gpuE0ELNS1_3repE0EEENS1_30default_config_static_selectorELNS0_4arch9wavefront6targetE0EEEvS14_.num_agpr, 0
	.set _ZN7rocprim17ROCPRIM_400000_NS6detail17trampoline_kernelINS0_14default_configENS1_22reduce_config_selectorIN6thrust23THRUST_200600_302600_NS5tupleIblNS6_9null_typeES8_S8_S8_S8_S8_S8_S8_EEEEZNS1_11reduce_implILb1ES3_NS6_12zip_iteratorINS7_INS6_11hip_rocprim26transform_input_iterator_tIbNSD_35transform_pair_of_input_iterators_tIbNS6_6detail15normal_iteratorINS6_10device_ptrIKdEEEESL_NS6_8equal_toIdEEEENSG_9not_fun_tINSD_8identityEEEEENSD_19counting_iterator_tIlEES8_S8_S8_S8_S8_S8_S8_S8_EEEEPS9_S9_NSD_9__find_if7functorIS9_EEEE10hipError_tPvRmT1_T2_T3_mT4_P12ihipStream_tbEUlT_E1_NS1_11comp_targetILNS1_3genE0ELNS1_11target_archE4294967295ELNS1_3gpuE0ELNS1_3repE0EEENS1_30default_config_static_selectorELNS0_4arch9wavefront6targetE0EEEvS14_.numbered_sgpr, 0
	.set _ZN7rocprim17ROCPRIM_400000_NS6detail17trampoline_kernelINS0_14default_configENS1_22reduce_config_selectorIN6thrust23THRUST_200600_302600_NS5tupleIblNS6_9null_typeES8_S8_S8_S8_S8_S8_S8_EEEEZNS1_11reduce_implILb1ES3_NS6_12zip_iteratorINS7_INS6_11hip_rocprim26transform_input_iterator_tIbNSD_35transform_pair_of_input_iterators_tIbNS6_6detail15normal_iteratorINS6_10device_ptrIKdEEEESL_NS6_8equal_toIdEEEENSG_9not_fun_tINSD_8identityEEEEENSD_19counting_iterator_tIlEES8_S8_S8_S8_S8_S8_S8_S8_EEEEPS9_S9_NSD_9__find_if7functorIS9_EEEE10hipError_tPvRmT1_T2_T3_mT4_P12ihipStream_tbEUlT_E1_NS1_11comp_targetILNS1_3genE0ELNS1_11target_archE4294967295ELNS1_3gpuE0ELNS1_3repE0EEENS1_30default_config_static_selectorELNS0_4arch9wavefront6targetE0EEEvS14_.num_named_barrier, 0
	.set _ZN7rocprim17ROCPRIM_400000_NS6detail17trampoline_kernelINS0_14default_configENS1_22reduce_config_selectorIN6thrust23THRUST_200600_302600_NS5tupleIblNS6_9null_typeES8_S8_S8_S8_S8_S8_S8_EEEEZNS1_11reduce_implILb1ES3_NS6_12zip_iteratorINS7_INS6_11hip_rocprim26transform_input_iterator_tIbNSD_35transform_pair_of_input_iterators_tIbNS6_6detail15normal_iteratorINS6_10device_ptrIKdEEEESL_NS6_8equal_toIdEEEENSG_9not_fun_tINSD_8identityEEEEENSD_19counting_iterator_tIlEES8_S8_S8_S8_S8_S8_S8_S8_EEEEPS9_S9_NSD_9__find_if7functorIS9_EEEE10hipError_tPvRmT1_T2_T3_mT4_P12ihipStream_tbEUlT_E1_NS1_11comp_targetILNS1_3genE0ELNS1_11target_archE4294967295ELNS1_3gpuE0ELNS1_3repE0EEENS1_30default_config_static_selectorELNS0_4arch9wavefront6targetE0EEEvS14_.private_seg_size, 0
	.set _ZN7rocprim17ROCPRIM_400000_NS6detail17trampoline_kernelINS0_14default_configENS1_22reduce_config_selectorIN6thrust23THRUST_200600_302600_NS5tupleIblNS6_9null_typeES8_S8_S8_S8_S8_S8_S8_EEEEZNS1_11reduce_implILb1ES3_NS6_12zip_iteratorINS7_INS6_11hip_rocprim26transform_input_iterator_tIbNSD_35transform_pair_of_input_iterators_tIbNS6_6detail15normal_iteratorINS6_10device_ptrIKdEEEESL_NS6_8equal_toIdEEEENSG_9not_fun_tINSD_8identityEEEEENSD_19counting_iterator_tIlEES8_S8_S8_S8_S8_S8_S8_S8_EEEEPS9_S9_NSD_9__find_if7functorIS9_EEEE10hipError_tPvRmT1_T2_T3_mT4_P12ihipStream_tbEUlT_E1_NS1_11comp_targetILNS1_3genE0ELNS1_11target_archE4294967295ELNS1_3gpuE0ELNS1_3repE0EEENS1_30default_config_static_selectorELNS0_4arch9wavefront6targetE0EEEvS14_.uses_vcc, 0
	.set _ZN7rocprim17ROCPRIM_400000_NS6detail17trampoline_kernelINS0_14default_configENS1_22reduce_config_selectorIN6thrust23THRUST_200600_302600_NS5tupleIblNS6_9null_typeES8_S8_S8_S8_S8_S8_S8_EEEEZNS1_11reduce_implILb1ES3_NS6_12zip_iteratorINS7_INS6_11hip_rocprim26transform_input_iterator_tIbNSD_35transform_pair_of_input_iterators_tIbNS6_6detail15normal_iteratorINS6_10device_ptrIKdEEEESL_NS6_8equal_toIdEEEENSG_9not_fun_tINSD_8identityEEEEENSD_19counting_iterator_tIlEES8_S8_S8_S8_S8_S8_S8_S8_EEEEPS9_S9_NSD_9__find_if7functorIS9_EEEE10hipError_tPvRmT1_T2_T3_mT4_P12ihipStream_tbEUlT_E1_NS1_11comp_targetILNS1_3genE0ELNS1_11target_archE4294967295ELNS1_3gpuE0ELNS1_3repE0EEENS1_30default_config_static_selectorELNS0_4arch9wavefront6targetE0EEEvS14_.uses_flat_scratch, 0
	.set _ZN7rocprim17ROCPRIM_400000_NS6detail17trampoline_kernelINS0_14default_configENS1_22reduce_config_selectorIN6thrust23THRUST_200600_302600_NS5tupleIblNS6_9null_typeES8_S8_S8_S8_S8_S8_S8_EEEEZNS1_11reduce_implILb1ES3_NS6_12zip_iteratorINS7_INS6_11hip_rocprim26transform_input_iterator_tIbNSD_35transform_pair_of_input_iterators_tIbNS6_6detail15normal_iteratorINS6_10device_ptrIKdEEEESL_NS6_8equal_toIdEEEENSG_9not_fun_tINSD_8identityEEEEENSD_19counting_iterator_tIlEES8_S8_S8_S8_S8_S8_S8_S8_EEEEPS9_S9_NSD_9__find_if7functorIS9_EEEE10hipError_tPvRmT1_T2_T3_mT4_P12ihipStream_tbEUlT_E1_NS1_11comp_targetILNS1_3genE0ELNS1_11target_archE4294967295ELNS1_3gpuE0ELNS1_3repE0EEENS1_30default_config_static_selectorELNS0_4arch9wavefront6targetE0EEEvS14_.has_dyn_sized_stack, 0
	.set _ZN7rocprim17ROCPRIM_400000_NS6detail17trampoline_kernelINS0_14default_configENS1_22reduce_config_selectorIN6thrust23THRUST_200600_302600_NS5tupleIblNS6_9null_typeES8_S8_S8_S8_S8_S8_S8_EEEEZNS1_11reduce_implILb1ES3_NS6_12zip_iteratorINS7_INS6_11hip_rocprim26transform_input_iterator_tIbNSD_35transform_pair_of_input_iterators_tIbNS6_6detail15normal_iteratorINS6_10device_ptrIKdEEEESL_NS6_8equal_toIdEEEENSG_9not_fun_tINSD_8identityEEEEENSD_19counting_iterator_tIlEES8_S8_S8_S8_S8_S8_S8_S8_EEEEPS9_S9_NSD_9__find_if7functorIS9_EEEE10hipError_tPvRmT1_T2_T3_mT4_P12ihipStream_tbEUlT_E1_NS1_11comp_targetILNS1_3genE0ELNS1_11target_archE4294967295ELNS1_3gpuE0ELNS1_3repE0EEENS1_30default_config_static_selectorELNS0_4arch9wavefront6targetE0EEEvS14_.has_recursion, 0
	.set _ZN7rocprim17ROCPRIM_400000_NS6detail17trampoline_kernelINS0_14default_configENS1_22reduce_config_selectorIN6thrust23THRUST_200600_302600_NS5tupleIblNS6_9null_typeES8_S8_S8_S8_S8_S8_S8_EEEEZNS1_11reduce_implILb1ES3_NS6_12zip_iteratorINS7_INS6_11hip_rocprim26transform_input_iterator_tIbNSD_35transform_pair_of_input_iterators_tIbNS6_6detail15normal_iteratorINS6_10device_ptrIKdEEEESL_NS6_8equal_toIdEEEENSG_9not_fun_tINSD_8identityEEEEENSD_19counting_iterator_tIlEES8_S8_S8_S8_S8_S8_S8_S8_EEEEPS9_S9_NSD_9__find_if7functorIS9_EEEE10hipError_tPvRmT1_T2_T3_mT4_P12ihipStream_tbEUlT_E1_NS1_11comp_targetILNS1_3genE0ELNS1_11target_archE4294967295ELNS1_3gpuE0ELNS1_3repE0EEENS1_30default_config_static_selectorELNS0_4arch9wavefront6targetE0EEEvS14_.has_indirect_call, 0
	.section	.AMDGPU.csdata,"",@progbits
; Kernel info:
; codeLenInByte = 0
; TotalNumSgprs: 0
; NumVgprs: 0
; ScratchSize: 0
; MemoryBound: 0
; FloatMode: 240
; IeeeMode: 1
; LDSByteSize: 0 bytes/workgroup (compile time only)
; SGPRBlocks: 0
; VGPRBlocks: 0
; NumSGPRsForWavesPerEU: 1
; NumVGPRsForWavesPerEU: 1
; Occupancy: 16
; WaveLimiterHint : 0
; COMPUTE_PGM_RSRC2:SCRATCH_EN: 0
; COMPUTE_PGM_RSRC2:USER_SGPR: 6
; COMPUTE_PGM_RSRC2:TRAP_HANDLER: 0
; COMPUTE_PGM_RSRC2:TGID_X_EN: 1
; COMPUTE_PGM_RSRC2:TGID_Y_EN: 0
; COMPUTE_PGM_RSRC2:TGID_Z_EN: 0
; COMPUTE_PGM_RSRC2:TIDIG_COMP_CNT: 0
	.section	.text._ZN7rocprim17ROCPRIM_400000_NS6detail17trampoline_kernelINS0_14default_configENS1_22reduce_config_selectorIN6thrust23THRUST_200600_302600_NS5tupleIblNS6_9null_typeES8_S8_S8_S8_S8_S8_S8_EEEEZNS1_11reduce_implILb1ES3_NS6_12zip_iteratorINS7_INS6_11hip_rocprim26transform_input_iterator_tIbNSD_35transform_pair_of_input_iterators_tIbNS6_6detail15normal_iteratorINS6_10device_ptrIKdEEEESL_NS6_8equal_toIdEEEENSG_9not_fun_tINSD_8identityEEEEENSD_19counting_iterator_tIlEES8_S8_S8_S8_S8_S8_S8_S8_EEEEPS9_S9_NSD_9__find_if7functorIS9_EEEE10hipError_tPvRmT1_T2_T3_mT4_P12ihipStream_tbEUlT_E1_NS1_11comp_targetILNS1_3genE5ELNS1_11target_archE942ELNS1_3gpuE9ELNS1_3repE0EEENS1_30default_config_static_selectorELNS0_4arch9wavefront6targetE0EEEvS14_,"axG",@progbits,_ZN7rocprim17ROCPRIM_400000_NS6detail17trampoline_kernelINS0_14default_configENS1_22reduce_config_selectorIN6thrust23THRUST_200600_302600_NS5tupleIblNS6_9null_typeES8_S8_S8_S8_S8_S8_S8_EEEEZNS1_11reduce_implILb1ES3_NS6_12zip_iteratorINS7_INS6_11hip_rocprim26transform_input_iterator_tIbNSD_35transform_pair_of_input_iterators_tIbNS6_6detail15normal_iteratorINS6_10device_ptrIKdEEEESL_NS6_8equal_toIdEEEENSG_9not_fun_tINSD_8identityEEEEENSD_19counting_iterator_tIlEES8_S8_S8_S8_S8_S8_S8_S8_EEEEPS9_S9_NSD_9__find_if7functorIS9_EEEE10hipError_tPvRmT1_T2_T3_mT4_P12ihipStream_tbEUlT_E1_NS1_11comp_targetILNS1_3genE5ELNS1_11target_archE942ELNS1_3gpuE9ELNS1_3repE0EEENS1_30default_config_static_selectorELNS0_4arch9wavefront6targetE0EEEvS14_,comdat
	.protected	_ZN7rocprim17ROCPRIM_400000_NS6detail17trampoline_kernelINS0_14default_configENS1_22reduce_config_selectorIN6thrust23THRUST_200600_302600_NS5tupleIblNS6_9null_typeES8_S8_S8_S8_S8_S8_S8_EEEEZNS1_11reduce_implILb1ES3_NS6_12zip_iteratorINS7_INS6_11hip_rocprim26transform_input_iterator_tIbNSD_35transform_pair_of_input_iterators_tIbNS6_6detail15normal_iteratorINS6_10device_ptrIKdEEEESL_NS6_8equal_toIdEEEENSG_9not_fun_tINSD_8identityEEEEENSD_19counting_iterator_tIlEES8_S8_S8_S8_S8_S8_S8_S8_EEEEPS9_S9_NSD_9__find_if7functorIS9_EEEE10hipError_tPvRmT1_T2_T3_mT4_P12ihipStream_tbEUlT_E1_NS1_11comp_targetILNS1_3genE5ELNS1_11target_archE942ELNS1_3gpuE9ELNS1_3repE0EEENS1_30default_config_static_selectorELNS0_4arch9wavefront6targetE0EEEvS14_ ; -- Begin function _ZN7rocprim17ROCPRIM_400000_NS6detail17trampoline_kernelINS0_14default_configENS1_22reduce_config_selectorIN6thrust23THRUST_200600_302600_NS5tupleIblNS6_9null_typeES8_S8_S8_S8_S8_S8_S8_EEEEZNS1_11reduce_implILb1ES3_NS6_12zip_iteratorINS7_INS6_11hip_rocprim26transform_input_iterator_tIbNSD_35transform_pair_of_input_iterators_tIbNS6_6detail15normal_iteratorINS6_10device_ptrIKdEEEESL_NS6_8equal_toIdEEEENSG_9not_fun_tINSD_8identityEEEEENSD_19counting_iterator_tIlEES8_S8_S8_S8_S8_S8_S8_S8_EEEEPS9_S9_NSD_9__find_if7functorIS9_EEEE10hipError_tPvRmT1_T2_T3_mT4_P12ihipStream_tbEUlT_E1_NS1_11comp_targetILNS1_3genE5ELNS1_11target_archE942ELNS1_3gpuE9ELNS1_3repE0EEENS1_30default_config_static_selectorELNS0_4arch9wavefront6targetE0EEEvS14_
	.globl	_ZN7rocprim17ROCPRIM_400000_NS6detail17trampoline_kernelINS0_14default_configENS1_22reduce_config_selectorIN6thrust23THRUST_200600_302600_NS5tupleIblNS6_9null_typeES8_S8_S8_S8_S8_S8_S8_EEEEZNS1_11reduce_implILb1ES3_NS6_12zip_iteratorINS7_INS6_11hip_rocprim26transform_input_iterator_tIbNSD_35transform_pair_of_input_iterators_tIbNS6_6detail15normal_iteratorINS6_10device_ptrIKdEEEESL_NS6_8equal_toIdEEEENSG_9not_fun_tINSD_8identityEEEEENSD_19counting_iterator_tIlEES8_S8_S8_S8_S8_S8_S8_S8_EEEEPS9_S9_NSD_9__find_if7functorIS9_EEEE10hipError_tPvRmT1_T2_T3_mT4_P12ihipStream_tbEUlT_E1_NS1_11comp_targetILNS1_3genE5ELNS1_11target_archE942ELNS1_3gpuE9ELNS1_3repE0EEENS1_30default_config_static_selectorELNS0_4arch9wavefront6targetE0EEEvS14_
	.p2align	8
	.type	_ZN7rocprim17ROCPRIM_400000_NS6detail17trampoline_kernelINS0_14default_configENS1_22reduce_config_selectorIN6thrust23THRUST_200600_302600_NS5tupleIblNS6_9null_typeES8_S8_S8_S8_S8_S8_S8_EEEEZNS1_11reduce_implILb1ES3_NS6_12zip_iteratorINS7_INS6_11hip_rocprim26transform_input_iterator_tIbNSD_35transform_pair_of_input_iterators_tIbNS6_6detail15normal_iteratorINS6_10device_ptrIKdEEEESL_NS6_8equal_toIdEEEENSG_9not_fun_tINSD_8identityEEEEENSD_19counting_iterator_tIlEES8_S8_S8_S8_S8_S8_S8_S8_EEEEPS9_S9_NSD_9__find_if7functorIS9_EEEE10hipError_tPvRmT1_T2_T3_mT4_P12ihipStream_tbEUlT_E1_NS1_11comp_targetILNS1_3genE5ELNS1_11target_archE942ELNS1_3gpuE9ELNS1_3repE0EEENS1_30default_config_static_selectorELNS0_4arch9wavefront6targetE0EEEvS14_,@function
_ZN7rocprim17ROCPRIM_400000_NS6detail17trampoline_kernelINS0_14default_configENS1_22reduce_config_selectorIN6thrust23THRUST_200600_302600_NS5tupleIblNS6_9null_typeES8_S8_S8_S8_S8_S8_S8_EEEEZNS1_11reduce_implILb1ES3_NS6_12zip_iteratorINS7_INS6_11hip_rocprim26transform_input_iterator_tIbNSD_35transform_pair_of_input_iterators_tIbNS6_6detail15normal_iteratorINS6_10device_ptrIKdEEEESL_NS6_8equal_toIdEEEENSG_9not_fun_tINSD_8identityEEEEENSD_19counting_iterator_tIlEES8_S8_S8_S8_S8_S8_S8_S8_EEEEPS9_S9_NSD_9__find_if7functorIS9_EEEE10hipError_tPvRmT1_T2_T3_mT4_P12ihipStream_tbEUlT_E1_NS1_11comp_targetILNS1_3genE5ELNS1_11target_archE942ELNS1_3gpuE9ELNS1_3repE0EEENS1_30default_config_static_selectorELNS0_4arch9wavefront6targetE0EEEvS14_: ; @_ZN7rocprim17ROCPRIM_400000_NS6detail17trampoline_kernelINS0_14default_configENS1_22reduce_config_selectorIN6thrust23THRUST_200600_302600_NS5tupleIblNS6_9null_typeES8_S8_S8_S8_S8_S8_S8_EEEEZNS1_11reduce_implILb1ES3_NS6_12zip_iteratorINS7_INS6_11hip_rocprim26transform_input_iterator_tIbNSD_35transform_pair_of_input_iterators_tIbNS6_6detail15normal_iteratorINS6_10device_ptrIKdEEEESL_NS6_8equal_toIdEEEENSG_9not_fun_tINSD_8identityEEEEENSD_19counting_iterator_tIlEES8_S8_S8_S8_S8_S8_S8_S8_EEEEPS9_S9_NSD_9__find_if7functorIS9_EEEE10hipError_tPvRmT1_T2_T3_mT4_P12ihipStream_tbEUlT_E1_NS1_11comp_targetILNS1_3genE5ELNS1_11target_archE942ELNS1_3gpuE9ELNS1_3repE0EEENS1_30default_config_static_selectorELNS0_4arch9wavefront6targetE0EEEvS14_
; %bb.0:
	.section	.rodata,"a",@progbits
	.p2align	6, 0x0
	.amdhsa_kernel _ZN7rocprim17ROCPRIM_400000_NS6detail17trampoline_kernelINS0_14default_configENS1_22reduce_config_selectorIN6thrust23THRUST_200600_302600_NS5tupleIblNS6_9null_typeES8_S8_S8_S8_S8_S8_S8_EEEEZNS1_11reduce_implILb1ES3_NS6_12zip_iteratorINS7_INS6_11hip_rocprim26transform_input_iterator_tIbNSD_35transform_pair_of_input_iterators_tIbNS6_6detail15normal_iteratorINS6_10device_ptrIKdEEEESL_NS6_8equal_toIdEEEENSG_9not_fun_tINSD_8identityEEEEENSD_19counting_iterator_tIlEES8_S8_S8_S8_S8_S8_S8_S8_EEEEPS9_S9_NSD_9__find_if7functorIS9_EEEE10hipError_tPvRmT1_T2_T3_mT4_P12ihipStream_tbEUlT_E1_NS1_11comp_targetILNS1_3genE5ELNS1_11target_archE942ELNS1_3gpuE9ELNS1_3repE0EEENS1_30default_config_static_selectorELNS0_4arch9wavefront6targetE0EEEvS14_
		.amdhsa_group_segment_fixed_size 0
		.amdhsa_private_segment_fixed_size 0
		.amdhsa_kernarg_size 88
		.amdhsa_user_sgpr_count 6
		.amdhsa_user_sgpr_private_segment_buffer 1
		.amdhsa_user_sgpr_dispatch_ptr 0
		.amdhsa_user_sgpr_queue_ptr 0
		.amdhsa_user_sgpr_kernarg_segment_ptr 1
		.amdhsa_user_sgpr_dispatch_id 0
		.amdhsa_user_sgpr_flat_scratch_init 0
		.amdhsa_user_sgpr_private_segment_size 0
		.amdhsa_wavefront_size32 1
		.amdhsa_uses_dynamic_stack 0
		.amdhsa_system_sgpr_private_segment_wavefront_offset 0
		.amdhsa_system_sgpr_workgroup_id_x 1
		.amdhsa_system_sgpr_workgroup_id_y 0
		.amdhsa_system_sgpr_workgroup_id_z 0
		.amdhsa_system_sgpr_workgroup_info 0
		.amdhsa_system_vgpr_workitem_id 0
		.amdhsa_next_free_vgpr 1
		.amdhsa_next_free_sgpr 1
		.amdhsa_reserve_vcc 0
		.amdhsa_reserve_flat_scratch 0
		.amdhsa_float_round_mode_32 0
		.amdhsa_float_round_mode_16_64 0
		.amdhsa_float_denorm_mode_32 3
		.amdhsa_float_denorm_mode_16_64 3
		.amdhsa_dx10_clamp 1
		.amdhsa_ieee_mode 1
		.amdhsa_fp16_overflow 0
		.amdhsa_workgroup_processor_mode 1
		.amdhsa_memory_ordered 1
		.amdhsa_forward_progress 1
		.amdhsa_shared_vgpr_count 0
		.amdhsa_exception_fp_ieee_invalid_op 0
		.amdhsa_exception_fp_denorm_src 0
		.amdhsa_exception_fp_ieee_div_zero 0
		.amdhsa_exception_fp_ieee_overflow 0
		.amdhsa_exception_fp_ieee_underflow 0
		.amdhsa_exception_fp_ieee_inexact 0
		.amdhsa_exception_int_div_zero 0
	.end_amdhsa_kernel
	.section	.text._ZN7rocprim17ROCPRIM_400000_NS6detail17trampoline_kernelINS0_14default_configENS1_22reduce_config_selectorIN6thrust23THRUST_200600_302600_NS5tupleIblNS6_9null_typeES8_S8_S8_S8_S8_S8_S8_EEEEZNS1_11reduce_implILb1ES3_NS6_12zip_iteratorINS7_INS6_11hip_rocprim26transform_input_iterator_tIbNSD_35transform_pair_of_input_iterators_tIbNS6_6detail15normal_iteratorINS6_10device_ptrIKdEEEESL_NS6_8equal_toIdEEEENSG_9not_fun_tINSD_8identityEEEEENSD_19counting_iterator_tIlEES8_S8_S8_S8_S8_S8_S8_S8_EEEEPS9_S9_NSD_9__find_if7functorIS9_EEEE10hipError_tPvRmT1_T2_T3_mT4_P12ihipStream_tbEUlT_E1_NS1_11comp_targetILNS1_3genE5ELNS1_11target_archE942ELNS1_3gpuE9ELNS1_3repE0EEENS1_30default_config_static_selectorELNS0_4arch9wavefront6targetE0EEEvS14_,"axG",@progbits,_ZN7rocprim17ROCPRIM_400000_NS6detail17trampoline_kernelINS0_14default_configENS1_22reduce_config_selectorIN6thrust23THRUST_200600_302600_NS5tupleIblNS6_9null_typeES8_S8_S8_S8_S8_S8_S8_EEEEZNS1_11reduce_implILb1ES3_NS6_12zip_iteratorINS7_INS6_11hip_rocprim26transform_input_iterator_tIbNSD_35transform_pair_of_input_iterators_tIbNS6_6detail15normal_iteratorINS6_10device_ptrIKdEEEESL_NS6_8equal_toIdEEEENSG_9not_fun_tINSD_8identityEEEEENSD_19counting_iterator_tIlEES8_S8_S8_S8_S8_S8_S8_S8_EEEEPS9_S9_NSD_9__find_if7functorIS9_EEEE10hipError_tPvRmT1_T2_T3_mT4_P12ihipStream_tbEUlT_E1_NS1_11comp_targetILNS1_3genE5ELNS1_11target_archE942ELNS1_3gpuE9ELNS1_3repE0EEENS1_30default_config_static_selectorELNS0_4arch9wavefront6targetE0EEEvS14_,comdat
.Lfunc_end47:
	.size	_ZN7rocprim17ROCPRIM_400000_NS6detail17trampoline_kernelINS0_14default_configENS1_22reduce_config_selectorIN6thrust23THRUST_200600_302600_NS5tupleIblNS6_9null_typeES8_S8_S8_S8_S8_S8_S8_EEEEZNS1_11reduce_implILb1ES3_NS6_12zip_iteratorINS7_INS6_11hip_rocprim26transform_input_iterator_tIbNSD_35transform_pair_of_input_iterators_tIbNS6_6detail15normal_iteratorINS6_10device_ptrIKdEEEESL_NS6_8equal_toIdEEEENSG_9not_fun_tINSD_8identityEEEEENSD_19counting_iterator_tIlEES8_S8_S8_S8_S8_S8_S8_S8_EEEEPS9_S9_NSD_9__find_if7functorIS9_EEEE10hipError_tPvRmT1_T2_T3_mT4_P12ihipStream_tbEUlT_E1_NS1_11comp_targetILNS1_3genE5ELNS1_11target_archE942ELNS1_3gpuE9ELNS1_3repE0EEENS1_30default_config_static_selectorELNS0_4arch9wavefront6targetE0EEEvS14_, .Lfunc_end47-_ZN7rocprim17ROCPRIM_400000_NS6detail17trampoline_kernelINS0_14default_configENS1_22reduce_config_selectorIN6thrust23THRUST_200600_302600_NS5tupleIblNS6_9null_typeES8_S8_S8_S8_S8_S8_S8_EEEEZNS1_11reduce_implILb1ES3_NS6_12zip_iteratorINS7_INS6_11hip_rocprim26transform_input_iterator_tIbNSD_35transform_pair_of_input_iterators_tIbNS6_6detail15normal_iteratorINS6_10device_ptrIKdEEEESL_NS6_8equal_toIdEEEENSG_9not_fun_tINSD_8identityEEEEENSD_19counting_iterator_tIlEES8_S8_S8_S8_S8_S8_S8_S8_EEEEPS9_S9_NSD_9__find_if7functorIS9_EEEE10hipError_tPvRmT1_T2_T3_mT4_P12ihipStream_tbEUlT_E1_NS1_11comp_targetILNS1_3genE5ELNS1_11target_archE942ELNS1_3gpuE9ELNS1_3repE0EEENS1_30default_config_static_selectorELNS0_4arch9wavefront6targetE0EEEvS14_
                                        ; -- End function
	.set _ZN7rocprim17ROCPRIM_400000_NS6detail17trampoline_kernelINS0_14default_configENS1_22reduce_config_selectorIN6thrust23THRUST_200600_302600_NS5tupleIblNS6_9null_typeES8_S8_S8_S8_S8_S8_S8_EEEEZNS1_11reduce_implILb1ES3_NS6_12zip_iteratorINS7_INS6_11hip_rocprim26transform_input_iterator_tIbNSD_35transform_pair_of_input_iterators_tIbNS6_6detail15normal_iteratorINS6_10device_ptrIKdEEEESL_NS6_8equal_toIdEEEENSG_9not_fun_tINSD_8identityEEEEENSD_19counting_iterator_tIlEES8_S8_S8_S8_S8_S8_S8_S8_EEEEPS9_S9_NSD_9__find_if7functorIS9_EEEE10hipError_tPvRmT1_T2_T3_mT4_P12ihipStream_tbEUlT_E1_NS1_11comp_targetILNS1_3genE5ELNS1_11target_archE942ELNS1_3gpuE9ELNS1_3repE0EEENS1_30default_config_static_selectorELNS0_4arch9wavefront6targetE0EEEvS14_.num_vgpr, 0
	.set _ZN7rocprim17ROCPRIM_400000_NS6detail17trampoline_kernelINS0_14default_configENS1_22reduce_config_selectorIN6thrust23THRUST_200600_302600_NS5tupleIblNS6_9null_typeES8_S8_S8_S8_S8_S8_S8_EEEEZNS1_11reduce_implILb1ES3_NS6_12zip_iteratorINS7_INS6_11hip_rocprim26transform_input_iterator_tIbNSD_35transform_pair_of_input_iterators_tIbNS6_6detail15normal_iteratorINS6_10device_ptrIKdEEEESL_NS6_8equal_toIdEEEENSG_9not_fun_tINSD_8identityEEEEENSD_19counting_iterator_tIlEES8_S8_S8_S8_S8_S8_S8_S8_EEEEPS9_S9_NSD_9__find_if7functorIS9_EEEE10hipError_tPvRmT1_T2_T3_mT4_P12ihipStream_tbEUlT_E1_NS1_11comp_targetILNS1_3genE5ELNS1_11target_archE942ELNS1_3gpuE9ELNS1_3repE0EEENS1_30default_config_static_selectorELNS0_4arch9wavefront6targetE0EEEvS14_.num_agpr, 0
	.set _ZN7rocprim17ROCPRIM_400000_NS6detail17trampoline_kernelINS0_14default_configENS1_22reduce_config_selectorIN6thrust23THRUST_200600_302600_NS5tupleIblNS6_9null_typeES8_S8_S8_S8_S8_S8_S8_EEEEZNS1_11reduce_implILb1ES3_NS6_12zip_iteratorINS7_INS6_11hip_rocprim26transform_input_iterator_tIbNSD_35transform_pair_of_input_iterators_tIbNS6_6detail15normal_iteratorINS6_10device_ptrIKdEEEESL_NS6_8equal_toIdEEEENSG_9not_fun_tINSD_8identityEEEEENSD_19counting_iterator_tIlEES8_S8_S8_S8_S8_S8_S8_S8_EEEEPS9_S9_NSD_9__find_if7functorIS9_EEEE10hipError_tPvRmT1_T2_T3_mT4_P12ihipStream_tbEUlT_E1_NS1_11comp_targetILNS1_3genE5ELNS1_11target_archE942ELNS1_3gpuE9ELNS1_3repE0EEENS1_30default_config_static_selectorELNS0_4arch9wavefront6targetE0EEEvS14_.numbered_sgpr, 0
	.set _ZN7rocprim17ROCPRIM_400000_NS6detail17trampoline_kernelINS0_14default_configENS1_22reduce_config_selectorIN6thrust23THRUST_200600_302600_NS5tupleIblNS6_9null_typeES8_S8_S8_S8_S8_S8_S8_EEEEZNS1_11reduce_implILb1ES3_NS6_12zip_iteratorINS7_INS6_11hip_rocprim26transform_input_iterator_tIbNSD_35transform_pair_of_input_iterators_tIbNS6_6detail15normal_iteratorINS6_10device_ptrIKdEEEESL_NS6_8equal_toIdEEEENSG_9not_fun_tINSD_8identityEEEEENSD_19counting_iterator_tIlEES8_S8_S8_S8_S8_S8_S8_S8_EEEEPS9_S9_NSD_9__find_if7functorIS9_EEEE10hipError_tPvRmT1_T2_T3_mT4_P12ihipStream_tbEUlT_E1_NS1_11comp_targetILNS1_3genE5ELNS1_11target_archE942ELNS1_3gpuE9ELNS1_3repE0EEENS1_30default_config_static_selectorELNS0_4arch9wavefront6targetE0EEEvS14_.num_named_barrier, 0
	.set _ZN7rocprim17ROCPRIM_400000_NS6detail17trampoline_kernelINS0_14default_configENS1_22reduce_config_selectorIN6thrust23THRUST_200600_302600_NS5tupleIblNS6_9null_typeES8_S8_S8_S8_S8_S8_S8_EEEEZNS1_11reduce_implILb1ES3_NS6_12zip_iteratorINS7_INS6_11hip_rocprim26transform_input_iterator_tIbNSD_35transform_pair_of_input_iterators_tIbNS6_6detail15normal_iteratorINS6_10device_ptrIKdEEEESL_NS6_8equal_toIdEEEENSG_9not_fun_tINSD_8identityEEEEENSD_19counting_iterator_tIlEES8_S8_S8_S8_S8_S8_S8_S8_EEEEPS9_S9_NSD_9__find_if7functorIS9_EEEE10hipError_tPvRmT1_T2_T3_mT4_P12ihipStream_tbEUlT_E1_NS1_11comp_targetILNS1_3genE5ELNS1_11target_archE942ELNS1_3gpuE9ELNS1_3repE0EEENS1_30default_config_static_selectorELNS0_4arch9wavefront6targetE0EEEvS14_.private_seg_size, 0
	.set _ZN7rocprim17ROCPRIM_400000_NS6detail17trampoline_kernelINS0_14default_configENS1_22reduce_config_selectorIN6thrust23THRUST_200600_302600_NS5tupleIblNS6_9null_typeES8_S8_S8_S8_S8_S8_S8_EEEEZNS1_11reduce_implILb1ES3_NS6_12zip_iteratorINS7_INS6_11hip_rocprim26transform_input_iterator_tIbNSD_35transform_pair_of_input_iterators_tIbNS6_6detail15normal_iteratorINS6_10device_ptrIKdEEEESL_NS6_8equal_toIdEEEENSG_9not_fun_tINSD_8identityEEEEENSD_19counting_iterator_tIlEES8_S8_S8_S8_S8_S8_S8_S8_EEEEPS9_S9_NSD_9__find_if7functorIS9_EEEE10hipError_tPvRmT1_T2_T3_mT4_P12ihipStream_tbEUlT_E1_NS1_11comp_targetILNS1_3genE5ELNS1_11target_archE942ELNS1_3gpuE9ELNS1_3repE0EEENS1_30default_config_static_selectorELNS0_4arch9wavefront6targetE0EEEvS14_.uses_vcc, 0
	.set _ZN7rocprim17ROCPRIM_400000_NS6detail17trampoline_kernelINS0_14default_configENS1_22reduce_config_selectorIN6thrust23THRUST_200600_302600_NS5tupleIblNS6_9null_typeES8_S8_S8_S8_S8_S8_S8_EEEEZNS1_11reduce_implILb1ES3_NS6_12zip_iteratorINS7_INS6_11hip_rocprim26transform_input_iterator_tIbNSD_35transform_pair_of_input_iterators_tIbNS6_6detail15normal_iteratorINS6_10device_ptrIKdEEEESL_NS6_8equal_toIdEEEENSG_9not_fun_tINSD_8identityEEEEENSD_19counting_iterator_tIlEES8_S8_S8_S8_S8_S8_S8_S8_EEEEPS9_S9_NSD_9__find_if7functorIS9_EEEE10hipError_tPvRmT1_T2_T3_mT4_P12ihipStream_tbEUlT_E1_NS1_11comp_targetILNS1_3genE5ELNS1_11target_archE942ELNS1_3gpuE9ELNS1_3repE0EEENS1_30default_config_static_selectorELNS0_4arch9wavefront6targetE0EEEvS14_.uses_flat_scratch, 0
	.set _ZN7rocprim17ROCPRIM_400000_NS6detail17trampoline_kernelINS0_14default_configENS1_22reduce_config_selectorIN6thrust23THRUST_200600_302600_NS5tupleIblNS6_9null_typeES8_S8_S8_S8_S8_S8_S8_EEEEZNS1_11reduce_implILb1ES3_NS6_12zip_iteratorINS7_INS6_11hip_rocprim26transform_input_iterator_tIbNSD_35transform_pair_of_input_iterators_tIbNS6_6detail15normal_iteratorINS6_10device_ptrIKdEEEESL_NS6_8equal_toIdEEEENSG_9not_fun_tINSD_8identityEEEEENSD_19counting_iterator_tIlEES8_S8_S8_S8_S8_S8_S8_S8_EEEEPS9_S9_NSD_9__find_if7functorIS9_EEEE10hipError_tPvRmT1_T2_T3_mT4_P12ihipStream_tbEUlT_E1_NS1_11comp_targetILNS1_3genE5ELNS1_11target_archE942ELNS1_3gpuE9ELNS1_3repE0EEENS1_30default_config_static_selectorELNS0_4arch9wavefront6targetE0EEEvS14_.has_dyn_sized_stack, 0
	.set _ZN7rocprim17ROCPRIM_400000_NS6detail17trampoline_kernelINS0_14default_configENS1_22reduce_config_selectorIN6thrust23THRUST_200600_302600_NS5tupleIblNS6_9null_typeES8_S8_S8_S8_S8_S8_S8_EEEEZNS1_11reduce_implILb1ES3_NS6_12zip_iteratorINS7_INS6_11hip_rocprim26transform_input_iterator_tIbNSD_35transform_pair_of_input_iterators_tIbNS6_6detail15normal_iteratorINS6_10device_ptrIKdEEEESL_NS6_8equal_toIdEEEENSG_9not_fun_tINSD_8identityEEEEENSD_19counting_iterator_tIlEES8_S8_S8_S8_S8_S8_S8_S8_EEEEPS9_S9_NSD_9__find_if7functorIS9_EEEE10hipError_tPvRmT1_T2_T3_mT4_P12ihipStream_tbEUlT_E1_NS1_11comp_targetILNS1_3genE5ELNS1_11target_archE942ELNS1_3gpuE9ELNS1_3repE0EEENS1_30default_config_static_selectorELNS0_4arch9wavefront6targetE0EEEvS14_.has_recursion, 0
	.set _ZN7rocprim17ROCPRIM_400000_NS6detail17trampoline_kernelINS0_14default_configENS1_22reduce_config_selectorIN6thrust23THRUST_200600_302600_NS5tupleIblNS6_9null_typeES8_S8_S8_S8_S8_S8_S8_EEEEZNS1_11reduce_implILb1ES3_NS6_12zip_iteratorINS7_INS6_11hip_rocprim26transform_input_iterator_tIbNSD_35transform_pair_of_input_iterators_tIbNS6_6detail15normal_iteratorINS6_10device_ptrIKdEEEESL_NS6_8equal_toIdEEEENSG_9not_fun_tINSD_8identityEEEEENSD_19counting_iterator_tIlEES8_S8_S8_S8_S8_S8_S8_S8_EEEEPS9_S9_NSD_9__find_if7functorIS9_EEEE10hipError_tPvRmT1_T2_T3_mT4_P12ihipStream_tbEUlT_E1_NS1_11comp_targetILNS1_3genE5ELNS1_11target_archE942ELNS1_3gpuE9ELNS1_3repE0EEENS1_30default_config_static_selectorELNS0_4arch9wavefront6targetE0EEEvS14_.has_indirect_call, 0
	.section	.AMDGPU.csdata,"",@progbits
; Kernel info:
; codeLenInByte = 0
; TotalNumSgprs: 0
; NumVgprs: 0
; ScratchSize: 0
; MemoryBound: 0
; FloatMode: 240
; IeeeMode: 1
; LDSByteSize: 0 bytes/workgroup (compile time only)
; SGPRBlocks: 0
; VGPRBlocks: 0
; NumSGPRsForWavesPerEU: 1
; NumVGPRsForWavesPerEU: 1
; Occupancy: 16
; WaveLimiterHint : 0
; COMPUTE_PGM_RSRC2:SCRATCH_EN: 0
; COMPUTE_PGM_RSRC2:USER_SGPR: 6
; COMPUTE_PGM_RSRC2:TRAP_HANDLER: 0
; COMPUTE_PGM_RSRC2:TGID_X_EN: 1
; COMPUTE_PGM_RSRC2:TGID_Y_EN: 0
; COMPUTE_PGM_RSRC2:TGID_Z_EN: 0
; COMPUTE_PGM_RSRC2:TIDIG_COMP_CNT: 0
	.section	.text._ZN7rocprim17ROCPRIM_400000_NS6detail17trampoline_kernelINS0_14default_configENS1_22reduce_config_selectorIN6thrust23THRUST_200600_302600_NS5tupleIblNS6_9null_typeES8_S8_S8_S8_S8_S8_S8_EEEEZNS1_11reduce_implILb1ES3_NS6_12zip_iteratorINS7_INS6_11hip_rocprim26transform_input_iterator_tIbNSD_35transform_pair_of_input_iterators_tIbNS6_6detail15normal_iteratorINS6_10device_ptrIKdEEEESL_NS6_8equal_toIdEEEENSG_9not_fun_tINSD_8identityEEEEENSD_19counting_iterator_tIlEES8_S8_S8_S8_S8_S8_S8_S8_EEEEPS9_S9_NSD_9__find_if7functorIS9_EEEE10hipError_tPvRmT1_T2_T3_mT4_P12ihipStream_tbEUlT_E1_NS1_11comp_targetILNS1_3genE4ELNS1_11target_archE910ELNS1_3gpuE8ELNS1_3repE0EEENS1_30default_config_static_selectorELNS0_4arch9wavefront6targetE0EEEvS14_,"axG",@progbits,_ZN7rocprim17ROCPRIM_400000_NS6detail17trampoline_kernelINS0_14default_configENS1_22reduce_config_selectorIN6thrust23THRUST_200600_302600_NS5tupleIblNS6_9null_typeES8_S8_S8_S8_S8_S8_S8_EEEEZNS1_11reduce_implILb1ES3_NS6_12zip_iteratorINS7_INS6_11hip_rocprim26transform_input_iterator_tIbNSD_35transform_pair_of_input_iterators_tIbNS6_6detail15normal_iteratorINS6_10device_ptrIKdEEEESL_NS6_8equal_toIdEEEENSG_9not_fun_tINSD_8identityEEEEENSD_19counting_iterator_tIlEES8_S8_S8_S8_S8_S8_S8_S8_EEEEPS9_S9_NSD_9__find_if7functorIS9_EEEE10hipError_tPvRmT1_T2_T3_mT4_P12ihipStream_tbEUlT_E1_NS1_11comp_targetILNS1_3genE4ELNS1_11target_archE910ELNS1_3gpuE8ELNS1_3repE0EEENS1_30default_config_static_selectorELNS0_4arch9wavefront6targetE0EEEvS14_,comdat
	.protected	_ZN7rocprim17ROCPRIM_400000_NS6detail17trampoline_kernelINS0_14default_configENS1_22reduce_config_selectorIN6thrust23THRUST_200600_302600_NS5tupleIblNS6_9null_typeES8_S8_S8_S8_S8_S8_S8_EEEEZNS1_11reduce_implILb1ES3_NS6_12zip_iteratorINS7_INS6_11hip_rocprim26transform_input_iterator_tIbNSD_35transform_pair_of_input_iterators_tIbNS6_6detail15normal_iteratorINS6_10device_ptrIKdEEEESL_NS6_8equal_toIdEEEENSG_9not_fun_tINSD_8identityEEEEENSD_19counting_iterator_tIlEES8_S8_S8_S8_S8_S8_S8_S8_EEEEPS9_S9_NSD_9__find_if7functorIS9_EEEE10hipError_tPvRmT1_T2_T3_mT4_P12ihipStream_tbEUlT_E1_NS1_11comp_targetILNS1_3genE4ELNS1_11target_archE910ELNS1_3gpuE8ELNS1_3repE0EEENS1_30default_config_static_selectorELNS0_4arch9wavefront6targetE0EEEvS14_ ; -- Begin function _ZN7rocprim17ROCPRIM_400000_NS6detail17trampoline_kernelINS0_14default_configENS1_22reduce_config_selectorIN6thrust23THRUST_200600_302600_NS5tupleIblNS6_9null_typeES8_S8_S8_S8_S8_S8_S8_EEEEZNS1_11reduce_implILb1ES3_NS6_12zip_iteratorINS7_INS6_11hip_rocprim26transform_input_iterator_tIbNSD_35transform_pair_of_input_iterators_tIbNS6_6detail15normal_iteratorINS6_10device_ptrIKdEEEESL_NS6_8equal_toIdEEEENSG_9not_fun_tINSD_8identityEEEEENSD_19counting_iterator_tIlEES8_S8_S8_S8_S8_S8_S8_S8_EEEEPS9_S9_NSD_9__find_if7functorIS9_EEEE10hipError_tPvRmT1_T2_T3_mT4_P12ihipStream_tbEUlT_E1_NS1_11comp_targetILNS1_3genE4ELNS1_11target_archE910ELNS1_3gpuE8ELNS1_3repE0EEENS1_30default_config_static_selectorELNS0_4arch9wavefront6targetE0EEEvS14_
	.globl	_ZN7rocprim17ROCPRIM_400000_NS6detail17trampoline_kernelINS0_14default_configENS1_22reduce_config_selectorIN6thrust23THRUST_200600_302600_NS5tupleIblNS6_9null_typeES8_S8_S8_S8_S8_S8_S8_EEEEZNS1_11reduce_implILb1ES3_NS6_12zip_iteratorINS7_INS6_11hip_rocprim26transform_input_iterator_tIbNSD_35transform_pair_of_input_iterators_tIbNS6_6detail15normal_iteratorINS6_10device_ptrIKdEEEESL_NS6_8equal_toIdEEEENSG_9not_fun_tINSD_8identityEEEEENSD_19counting_iterator_tIlEES8_S8_S8_S8_S8_S8_S8_S8_EEEEPS9_S9_NSD_9__find_if7functorIS9_EEEE10hipError_tPvRmT1_T2_T3_mT4_P12ihipStream_tbEUlT_E1_NS1_11comp_targetILNS1_3genE4ELNS1_11target_archE910ELNS1_3gpuE8ELNS1_3repE0EEENS1_30default_config_static_selectorELNS0_4arch9wavefront6targetE0EEEvS14_
	.p2align	8
	.type	_ZN7rocprim17ROCPRIM_400000_NS6detail17trampoline_kernelINS0_14default_configENS1_22reduce_config_selectorIN6thrust23THRUST_200600_302600_NS5tupleIblNS6_9null_typeES8_S8_S8_S8_S8_S8_S8_EEEEZNS1_11reduce_implILb1ES3_NS6_12zip_iteratorINS7_INS6_11hip_rocprim26transform_input_iterator_tIbNSD_35transform_pair_of_input_iterators_tIbNS6_6detail15normal_iteratorINS6_10device_ptrIKdEEEESL_NS6_8equal_toIdEEEENSG_9not_fun_tINSD_8identityEEEEENSD_19counting_iterator_tIlEES8_S8_S8_S8_S8_S8_S8_S8_EEEEPS9_S9_NSD_9__find_if7functorIS9_EEEE10hipError_tPvRmT1_T2_T3_mT4_P12ihipStream_tbEUlT_E1_NS1_11comp_targetILNS1_3genE4ELNS1_11target_archE910ELNS1_3gpuE8ELNS1_3repE0EEENS1_30default_config_static_selectorELNS0_4arch9wavefront6targetE0EEEvS14_,@function
_ZN7rocprim17ROCPRIM_400000_NS6detail17trampoline_kernelINS0_14default_configENS1_22reduce_config_selectorIN6thrust23THRUST_200600_302600_NS5tupleIblNS6_9null_typeES8_S8_S8_S8_S8_S8_S8_EEEEZNS1_11reduce_implILb1ES3_NS6_12zip_iteratorINS7_INS6_11hip_rocprim26transform_input_iterator_tIbNSD_35transform_pair_of_input_iterators_tIbNS6_6detail15normal_iteratorINS6_10device_ptrIKdEEEESL_NS6_8equal_toIdEEEENSG_9not_fun_tINSD_8identityEEEEENSD_19counting_iterator_tIlEES8_S8_S8_S8_S8_S8_S8_S8_EEEEPS9_S9_NSD_9__find_if7functorIS9_EEEE10hipError_tPvRmT1_T2_T3_mT4_P12ihipStream_tbEUlT_E1_NS1_11comp_targetILNS1_3genE4ELNS1_11target_archE910ELNS1_3gpuE8ELNS1_3repE0EEENS1_30default_config_static_selectorELNS0_4arch9wavefront6targetE0EEEvS14_: ; @_ZN7rocprim17ROCPRIM_400000_NS6detail17trampoline_kernelINS0_14default_configENS1_22reduce_config_selectorIN6thrust23THRUST_200600_302600_NS5tupleIblNS6_9null_typeES8_S8_S8_S8_S8_S8_S8_EEEEZNS1_11reduce_implILb1ES3_NS6_12zip_iteratorINS7_INS6_11hip_rocprim26transform_input_iterator_tIbNSD_35transform_pair_of_input_iterators_tIbNS6_6detail15normal_iteratorINS6_10device_ptrIKdEEEESL_NS6_8equal_toIdEEEENSG_9not_fun_tINSD_8identityEEEEENSD_19counting_iterator_tIlEES8_S8_S8_S8_S8_S8_S8_S8_EEEEPS9_S9_NSD_9__find_if7functorIS9_EEEE10hipError_tPvRmT1_T2_T3_mT4_P12ihipStream_tbEUlT_E1_NS1_11comp_targetILNS1_3genE4ELNS1_11target_archE910ELNS1_3gpuE8ELNS1_3repE0EEENS1_30default_config_static_selectorELNS0_4arch9wavefront6targetE0EEEvS14_
; %bb.0:
	.section	.rodata,"a",@progbits
	.p2align	6, 0x0
	.amdhsa_kernel _ZN7rocprim17ROCPRIM_400000_NS6detail17trampoline_kernelINS0_14default_configENS1_22reduce_config_selectorIN6thrust23THRUST_200600_302600_NS5tupleIblNS6_9null_typeES8_S8_S8_S8_S8_S8_S8_EEEEZNS1_11reduce_implILb1ES3_NS6_12zip_iteratorINS7_INS6_11hip_rocprim26transform_input_iterator_tIbNSD_35transform_pair_of_input_iterators_tIbNS6_6detail15normal_iteratorINS6_10device_ptrIKdEEEESL_NS6_8equal_toIdEEEENSG_9not_fun_tINSD_8identityEEEEENSD_19counting_iterator_tIlEES8_S8_S8_S8_S8_S8_S8_S8_EEEEPS9_S9_NSD_9__find_if7functorIS9_EEEE10hipError_tPvRmT1_T2_T3_mT4_P12ihipStream_tbEUlT_E1_NS1_11comp_targetILNS1_3genE4ELNS1_11target_archE910ELNS1_3gpuE8ELNS1_3repE0EEENS1_30default_config_static_selectorELNS0_4arch9wavefront6targetE0EEEvS14_
		.amdhsa_group_segment_fixed_size 0
		.amdhsa_private_segment_fixed_size 0
		.amdhsa_kernarg_size 88
		.amdhsa_user_sgpr_count 6
		.amdhsa_user_sgpr_private_segment_buffer 1
		.amdhsa_user_sgpr_dispatch_ptr 0
		.amdhsa_user_sgpr_queue_ptr 0
		.amdhsa_user_sgpr_kernarg_segment_ptr 1
		.amdhsa_user_sgpr_dispatch_id 0
		.amdhsa_user_sgpr_flat_scratch_init 0
		.amdhsa_user_sgpr_private_segment_size 0
		.amdhsa_wavefront_size32 1
		.amdhsa_uses_dynamic_stack 0
		.amdhsa_system_sgpr_private_segment_wavefront_offset 0
		.amdhsa_system_sgpr_workgroup_id_x 1
		.amdhsa_system_sgpr_workgroup_id_y 0
		.amdhsa_system_sgpr_workgroup_id_z 0
		.amdhsa_system_sgpr_workgroup_info 0
		.amdhsa_system_vgpr_workitem_id 0
		.amdhsa_next_free_vgpr 1
		.amdhsa_next_free_sgpr 1
		.amdhsa_reserve_vcc 0
		.amdhsa_reserve_flat_scratch 0
		.amdhsa_float_round_mode_32 0
		.amdhsa_float_round_mode_16_64 0
		.amdhsa_float_denorm_mode_32 3
		.amdhsa_float_denorm_mode_16_64 3
		.amdhsa_dx10_clamp 1
		.amdhsa_ieee_mode 1
		.amdhsa_fp16_overflow 0
		.amdhsa_workgroup_processor_mode 1
		.amdhsa_memory_ordered 1
		.amdhsa_forward_progress 1
		.amdhsa_shared_vgpr_count 0
		.amdhsa_exception_fp_ieee_invalid_op 0
		.amdhsa_exception_fp_denorm_src 0
		.amdhsa_exception_fp_ieee_div_zero 0
		.amdhsa_exception_fp_ieee_overflow 0
		.amdhsa_exception_fp_ieee_underflow 0
		.amdhsa_exception_fp_ieee_inexact 0
		.amdhsa_exception_int_div_zero 0
	.end_amdhsa_kernel
	.section	.text._ZN7rocprim17ROCPRIM_400000_NS6detail17trampoline_kernelINS0_14default_configENS1_22reduce_config_selectorIN6thrust23THRUST_200600_302600_NS5tupleIblNS6_9null_typeES8_S8_S8_S8_S8_S8_S8_EEEEZNS1_11reduce_implILb1ES3_NS6_12zip_iteratorINS7_INS6_11hip_rocprim26transform_input_iterator_tIbNSD_35transform_pair_of_input_iterators_tIbNS6_6detail15normal_iteratorINS6_10device_ptrIKdEEEESL_NS6_8equal_toIdEEEENSG_9not_fun_tINSD_8identityEEEEENSD_19counting_iterator_tIlEES8_S8_S8_S8_S8_S8_S8_S8_EEEEPS9_S9_NSD_9__find_if7functorIS9_EEEE10hipError_tPvRmT1_T2_T3_mT4_P12ihipStream_tbEUlT_E1_NS1_11comp_targetILNS1_3genE4ELNS1_11target_archE910ELNS1_3gpuE8ELNS1_3repE0EEENS1_30default_config_static_selectorELNS0_4arch9wavefront6targetE0EEEvS14_,"axG",@progbits,_ZN7rocprim17ROCPRIM_400000_NS6detail17trampoline_kernelINS0_14default_configENS1_22reduce_config_selectorIN6thrust23THRUST_200600_302600_NS5tupleIblNS6_9null_typeES8_S8_S8_S8_S8_S8_S8_EEEEZNS1_11reduce_implILb1ES3_NS6_12zip_iteratorINS7_INS6_11hip_rocprim26transform_input_iterator_tIbNSD_35transform_pair_of_input_iterators_tIbNS6_6detail15normal_iteratorINS6_10device_ptrIKdEEEESL_NS6_8equal_toIdEEEENSG_9not_fun_tINSD_8identityEEEEENSD_19counting_iterator_tIlEES8_S8_S8_S8_S8_S8_S8_S8_EEEEPS9_S9_NSD_9__find_if7functorIS9_EEEE10hipError_tPvRmT1_T2_T3_mT4_P12ihipStream_tbEUlT_E1_NS1_11comp_targetILNS1_3genE4ELNS1_11target_archE910ELNS1_3gpuE8ELNS1_3repE0EEENS1_30default_config_static_selectorELNS0_4arch9wavefront6targetE0EEEvS14_,comdat
.Lfunc_end48:
	.size	_ZN7rocprim17ROCPRIM_400000_NS6detail17trampoline_kernelINS0_14default_configENS1_22reduce_config_selectorIN6thrust23THRUST_200600_302600_NS5tupleIblNS6_9null_typeES8_S8_S8_S8_S8_S8_S8_EEEEZNS1_11reduce_implILb1ES3_NS6_12zip_iteratorINS7_INS6_11hip_rocprim26transform_input_iterator_tIbNSD_35transform_pair_of_input_iterators_tIbNS6_6detail15normal_iteratorINS6_10device_ptrIKdEEEESL_NS6_8equal_toIdEEEENSG_9not_fun_tINSD_8identityEEEEENSD_19counting_iterator_tIlEES8_S8_S8_S8_S8_S8_S8_S8_EEEEPS9_S9_NSD_9__find_if7functorIS9_EEEE10hipError_tPvRmT1_T2_T3_mT4_P12ihipStream_tbEUlT_E1_NS1_11comp_targetILNS1_3genE4ELNS1_11target_archE910ELNS1_3gpuE8ELNS1_3repE0EEENS1_30default_config_static_selectorELNS0_4arch9wavefront6targetE0EEEvS14_, .Lfunc_end48-_ZN7rocprim17ROCPRIM_400000_NS6detail17trampoline_kernelINS0_14default_configENS1_22reduce_config_selectorIN6thrust23THRUST_200600_302600_NS5tupleIblNS6_9null_typeES8_S8_S8_S8_S8_S8_S8_EEEEZNS1_11reduce_implILb1ES3_NS6_12zip_iteratorINS7_INS6_11hip_rocprim26transform_input_iterator_tIbNSD_35transform_pair_of_input_iterators_tIbNS6_6detail15normal_iteratorINS6_10device_ptrIKdEEEESL_NS6_8equal_toIdEEEENSG_9not_fun_tINSD_8identityEEEEENSD_19counting_iterator_tIlEES8_S8_S8_S8_S8_S8_S8_S8_EEEEPS9_S9_NSD_9__find_if7functorIS9_EEEE10hipError_tPvRmT1_T2_T3_mT4_P12ihipStream_tbEUlT_E1_NS1_11comp_targetILNS1_3genE4ELNS1_11target_archE910ELNS1_3gpuE8ELNS1_3repE0EEENS1_30default_config_static_selectorELNS0_4arch9wavefront6targetE0EEEvS14_
                                        ; -- End function
	.set _ZN7rocprim17ROCPRIM_400000_NS6detail17trampoline_kernelINS0_14default_configENS1_22reduce_config_selectorIN6thrust23THRUST_200600_302600_NS5tupleIblNS6_9null_typeES8_S8_S8_S8_S8_S8_S8_EEEEZNS1_11reduce_implILb1ES3_NS6_12zip_iteratorINS7_INS6_11hip_rocprim26transform_input_iterator_tIbNSD_35transform_pair_of_input_iterators_tIbNS6_6detail15normal_iteratorINS6_10device_ptrIKdEEEESL_NS6_8equal_toIdEEEENSG_9not_fun_tINSD_8identityEEEEENSD_19counting_iterator_tIlEES8_S8_S8_S8_S8_S8_S8_S8_EEEEPS9_S9_NSD_9__find_if7functorIS9_EEEE10hipError_tPvRmT1_T2_T3_mT4_P12ihipStream_tbEUlT_E1_NS1_11comp_targetILNS1_3genE4ELNS1_11target_archE910ELNS1_3gpuE8ELNS1_3repE0EEENS1_30default_config_static_selectorELNS0_4arch9wavefront6targetE0EEEvS14_.num_vgpr, 0
	.set _ZN7rocprim17ROCPRIM_400000_NS6detail17trampoline_kernelINS0_14default_configENS1_22reduce_config_selectorIN6thrust23THRUST_200600_302600_NS5tupleIblNS6_9null_typeES8_S8_S8_S8_S8_S8_S8_EEEEZNS1_11reduce_implILb1ES3_NS6_12zip_iteratorINS7_INS6_11hip_rocprim26transform_input_iterator_tIbNSD_35transform_pair_of_input_iterators_tIbNS6_6detail15normal_iteratorINS6_10device_ptrIKdEEEESL_NS6_8equal_toIdEEEENSG_9not_fun_tINSD_8identityEEEEENSD_19counting_iterator_tIlEES8_S8_S8_S8_S8_S8_S8_S8_EEEEPS9_S9_NSD_9__find_if7functorIS9_EEEE10hipError_tPvRmT1_T2_T3_mT4_P12ihipStream_tbEUlT_E1_NS1_11comp_targetILNS1_3genE4ELNS1_11target_archE910ELNS1_3gpuE8ELNS1_3repE0EEENS1_30default_config_static_selectorELNS0_4arch9wavefront6targetE0EEEvS14_.num_agpr, 0
	.set _ZN7rocprim17ROCPRIM_400000_NS6detail17trampoline_kernelINS0_14default_configENS1_22reduce_config_selectorIN6thrust23THRUST_200600_302600_NS5tupleIblNS6_9null_typeES8_S8_S8_S8_S8_S8_S8_EEEEZNS1_11reduce_implILb1ES3_NS6_12zip_iteratorINS7_INS6_11hip_rocprim26transform_input_iterator_tIbNSD_35transform_pair_of_input_iterators_tIbNS6_6detail15normal_iteratorINS6_10device_ptrIKdEEEESL_NS6_8equal_toIdEEEENSG_9not_fun_tINSD_8identityEEEEENSD_19counting_iterator_tIlEES8_S8_S8_S8_S8_S8_S8_S8_EEEEPS9_S9_NSD_9__find_if7functorIS9_EEEE10hipError_tPvRmT1_T2_T3_mT4_P12ihipStream_tbEUlT_E1_NS1_11comp_targetILNS1_3genE4ELNS1_11target_archE910ELNS1_3gpuE8ELNS1_3repE0EEENS1_30default_config_static_selectorELNS0_4arch9wavefront6targetE0EEEvS14_.numbered_sgpr, 0
	.set _ZN7rocprim17ROCPRIM_400000_NS6detail17trampoline_kernelINS0_14default_configENS1_22reduce_config_selectorIN6thrust23THRUST_200600_302600_NS5tupleIblNS6_9null_typeES8_S8_S8_S8_S8_S8_S8_EEEEZNS1_11reduce_implILb1ES3_NS6_12zip_iteratorINS7_INS6_11hip_rocprim26transform_input_iterator_tIbNSD_35transform_pair_of_input_iterators_tIbNS6_6detail15normal_iteratorINS6_10device_ptrIKdEEEESL_NS6_8equal_toIdEEEENSG_9not_fun_tINSD_8identityEEEEENSD_19counting_iterator_tIlEES8_S8_S8_S8_S8_S8_S8_S8_EEEEPS9_S9_NSD_9__find_if7functorIS9_EEEE10hipError_tPvRmT1_T2_T3_mT4_P12ihipStream_tbEUlT_E1_NS1_11comp_targetILNS1_3genE4ELNS1_11target_archE910ELNS1_3gpuE8ELNS1_3repE0EEENS1_30default_config_static_selectorELNS0_4arch9wavefront6targetE0EEEvS14_.num_named_barrier, 0
	.set _ZN7rocprim17ROCPRIM_400000_NS6detail17trampoline_kernelINS0_14default_configENS1_22reduce_config_selectorIN6thrust23THRUST_200600_302600_NS5tupleIblNS6_9null_typeES8_S8_S8_S8_S8_S8_S8_EEEEZNS1_11reduce_implILb1ES3_NS6_12zip_iteratorINS7_INS6_11hip_rocprim26transform_input_iterator_tIbNSD_35transform_pair_of_input_iterators_tIbNS6_6detail15normal_iteratorINS6_10device_ptrIKdEEEESL_NS6_8equal_toIdEEEENSG_9not_fun_tINSD_8identityEEEEENSD_19counting_iterator_tIlEES8_S8_S8_S8_S8_S8_S8_S8_EEEEPS9_S9_NSD_9__find_if7functorIS9_EEEE10hipError_tPvRmT1_T2_T3_mT4_P12ihipStream_tbEUlT_E1_NS1_11comp_targetILNS1_3genE4ELNS1_11target_archE910ELNS1_3gpuE8ELNS1_3repE0EEENS1_30default_config_static_selectorELNS0_4arch9wavefront6targetE0EEEvS14_.private_seg_size, 0
	.set _ZN7rocprim17ROCPRIM_400000_NS6detail17trampoline_kernelINS0_14default_configENS1_22reduce_config_selectorIN6thrust23THRUST_200600_302600_NS5tupleIblNS6_9null_typeES8_S8_S8_S8_S8_S8_S8_EEEEZNS1_11reduce_implILb1ES3_NS6_12zip_iteratorINS7_INS6_11hip_rocprim26transform_input_iterator_tIbNSD_35transform_pair_of_input_iterators_tIbNS6_6detail15normal_iteratorINS6_10device_ptrIKdEEEESL_NS6_8equal_toIdEEEENSG_9not_fun_tINSD_8identityEEEEENSD_19counting_iterator_tIlEES8_S8_S8_S8_S8_S8_S8_S8_EEEEPS9_S9_NSD_9__find_if7functorIS9_EEEE10hipError_tPvRmT1_T2_T3_mT4_P12ihipStream_tbEUlT_E1_NS1_11comp_targetILNS1_3genE4ELNS1_11target_archE910ELNS1_3gpuE8ELNS1_3repE0EEENS1_30default_config_static_selectorELNS0_4arch9wavefront6targetE0EEEvS14_.uses_vcc, 0
	.set _ZN7rocprim17ROCPRIM_400000_NS6detail17trampoline_kernelINS0_14default_configENS1_22reduce_config_selectorIN6thrust23THRUST_200600_302600_NS5tupleIblNS6_9null_typeES8_S8_S8_S8_S8_S8_S8_EEEEZNS1_11reduce_implILb1ES3_NS6_12zip_iteratorINS7_INS6_11hip_rocprim26transform_input_iterator_tIbNSD_35transform_pair_of_input_iterators_tIbNS6_6detail15normal_iteratorINS6_10device_ptrIKdEEEESL_NS6_8equal_toIdEEEENSG_9not_fun_tINSD_8identityEEEEENSD_19counting_iterator_tIlEES8_S8_S8_S8_S8_S8_S8_S8_EEEEPS9_S9_NSD_9__find_if7functorIS9_EEEE10hipError_tPvRmT1_T2_T3_mT4_P12ihipStream_tbEUlT_E1_NS1_11comp_targetILNS1_3genE4ELNS1_11target_archE910ELNS1_3gpuE8ELNS1_3repE0EEENS1_30default_config_static_selectorELNS0_4arch9wavefront6targetE0EEEvS14_.uses_flat_scratch, 0
	.set _ZN7rocprim17ROCPRIM_400000_NS6detail17trampoline_kernelINS0_14default_configENS1_22reduce_config_selectorIN6thrust23THRUST_200600_302600_NS5tupleIblNS6_9null_typeES8_S8_S8_S8_S8_S8_S8_EEEEZNS1_11reduce_implILb1ES3_NS6_12zip_iteratorINS7_INS6_11hip_rocprim26transform_input_iterator_tIbNSD_35transform_pair_of_input_iterators_tIbNS6_6detail15normal_iteratorINS6_10device_ptrIKdEEEESL_NS6_8equal_toIdEEEENSG_9not_fun_tINSD_8identityEEEEENSD_19counting_iterator_tIlEES8_S8_S8_S8_S8_S8_S8_S8_EEEEPS9_S9_NSD_9__find_if7functorIS9_EEEE10hipError_tPvRmT1_T2_T3_mT4_P12ihipStream_tbEUlT_E1_NS1_11comp_targetILNS1_3genE4ELNS1_11target_archE910ELNS1_3gpuE8ELNS1_3repE0EEENS1_30default_config_static_selectorELNS0_4arch9wavefront6targetE0EEEvS14_.has_dyn_sized_stack, 0
	.set _ZN7rocprim17ROCPRIM_400000_NS6detail17trampoline_kernelINS0_14default_configENS1_22reduce_config_selectorIN6thrust23THRUST_200600_302600_NS5tupleIblNS6_9null_typeES8_S8_S8_S8_S8_S8_S8_EEEEZNS1_11reduce_implILb1ES3_NS6_12zip_iteratorINS7_INS6_11hip_rocprim26transform_input_iterator_tIbNSD_35transform_pair_of_input_iterators_tIbNS6_6detail15normal_iteratorINS6_10device_ptrIKdEEEESL_NS6_8equal_toIdEEEENSG_9not_fun_tINSD_8identityEEEEENSD_19counting_iterator_tIlEES8_S8_S8_S8_S8_S8_S8_S8_EEEEPS9_S9_NSD_9__find_if7functorIS9_EEEE10hipError_tPvRmT1_T2_T3_mT4_P12ihipStream_tbEUlT_E1_NS1_11comp_targetILNS1_3genE4ELNS1_11target_archE910ELNS1_3gpuE8ELNS1_3repE0EEENS1_30default_config_static_selectorELNS0_4arch9wavefront6targetE0EEEvS14_.has_recursion, 0
	.set _ZN7rocprim17ROCPRIM_400000_NS6detail17trampoline_kernelINS0_14default_configENS1_22reduce_config_selectorIN6thrust23THRUST_200600_302600_NS5tupleIblNS6_9null_typeES8_S8_S8_S8_S8_S8_S8_EEEEZNS1_11reduce_implILb1ES3_NS6_12zip_iteratorINS7_INS6_11hip_rocprim26transform_input_iterator_tIbNSD_35transform_pair_of_input_iterators_tIbNS6_6detail15normal_iteratorINS6_10device_ptrIKdEEEESL_NS6_8equal_toIdEEEENSG_9not_fun_tINSD_8identityEEEEENSD_19counting_iterator_tIlEES8_S8_S8_S8_S8_S8_S8_S8_EEEEPS9_S9_NSD_9__find_if7functorIS9_EEEE10hipError_tPvRmT1_T2_T3_mT4_P12ihipStream_tbEUlT_E1_NS1_11comp_targetILNS1_3genE4ELNS1_11target_archE910ELNS1_3gpuE8ELNS1_3repE0EEENS1_30default_config_static_selectorELNS0_4arch9wavefront6targetE0EEEvS14_.has_indirect_call, 0
	.section	.AMDGPU.csdata,"",@progbits
; Kernel info:
; codeLenInByte = 0
; TotalNumSgprs: 0
; NumVgprs: 0
; ScratchSize: 0
; MemoryBound: 0
; FloatMode: 240
; IeeeMode: 1
; LDSByteSize: 0 bytes/workgroup (compile time only)
; SGPRBlocks: 0
; VGPRBlocks: 0
; NumSGPRsForWavesPerEU: 1
; NumVGPRsForWavesPerEU: 1
; Occupancy: 16
; WaveLimiterHint : 0
; COMPUTE_PGM_RSRC2:SCRATCH_EN: 0
; COMPUTE_PGM_RSRC2:USER_SGPR: 6
; COMPUTE_PGM_RSRC2:TRAP_HANDLER: 0
; COMPUTE_PGM_RSRC2:TGID_X_EN: 1
; COMPUTE_PGM_RSRC2:TGID_Y_EN: 0
; COMPUTE_PGM_RSRC2:TGID_Z_EN: 0
; COMPUTE_PGM_RSRC2:TIDIG_COMP_CNT: 0
	.section	.text._ZN7rocprim17ROCPRIM_400000_NS6detail17trampoline_kernelINS0_14default_configENS1_22reduce_config_selectorIN6thrust23THRUST_200600_302600_NS5tupleIblNS6_9null_typeES8_S8_S8_S8_S8_S8_S8_EEEEZNS1_11reduce_implILb1ES3_NS6_12zip_iteratorINS7_INS6_11hip_rocprim26transform_input_iterator_tIbNSD_35transform_pair_of_input_iterators_tIbNS6_6detail15normal_iteratorINS6_10device_ptrIKdEEEESL_NS6_8equal_toIdEEEENSG_9not_fun_tINSD_8identityEEEEENSD_19counting_iterator_tIlEES8_S8_S8_S8_S8_S8_S8_S8_EEEEPS9_S9_NSD_9__find_if7functorIS9_EEEE10hipError_tPvRmT1_T2_T3_mT4_P12ihipStream_tbEUlT_E1_NS1_11comp_targetILNS1_3genE3ELNS1_11target_archE908ELNS1_3gpuE7ELNS1_3repE0EEENS1_30default_config_static_selectorELNS0_4arch9wavefront6targetE0EEEvS14_,"axG",@progbits,_ZN7rocprim17ROCPRIM_400000_NS6detail17trampoline_kernelINS0_14default_configENS1_22reduce_config_selectorIN6thrust23THRUST_200600_302600_NS5tupleIblNS6_9null_typeES8_S8_S8_S8_S8_S8_S8_EEEEZNS1_11reduce_implILb1ES3_NS6_12zip_iteratorINS7_INS6_11hip_rocprim26transform_input_iterator_tIbNSD_35transform_pair_of_input_iterators_tIbNS6_6detail15normal_iteratorINS6_10device_ptrIKdEEEESL_NS6_8equal_toIdEEEENSG_9not_fun_tINSD_8identityEEEEENSD_19counting_iterator_tIlEES8_S8_S8_S8_S8_S8_S8_S8_EEEEPS9_S9_NSD_9__find_if7functorIS9_EEEE10hipError_tPvRmT1_T2_T3_mT4_P12ihipStream_tbEUlT_E1_NS1_11comp_targetILNS1_3genE3ELNS1_11target_archE908ELNS1_3gpuE7ELNS1_3repE0EEENS1_30default_config_static_selectorELNS0_4arch9wavefront6targetE0EEEvS14_,comdat
	.protected	_ZN7rocprim17ROCPRIM_400000_NS6detail17trampoline_kernelINS0_14default_configENS1_22reduce_config_selectorIN6thrust23THRUST_200600_302600_NS5tupleIblNS6_9null_typeES8_S8_S8_S8_S8_S8_S8_EEEEZNS1_11reduce_implILb1ES3_NS6_12zip_iteratorINS7_INS6_11hip_rocprim26transform_input_iterator_tIbNSD_35transform_pair_of_input_iterators_tIbNS6_6detail15normal_iteratorINS6_10device_ptrIKdEEEESL_NS6_8equal_toIdEEEENSG_9not_fun_tINSD_8identityEEEEENSD_19counting_iterator_tIlEES8_S8_S8_S8_S8_S8_S8_S8_EEEEPS9_S9_NSD_9__find_if7functorIS9_EEEE10hipError_tPvRmT1_T2_T3_mT4_P12ihipStream_tbEUlT_E1_NS1_11comp_targetILNS1_3genE3ELNS1_11target_archE908ELNS1_3gpuE7ELNS1_3repE0EEENS1_30default_config_static_selectorELNS0_4arch9wavefront6targetE0EEEvS14_ ; -- Begin function _ZN7rocprim17ROCPRIM_400000_NS6detail17trampoline_kernelINS0_14default_configENS1_22reduce_config_selectorIN6thrust23THRUST_200600_302600_NS5tupleIblNS6_9null_typeES8_S8_S8_S8_S8_S8_S8_EEEEZNS1_11reduce_implILb1ES3_NS6_12zip_iteratorINS7_INS6_11hip_rocprim26transform_input_iterator_tIbNSD_35transform_pair_of_input_iterators_tIbNS6_6detail15normal_iteratorINS6_10device_ptrIKdEEEESL_NS6_8equal_toIdEEEENSG_9not_fun_tINSD_8identityEEEEENSD_19counting_iterator_tIlEES8_S8_S8_S8_S8_S8_S8_S8_EEEEPS9_S9_NSD_9__find_if7functorIS9_EEEE10hipError_tPvRmT1_T2_T3_mT4_P12ihipStream_tbEUlT_E1_NS1_11comp_targetILNS1_3genE3ELNS1_11target_archE908ELNS1_3gpuE7ELNS1_3repE0EEENS1_30default_config_static_selectorELNS0_4arch9wavefront6targetE0EEEvS14_
	.globl	_ZN7rocprim17ROCPRIM_400000_NS6detail17trampoline_kernelINS0_14default_configENS1_22reduce_config_selectorIN6thrust23THRUST_200600_302600_NS5tupleIblNS6_9null_typeES8_S8_S8_S8_S8_S8_S8_EEEEZNS1_11reduce_implILb1ES3_NS6_12zip_iteratorINS7_INS6_11hip_rocprim26transform_input_iterator_tIbNSD_35transform_pair_of_input_iterators_tIbNS6_6detail15normal_iteratorINS6_10device_ptrIKdEEEESL_NS6_8equal_toIdEEEENSG_9not_fun_tINSD_8identityEEEEENSD_19counting_iterator_tIlEES8_S8_S8_S8_S8_S8_S8_S8_EEEEPS9_S9_NSD_9__find_if7functorIS9_EEEE10hipError_tPvRmT1_T2_T3_mT4_P12ihipStream_tbEUlT_E1_NS1_11comp_targetILNS1_3genE3ELNS1_11target_archE908ELNS1_3gpuE7ELNS1_3repE0EEENS1_30default_config_static_selectorELNS0_4arch9wavefront6targetE0EEEvS14_
	.p2align	8
	.type	_ZN7rocprim17ROCPRIM_400000_NS6detail17trampoline_kernelINS0_14default_configENS1_22reduce_config_selectorIN6thrust23THRUST_200600_302600_NS5tupleIblNS6_9null_typeES8_S8_S8_S8_S8_S8_S8_EEEEZNS1_11reduce_implILb1ES3_NS6_12zip_iteratorINS7_INS6_11hip_rocprim26transform_input_iterator_tIbNSD_35transform_pair_of_input_iterators_tIbNS6_6detail15normal_iteratorINS6_10device_ptrIKdEEEESL_NS6_8equal_toIdEEEENSG_9not_fun_tINSD_8identityEEEEENSD_19counting_iterator_tIlEES8_S8_S8_S8_S8_S8_S8_S8_EEEEPS9_S9_NSD_9__find_if7functorIS9_EEEE10hipError_tPvRmT1_T2_T3_mT4_P12ihipStream_tbEUlT_E1_NS1_11comp_targetILNS1_3genE3ELNS1_11target_archE908ELNS1_3gpuE7ELNS1_3repE0EEENS1_30default_config_static_selectorELNS0_4arch9wavefront6targetE0EEEvS14_,@function
_ZN7rocprim17ROCPRIM_400000_NS6detail17trampoline_kernelINS0_14default_configENS1_22reduce_config_selectorIN6thrust23THRUST_200600_302600_NS5tupleIblNS6_9null_typeES8_S8_S8_S8_S8_S8_S8_EEEEZNS1_11reduce_implILb1ES3_NS6_12zip_iteratorINS7_INS6_11hip_rocprim26transform_input_iterator_tIbNSD_35transform_pair_of_input_iterators_tIbNS6_6detail15normal_iteratorINS6_10device_ptrIKdEEEESL_NS6_8equal_toIdEEEENSG_9not_fun_tINSD_8identityEEEEENSD_19counting_iterator_tIlEES8_S8_S8_S8_S8_S8_S8_S8_EEEEPS9_S9_NSD_9__find_if7functorIS9_EEEE10hipError_tPvRmT1_T2_T3_mT4_P12ihipStream_tbEUlT_E1_NS1_11comp_targetILNS1_3genE3ELNS1_11target_archE908ELNS1_3gpuE7ELNS1_3repE0EEENS1_30default_config_static_selectorELNS0_4arch9wavefront6targetE0EEEvS14_: ; @_ZN7rocprim17ROCPRIM_400000_NS6detail17trampoline_kernelINS0_14default_configENS1_22reduce_config_selectorIN6thrust23THRUST_200600_302600_NS5tupleIblNS6_9null_typeES8_S8_S8_S8_S8_S8_S8_EEEEZNS1_11reduce_implILb1ES3_NS6_12zip_iteratorINS7_INS6_11hip_rocprim26transform_input_iterator_tIbNSD_35transform_pair_of_input_iterators_tIbNS6_6detail15normal_iteratorINS6_10device_ptrIKdEEEESL_NS6_8equal_toIdEEEENSG_9not_fun_tINSD_8identityEEEEENSD_19counting_iterator_tIlEES8_S8_S8_S8_S8_S8_S8_S8_EEEEPS9_S9_NSD_9__find_if7functorIS9_EEEE10hipError_tPvRmT1_T2_T3_mT4_P12ihipStream_tbEUlT_E1_NS1_11comp_targetILNS1_3genE3ELNS1_11target_archE908ELNS1_3gpuE7ELNS1_3repE0EEENS1_30default_config_static_selectorELNS0_4arch9wavefront6targetE0EEEvS14_
; %bb.0:
	.section	.rodata,"a",@progbits
	.p2align	6, 0x0
	.amdhsa_kernel _ZN7rocprim17ROCPRIM_400000_NS6detail17trampoline_kernelINS0_14default_configENS1_22reduce_config_selectorIN6thrust23THRUST_200600_302600_NS5tupleIblNS6_9null_typeES8_S8_S8_S8_S8_S8_S8_EEEEZNS1_11reduce_implILb1ES3_NS6_12zip_iteratorINS7_INS6_11hip_rocprim26transform_input_iterator_tIbNSD_35transform_pair_of_input_iterators_tIbNS6_6detail15normal_iteratorINS6_10device_ptrIKdEEEESL_NS6_8equal_toIdEEEENSG_9not_fun_tINSD_8identityEEEEENSD_19counting_iterator_tIlEES8_S8_S8_S8_S8_S8_S8_S8_EEEEPS9_S9_NSD_9__find_if7functorIS9_EEEE10hipError_tPvRmT1_T2_T3_mT4_P12ihipStream_tbEUlT_E1_NS1_11comp_targetILNS1_3genE3ELNS1_11target_archE908ELNS1_3gpuE7ELNS1_3repE0EEENS1_30default_config_static_selectorELNS0_4arch9wavefront6targetE0EEEvS14_
		.amdhsa_group_segment_fixed_size 0
		.amdhsa_private_segment_fixed_size 0
		.amdhsa_kernarg_size 88
		.amdhsa_user_sgpr_count 6
		.amdhsa_user_sgpr_private_segment_buffer 1
		.amdhsa_user_sgpr_dispatch_ptr 0
		.amdhsa_user_sgpr_queue_ptr 0
		.amdhsa_user_sgpr_kernarg_segment_ptr 1
		.amdhsa_user_sgpr_dispatch_id 0
		.amdhsa_user_sgpr_flat_scratch_init 0
		.amdhsa_user_sgpr_private_segment_size 0
		.amdhsa_wavefront_size32 1
		.amdhsa_uses_dynamic_stack 0
		.amdhsa_system_sgpr_private_segment_wavefront_offset 0
		.amdhsa_system_sgpr_workgroup_id_x 1
		.amdhsa_system_sgpr_workgroup_id_y 0
		.amdhsa_system_sgpr_workgroup_id_z 0
		.amdhsa_system_sgpr_workgroup_info 0
		.amdhsa_system_vgpr_workitem_id 0
		.amdhsa_next_free_vgpr 1
		.amdhsa_next_free_sgpr 1
		.amdhsa_reserve_vcc 0
		.amdhsa_reserve_flat_scratch 0
		.amdhsa_float_round_mode_32 0
		.amdhsa_float_round_mode_16_64 0
		.amdhsa_float_denorm_mode_32 3
		.amdhsa_float_denorm_mode_16_64 3
		.amdhsa_dx10_clamp 1
		.amdhsa_ieee_mode 1
		.amdhsa_fp16_overflow 0
		.amdhsa_workgroup_processor_mode 1
		.amdhsa_memory_ordered 1
		.amdhsa_forward_progress 1
		.amdhsa_shared_vgpr_count 0
		.amdhsa_exception_fp_ieee_invalid_op 0
		.amdhsa_exception_fp_denorm_src 0
		.amdhsa_exception_fp_ieee_div_zero 0
		.amdhsa_exception_fp_ieee_overflow 0
		.amdhsa_exception_fp_ieee_underflow 0
		.amdhsa_exception_fp_ieee_inexact 0
		.amdhsa_exception_int_div_zero 0
	.end_amdhsa_kernel
	.section	.text._ZN7rocprim17ROCPRIM_400000_NS6detail17trampoline_kernelINS0_14default_configENS1_22reduce_config_selectorIN6thrust23THRUST_200600_302600_NS5tupleIblNS6_9null_typeES8_S8_S8_S8_S8_S8_S8_EEEEZNS1_11reduce_implILb1ES3_NS6_12zip_iteratorINS7_INS6_11hip_rocprim26transform_input_iterator_tIbNSD_35transform_pair_of_input_iterators_tIbNS6_6detail15normal_iteratorINS6_10device_ptrIKdEEEESL_NS6_8equal_toIdEEEENSG_9not_fun_tINSD_8identityEEEEENSD_19counting_iterator_tIlEES8_S8_S8_S8_S8_S8_S8_S8_EEEEPS9_S9_NSD_9__find_if7functorIS9_EEEE10hipError_tPvRmT1_T2_T3_mT4_P12ihipStream_tbEUlT_E1_NS1_11comp_targetILNS1_3genE3ELNS1_11target_archE908ELNS1_3gpuE7ELNS1_3repE0EEENS1_30default_config_static_selectorELNS0_4arch9wavefront6targetE0EEEvS14_,"axG",@progbits,_ZN7rocprim17ROCPRIM_400000_NS6detail17trampoline_kernelINS0_14default_configENS1_22reduce_config_selectorIN6thrust23THRUST_200600_302600_NS5tupleIblNS6_9null_typeES8_S8_S8_S8_S8_S8_S8_EEEEZNS1_11reduce_implILb1ES3_NS6_12zip_iteratorINS7_INS6_11hip_rocprim26transform_input_iterator_tIbNSD_35transform_pair_of_input_iterators_tIbNS6_6detail15normal_iteratorINS6_10device_ptrIKdEEEESL_NS6_8equal_toIdEEEENSG_9not_fun_tINSD_8identityEEEEENSD_19counting_iterator_tIlEES8_S8_S8_S8_S8_S8_S8_S8_EEEEPS9_S9_NSD_9__find_if7functorIS9_EEEE10hipError_tPvRmT1_T2_T3_mT4_P12ihipStream_tbEUlT_E1_NS1_11comp_targetILNS1_3genE3ELNS1_11target_archE908ELNS1_3gpuE7ELNS1_3repE0EEENS1_30default_config_static_selectorELNS0_4arch9wavefront6targetE0EEEvS14_,comdat
.Lfunc_end49:
	.size	_ZN7rocprim17ROCPRIM_400000_NS6detail17trampoline_kernelINS0_14default_configENS1_22reduce_config_selectorIN6thrust23THRUST_200600_302600_NS5tupleIblNS6_9null_typeES8_S8_S8_S8_S8_S8_S8_EEEEZNS1_11reduce_implILb1ES3_NS6_12zip_iteratorINS7_INS6_11hip_rocprim26transform_input_iterator_tIbNSD_35transform_pair_of_input_iterators_tIbNS6_6detail15normal_iteratorINS6_10device_ptrIKdEEEESL_NS6_8equal_toIdEEEENSG_9not_fun_tINSD_8identityEEEEENSD_19counting_iterator_tIlEES8_S8_S8_S8_S8_S8_S8_S8_EEEEPS9_S9_NSD_9__find_if7functorIS9_EEEE10hipError_tPvRmT1_T2_T3_mT4_P12ihipStream_tbEUlT_E1_NS1_11comp_targetILNS1_3genE3ELNS1_11target_archE908ELNS1_3gpuE7ELNS1_3repE0EEENS1_30default_config_static_selectorELNS0_4arch9wavefront6targetE0EEEvS14_, .Lfunc_end49-_ZN7rocprim17ROCPRIM_400000_NS6detail17trampoline_kernelINS0_14default_configENS1_22reduce_config_selectorIN6thrust23THRUST_200600_302600_NS5tupleIblNS6_9null_typeES8_S8_S8_S8_S8_S8_S8_EEEEZNS1_11reduce_implILb1ES3_NS6_12zip_iteratorINS7_INS6_11hip_rocprim26transform_input_iterator_tIbNSD_35transform_pair_of_input_iterators_tIbNS6_6detail15normal_iteratorINS6_10device_ptrIKdEEEESL_NS6_8equal_toIdEEEENSG_9not_fun_tINSD_8identityEEEEENSD_19counting_iterator_tIlEES8_S8_S8_S8_S8_S8_S8_S8_EEEEPS9_S9_NSD_9__find_if7functorIS9_EEEE10hipError_tPvRmT1_T2_T3_mT4_P12ihipStream_tbEUlT_E1_NS1_11comp_targetILNS1_3genE3ELNS1_11target_archE908ELNS1_3gpuE7ELNS1_3repE0EEENS1_30default_config_static_selectorELNS0_4arch9wavefront6targetE0EEEvS14_
                                        ; -- End function
	.set _ZN7rocprim17ROCPRIM_400000_NS6detail17trampoline_kernelINS0_14default_configENS1_22reduce_config_selectorIN6thrust23THRUST_200600_302600_NS5tupleIblNS6_9null_typeES8_S8_S8_S8_S8_S8_S8_EEEEZNS1_11reduce_implILb1ES3_NS6_12zip_iteratorINS7_INS6_11hip_rocprim26transform_input_iterator_tIbNSD_35transform_pair_of_input_iterators_tIbNS6_6detail15normal_iteratorINS6_10device_ptrIKdEEEESL_NS6_8equal_toIdEEEENSG_9not_fun_tINSD_8identityEEEEENSD_19counting_iterator_tIlEES8_S8_S8_S8_S8_S8_S8_S8_EEEEPS9_S9_NSD_9__find_if7functorIS9_EEEE10hipError_tPvRmT1_T2_T3_mT4_P12ihipStream_tbEUlT_E1_NS1_11comp_targetILNS1_3genE3ELNS1_11target_archE908ELNS1_3gpuE7ELNS1_3repE0EEENS1_30default_config_static_selectorELNS0_4arch9wavefront6targetE0EEEvS14_.num_vgpr, 0
	.set _ZN7rocprim17ROCPRIM_400000_NS6detail17trampoline_kernelINS0_14default_configENS1_22reduce_config_selectorIN6thrust23THRUST_200600_302600_NS5tupleIblNS6_9null_typeES8_S8_S8_S8_S8_S8_S8_EEEEZNS1_11reduce_implILb1ES3_NS6_12zip_iteratorINS7_INS6_11hip_rocprim26transform_input_iterator_tIbNSD_35transform_pair_of_input_iterators_tIbNS6_6detail15normal_iteratorINS6_10device_ptrIKdEEEESL_NS6_8equal_toIdEEEENSG_9not_fun_tINSD_8identityEEEEENSD_19counting_iterator_tIlEES8_S8_S8_S8_S8_S8_S8_S8_EEEEPS9_S9_NSD_9__find_if7functorIS9_EEEE10hipError_tPvRmT1_T2_T3_mT4_P12ihipStream_tbEUlT_E1_NS1_11comp_targetILNS1_3genE3ELNS1_11target_archE908ELNS1_3gpuE7ELNS1_3repE0EEENS1_30default_config_static_selectorELNS0_4arch9wavefront6targetE0EEEvS14_.num_agpr, 0
	.set _ZN7rocprim17ROCPRIM_400000_NS6detail17trampoline_kernelINS0_14default_configENS1_22reduce_config_selectorIN6thrust23THRUST_200600_302600_NS5tupleIblNS6_9null_typeES8_S8_S8_S8_S8_S8_S8_EEEEZNS1_11reduce_implILb1ES3_NS6_12zip_iteratorINS7_INS6_11hip_rocprim26transform_input_iterator_tIbNSD_35transform_pair_of_input_iterators_tIbNS6_6detail15normal_iteratorINS6_10device_ptrIKdEEEESL_NS6_8equal_toIdEEEENSG_9not_fun_tINSD_8identityEEEEENSD_19counting_iterator_tIlEES8_S8_S8_S8_S8_S8_S8_S8_EEEEPS9_S9_NSD_9__find_if7functorIS9_EEEE10hipError_tPvRmT1_T2_T3_mT4_P12ihipStream_tbEUlT_E1_NS1_11comp_targetILNS1_3genE3ELNS1_11target_archE908ELNS1_3gpuE7ELNS1_3repE0EEENS1_30default_config_static_selectorELNS0_4arch9wavefront6targetE0EEEvS14_.numbered_sgpr, 0
	.set _ZN7rocprim17ROCPRIM_400000_NS6detail17trampoline_kernelINS0_14default_configENS1_22reduce_config_selectorIN6thrust23THRUST_200600_302600_NS5tupleIblNS6_9null_typeES8_S8_S8_S8_S8_S8_S8_EEEEZNS1_11reduce_implILb1ES3_NS6_12zip_iteratorINS7_INS6_11hip_rocprim26transform_input_iterator_tIbNSD_35transform_pair_of_input_iterators_tIbNS6_6detail15normal_iteratorINS6_10device_ptrIKdEEEESL_NS6_8equal_toIdEEEENSG_9not_fun_tINSD_8identityEEEEENSD_19counting_iterator_tIlEES8_S8_S8_S8_S8_S8_S8_S8_EEEEPS9_S9_NSD_9__find_if7functorIS9_EEEE10hipError_tPvRmT1_T2_T3_mT4_P12ihipStream_tbEUlT_E1_NS1_11comp_targetILNS1_3genE3ELNS1_11target_archE908ELNS1_3gpuE7ELNS1_3repE0EEENS1_30default_config_static_selectorELNS0_4arch9wavefront6targetE0EEEvS14_.num_named_barrier, 0
	.set _ZN7rocprim17ROCPRIM_400000_NS6detail17trampoline_kernelINS0_14default_configENS1_22reduce_config_selectorIN6thrust23THRUST_200600_302600_NS5tupleIblNS6_9null_typeES8_S8_S8_S8_S8_S8_S8_EEEEZNS1_11reduce_implILb1ES3_NS6_12zip_iteratorINS7_INS6_11hip_rocprim26transform_input_iterator_tIbNSD_35transform_pair_of_input_iterators_tIbNS6_6detail15normal_iteratorINS6_10device_ptrIKdEEEESL_NS6_8equal_toIdEEEENSG_9not_fun_tINSD_8identityEEEEENSD_19counting_iterator_tIlEES8_S8_S8_S8_S8_S8_S8_S8_EEEEPS9_S9_NSD_9__find_if7functorIS9_EEEE10hipError_tPvRmT1_T2_T3_mT4_P12ihipStream_tbEUlT_E1_NS1_11comp_targetILNS1_3genE3ELNS1_11target_archE908ELNS1_3gpuE7ELNS1_3repE0EEENS1_30default_config_static_selectorELNS0_4arch9wavefront6targetE0EEEvS14_.private_seg_size, 0
	.set _ZN7rocprim17ROCPRIM_400000_NS6detail17trampoline_kernelINS0_14default_configENS1_22reduce_config_selectorIN6thrust23THRUST_200600_302600_NS5tupleIblNS6_9null_typeES8_S8_S8_S8_S8_S8_S8_EEEEZNS1_11reduce_implILb1ES3_NS6_12zip_iteratorINS7_INS6_11hip_rocprim26transform_input_iterator_tIbNSD_35transform_pair_of_input_iterators_tIbNS6_6detail15normal_iteratorINS6_10device_ptrIKdEEEESL_NS6_8equal_toIdEEEENSG_9not_fun_tINSD_8identityEEEEENSD_19counting_iterator_tIlEES8_S8_S8_S8_S8_S8_S8_S8_EEEEPS9_S9_NSD_9__find_if7functorIS9_EEEE10hipError_tPvRmT1_T2_T3_mT4_P12ihipStream_tbEUlT_E1_NS1_11comp_targetILNS1_3genE3ELNS1_11target_archE908ELNS1_3gpuE7ELNS1_3repE0EEENS1_30default_config_static_selectorELNS0_4arch9wavefront6targetE0EEEvS14_.uses_vcc, 0
	.set _ZN7rocprim17ROCPRIM_400000_NS6detail17trampoline_kernelINS0_14default_configENS1_22reduce_config_selectorIN6thrust23THRUST_200600_302600_NS5tupleIblNS6_9null_typeES8_S8_S8_S8_S8_S8_S8_EEEEZNS1_11reduce_implILb1ES3_NS6_12zip_iteratorINS7_INS6_11hip_rocprim26transform_input_iterator_tIbNSD_35transform_pair_of_input_iterators_tIbNS6_6detail15normal_iteratorINS6_10device_ptrIKdEEEESL_NS6_8equal_toIdEEEENSG_9not_fun_tINSD_8identityEEEEENSD_19counting_iterator_tIlEES8_S8_S8_S8_S8_S8_S8_S8_EEEEPS9_S9_NSD_9__find_if7functorIS9_EEEE10hipError_tPvRmT1_T2_T3_mT4_P12ihipStream_tbEUlT_E1_NS1_11comp_targetILNS1_3genE3ELNS1_11target_archE908ELNS1_3gpuE7ELNS1_3repE0EEENS1_30default_config_static_selectorELNS0_4arch9wavefront6targetE0EEEvS14_.uses_flat_scratch, 0
	.set _ZN7rocprim17ROCPRIM_400000_NS6detail17trampoline_kernelINS0_14default_configENS1_22reduce_config_selectorIN6thrust23THRUST_200600_302600_NS5tupleIblNS6_9null_typeES8_S8_S8_S8_S8_S8_S8_EEEEZNS1_11reduce_implILb1ES3_NS6_12zip_iteratorINS7_INS6_11hip_rocprim26transform_input_iterator_tIbNSD_35transform_pair_of_input_iterators_tIbNS6_6detail15normal_iteratorINS6_10device_ptrIKdEEEESL_NS6_8equal_toIdEEEENSG_9not_fun_tINSD_8identityEEEEENSD_19counting_iterator_tIlEES8_S8_S8_S8_S8_S8_S8_S8_EEEEPS9_S9_NSD_9__find_if7functorIS9_EEEE10hipError_tPvRmT1_T2_T3_mT4_P12ihipStream_tbEUlT_E1_NS1_11comp_targetILNS1_3genE3ELNS1_11target_archE908ELNS1_3gpuE7ELNS1_3repE0EEENS1_30default_config_static_selectorELNS0_4arch9wavefront6targetE0EEEvS14_.has_dyn_sized_stack, 0
	.set _ZN7rocprim17ROCPRIM_400000_NS6detail17trampoline_kernelINS0_14default_configENS1_22reduce_config_selectorIN6thrust23THRUST_200600_302600_NS5tupleIblNS6_9null_typeES8_S8_S8_S8_S8_S8_S8_EEEEZNS1_11reduce_implILb1ES3_NS6_12zip_iteratorINS7_INS6_11hip_rocprim26transform_input_iterator_tIbNSD_35transform_pair_of_input_iterators_tIbNS6_6detail15normal_iteratorINS6_10device_ptrIKdEEEESL_NS6_8equal_toIdEEEENSG_9not_fun_tINSD_8identityEEEEENSD_19counting_iterator_tIlEES8_S8_S8_S8_S8_S8_S8_S8_EEEEPS9_S9_NSD_9__find_if7functorIS9_EEEE10hipError_tPvRmT1_T2_T3_mT4_P12ihipStream_tbEUlT_E1_NS1_11comp_targetILNS1_3genE3ELNS1_11target_archE908ELNS1_3gpuE7ELNS1_3repE0EEENS1_30default_config_static_selectorELNS0_4arch9wavefront6targetE0EEEvS14_.has_recursion, 0
	.set _ZN7rocprim17ROCPRIM_400000_NS6detail17trampoline_kernelINS0_14default_configENS1_22reduce_config_selectorIN6thrust23THRUST_200600_302600_NS5tupleIblNS6_9null_typeES8_S8_S8_S8_S8_S8_S8_EEEEZNS1_11reduce_implILb1ES3_NS6_12zip_iteratorINS7_INS6_11hip_rocprim26transform_input_iterator_tIbNSD_35transform_pair_of_input_iterators_tIbNS6_6detail15normal_iteratorINS6_10device_ptrIKdEEEESL_NS6_8equal_toIdEEEENSG_9not_fun_tINSD_8identityEEEEENSD_19counting_iterator_tIlEES8_S8_S8_S8_S8_S8_S8_S8_EEEEPS9_S9_NSD_9__find_if7functorIS9_EEEE10hipError_tPvRmT1_T2_T3_mT4_P12ihipStream_tbEUlT_E1_NS1_11comp_targetILNS1_3genE3ELNS1_11target_archE908ELNS1_3gpuE7ELNS1_3repE0EEENS1_30default_config_static_selectorELNS0_4arch9wavefront6targetE0EEEvS14_.has_indirect_call, 0
	.section	.AMDGPU.csdata,"",@progbits
; Kernel info:
; codeLenInByte = 0
; TotalNumSgprs: 0
; NumVgprs: 0
; ScratchSize: 0
; MemoryBound: 0
; FloatMode: 240
; IeeeMode: 1
; LDSByteSize: 0 bytes/workgroup (compile time only)
; SGPRBlocks: 0
; VGPRBlocks: 0
; NumSGPRsForWavesPerEU: 1
; NumVGPRsForWavesPerEU: 1
; Occupancy: 16
; WaveLimiterHint : 0
; COMPUTE_PGM_RSRC2:SCRATCH_EN: 0
; COMPUTE_PGM_RSRC2:USER_SGPR: 6
; COMPUTE_PGM_RSRC2:TRAP_HANDLER: 0
; COMPUTE_PGM_RSRC2:TGID_X_EN: 1
; COMPUTE_PGM_RSRC2:TGID_Y_EN: 0
; COMPUTE_PGM_RSRC2:TGID_Z_EN: 0
; COMPUTE_PGM_RSRC2:TIDIG_COMP_CNT: 0
	.section	.text._ZN7rocprim17ROCPRIM_400000_NS6detail17trampoline_kernelINS0_14default_configENS1_22reduce_config_selectorIN6thrust23THRUST_200600_302600_NS5tupleIblNS6_9null_typeES8_S8_S8_S8_S8_S8_S8_EEEEZNS1_11reduce_implILb1ES3_NS6_12zip_iteratorINS7_INS6_11hip_rocprim26transform_input_iterator_tIbNSD_35transform_pair_of_input_iterators_tIbNS6_6detail15normal_iteratorINS6_10device_ptrIKdEEEESL_NS6_8equal_toIdEEEENSG_9not_fun_tINSD_8identityEEEEENSD_19counting_iterator_tIlEES8_S8_S8_S8_S8_S8_S8_S8_EEEEPS9_S9_NSD_9__find_if7functorIS9_EEEE10hipError_tPvRmT1_T2_T3_mT4_P12ihipStream_tbEUlT_E1_NS1_11comp_targetILNS1_3genE2ELNS1_11target_archE906ELNS1_3gpuE6ELNS1_3repE0EEENS1_30default_config_static_selectorELNS0_4arch9wavefront6targetE0EEEvS14_,"axG",@progbits,_ZN7rocprim17ROCPRIM_400000_NS6detail17trampoline_kernelINS0_14default_configENS1_22reduce_config_selectorIN6thrust23THRUST_200600_302600_NS5tupleIblNS6_9null_typeES8_S8_S8_S8_S8_S8_S8_EEEEZNS1_11reduce_implILb1ES3_NS6_12zip_iteratorINS7_INS6_11hip_rocprim26transform_input_iterator_tIbNSD_35transform_pair_of_input_iterators_tIbNS6_6detail15normal_iteratorINS6_10device_ptrIKdEEEESL_NS6_8equal_toIdEEEENSG_9not_fun_tINSD_8identityEEEEENSD_19counting_iterator_tIlEES8_S8_S8_S8_S8_S8_S8_S8_EEEEPS9_S9_NSD_9__find_if7functorIS9_EEEE10hipError_tPvRmT1_T2_T3_mT4_P12ihipStream_tbEUlT_E1_NS1_11comp_targetILNS1_3genE2ELNS1_11target_archE906ELNS1_3gpuE6ELNS1_3repE0EEENS1_30default_config_static_selectorELNS0_4arch9wavefront6targetE0EEEvS14_,comdat
	.protected	_ZN7rocprim17ROCPRIM_400000_NS6detail17trampoline_kernelINS0_14default_configENS1_22reduce_config_selectorIN6thrust23THRUST_200600_302600_NS5tupleIblNS6_9null_typeES8_S8_S8_S8_S8_S8_S8_EEEEZNS1_11reduce_implILb1ES3_NS6_12zip_iteratorINS7_INS6_11hip_rocprim26transform_input_iterator_tIbNSD_35transform_pair_of_input_iterators_tIbNS6_6detail15normal_iteratorINS6_10device_ptrIKdEEEESL_NS6_8equal_toIdEEEENSG_9not_fun_tINSD_8identityEEEEENSD_19counting_iterator_tIlEES8_S8_S8_S8_S8_S8_S8_S8_EEEEPS9_S9_NSD_9__find_if7functorIS9_EEEE10hipError_tPvRmT1_T2_T3_mT4_P12ihipStream_tbEUlT_E1_NS1_11comp_targetILNS1_3genE2ELNS1_11target_archE906ELNS1_3gpuE6ELNS1_3repE0EEENS1_30default_config_static_selectorELNS0_4arch9wavefront6targetE0EEEvS14_ ; -- Begin function _ZN7rocprim17ROCPRIM_400000_NS6detail17trampoline_kernelINS0_14default_configENS1_22reduce_config_selectorIN6thrust23THRUST_200600_302600_NS5tupleIblNS6_9null_typeES8_S8_S8_S8_S8_S8_S8_EEEEZNS1_11reduce_implILb1ES3_NS6_12zip_iteratorINS7_INS6_11hip_rocprim26transform_input_iterator_tIbNSD_35transform_pair_of_input_iterators_tIbNS6_6detail15normal_iteratorINS6_10device_ptrIKdEEEESL_NS6_8equal_toIdEEEENSG_9not_fun_tINSD_8identityEEEEENSD_19counting_iterator_tIlEES8_S8_S8_S8_S8_S8_S8_S8_EEEEPS9_S9_NSD_9__find_if7functorIS9_EEEE10hipError_tPvRmT1_T2_T3_mT4_P12ihipStream_tbEUlT_E1_NS1_11comp_targetILNS1_3genE2ELNS1_11target_archE906ELNS1_3gpuE6ELNS1_3repE0EEENS1_30default_config_static_selectorELNS0_4arch9wavefront6targetE0EEEvS14_
	.globl	_ZN7rocprim17ROCPRIM_400000_NS6detail17trampoline_kernelINS0_14default_configENS1_22reduce_config_selectorIN6thrust23THRUST_200600_302600_NS5tupleIblNS6_9null_typeES8_S8_S8_S8_S8_S8_S8_EEEEZNS1_11reduce_implILb1ES3_NS6_12zip_iteratorINS7_INS6_11hip_rocprim26transform_input_iterator_tIbNSD_35transform_pair_of_input_iterators_tIbNS6_6detail15normal_iteratorINS6_10device_ptrIKdEEEESL_NS6_8equal_toIdEEEENSG_9not_fun_tINSD_8identityEEEEENSD_19counting_iterator_tIlEES8_S8_S8_S8_S8_S8_S8_S8_EEEEPS9_S9_NSD_9__find_if7functorIS9_EEEE10hipError_tPvRmT1_T2_T3_mT4_P12ihipStream_tbEUlT_E1_NS1_11comp_targetILNS1_3genE2ELNS1_11target_archE906ELNS1_3gpuE6ELNS1_3repE0EEENS1_30default_config_static_selectorELNS0_4arch9wavefront6targetE0EEEvS14_
	.p2align	8
	.type	_ZN7rocprim17ROCPRIM_400000_NS6detail17trampoline_kernelINS0_14default_configENS1_22reduce_config_selectorIN6thrust23THRUST_200600_302600_NS5tupleIblNS6_9null_typeES8_S8_S8_S8_S8_S8_S8_EEEEZNS1_11reduce_implILb1ES3_NS6_12zip_iteratorINS7_INS6_11hip_rocprim26transform_input_iterator_tIbNSD_35transform_pair_of_input_iterators_tIbNS6_6detail15normal_iteratorINS6_10device_ptrIKdEEEESL_NS6_8equal_toIdEEEENSG_9not_fun_tINSD_8identityEEEEENSD_19counting_iterator_tIlEES8_S8_S8_S8_S8_S8_S8_S8_EEEEPS9_S9_NSD_9__find_if7functorIS9_EEEE10hipError_tPvRmT1_T2_T3_mT4_P12ihipStream_tbEUlT_E1_NS1_11comp_targetILNS1_3genE2ELNS1_11target_archE906ELNS1_3gpuE6ELNS1_3repE0EEENS1_30default_config_static_selectorELNS0_4arch9wavefront6targetE0EEEvS14_,@function
_ZN7rocprim17ROCPRIM_400000_NS6detail17trampoline_kernelINS0_14default_configENS1_22reduce_config_selectorIN6thrust23THRUST_200600_302600_NS5tupleIblNS6_9null_typeES8_S8_S8_S8_S8_S8_S8_EEEEZNS1_11reduce_implILb1ES3_NS6_12zip_iteratorINS7_INS6_11hip_rocprim26transform_input_iterator_tIbNSD_35transform_pair_of_input_iterators_tIbNS6_6detail15normal_iteratorINS6_10device_ptrIKdEEEESL_NS6_8equal_toIdEEEENSG_9not_fun_tINSD_8identityEEEEENSD_19counting_iterator_tIlEES8_S8_S8_S8_S8_S8_S8_S8_EEEEPS9_S9_NSD_9__find_if7functorIS9_EEEE10hipError_tPvRmT1_T2_T3_mT4_P12ihipStream_tbEUlT_E1_NS1_11comp_targetILNS1_3genE2ELNS1_11target_archE906ELNS1_3gpuE6ELNS1_3repE0EEENS1_30default_config_static_selectorELNS0_4arch9wavefront6targetE0EEEvS14_: ; @_ZN7rocprim17ROCPRIM_400000_NS6detail17trampoline_kernelINS0_14default_configENS1_22reduce_config_selectorIN6thrust23THRUST_200600_302600_NS5tupleIblNS6_9null_typeES8_S8_S8_S8_S8_S8_S8_EEEEZNS1_11reduce_implILb1ES3_NS6_12zip_iteratorINS7_INS6_11hip_rocprim26transform_input_iterator_tIbNSD_35transform_pair_of_input_iterators_tIbNS6_6detail15normal_iteratorINS6_10device_ptrIKdEEEESL_NS6_8equal_toIdEEEENSG_9not_fun_tINSD_8identityEEEEENSD_19counting_iterator_tIlEES8_S8_S8_S8_S8_S8_S8_S8_EEEEPS9_S9_NSD_9__find_if7functorIS9_EEEE10hipError_tPvRmT1_T2_T3_mT4_P12ihipStream_tbEUlT_E1_NS1_11comp_targetILNS1_3genE2ELNS1_11target_archE906ELNS1_3gpuE6ELNS1_3repE0EEENS1_30default_config_static_selectorELNS0_4arch9wavefront6targetE0EEEvS14_
; %bb.0:
	.section	.rodata,"a",@progbits
	.p2align	6, 0x0
	.amdhsa_kernel _ZN7rocprim17ROCPRIM_400000_NS6detail17trampoline_kernelINS0_14default_configENS1_22reduce_config_selectorIN6thrust23THRUST_200600_302600_NS5tupleIblNS6_9null_typeES8_S8_S8_S8_S8_S8_S8_EEEEZNS1_11reduce_implILb1ES3_NS6_12zip_iteratorINS7_INS6_11hip_rocprim26transform_input_iterator_tIbNSD_35transform_pair_of_input_iterators_tIbNS6_6detail15normal_iteratorINS6_10device_ptrIKdEEEESL_NS6_8equal_toIdEEEENSG_9not_fun_tINSD_8identityEEEEENSD_19counting_iterator_tIlEES8_S8_S8_S8_S8_S8_S8_S8_EEEEPS9_S9_NSD_9__find_if7functorIS9_EEEE10hipError_tPvRmT1_T2_T3_mT4_P12ihipStream_tbEUlT_E1_NS1_11comp_targetILNS1_3genE2ELNS1_11target_archE906ELNS1_3gpuE6ELNS1_3repE0EEENS1_30default_config_static_selectorELNS0_4arch9wavefront6targetE0EEEvS14_
		.amdhsa_group_segment_fixed_size 0
		.amdhsa_private_segment_fixed_size 0
		.amdhsa_kernarg_size 88
		.amdhsa_user_sgpr_count 6
		.amdhsa_user_sgpr_private_segment_buffer 1
		.amdhsa_user_sgpr_dispatch_ptr 0
		.amdhsa_user_sgpr_queue_ptr 0
		.amdhsa_user_sgpr_kernarg_segment_ptr 1
		.amdhsa_user_sgpr_dispatch_id 0
		.amdhsa_user_sgpr_flat_scratch_init 0
		.amdhsa_user_sgpr_private_segment_size 0
		.amdhsa_wavefront_size32 1
		.amdhsa_uses_dynamic_stack 0
		.amdhsa_system_sgpr_private_segment_wavefront_offset 0
		.amdhsa_system_sgpr_workgroup_id_x 1
		.amdhsa_system_sgpr_workgroup_id_y 0
		.amdhsa_system_sgpr_workgroup_id_z 0
		.amdhsa_system_sgpr_workgroup_info 0
		.amdhsa_system_vgpr_workitem_id 0
		.amdhsa_next_free_vgpr 1
		.amdhsa_next_free_sgpr 1
		.amdhsa_reserve_vcc 0
		.amdhsa_reserve_flat_scratch 0
		.amdhsa_float_round_mode_32 0
		.amdhsa_float_round_mode_16_64 0
		.amdhsa_float_denorm_mode_32 3
		.amdhsa_float_denorm_mode_16_64 3
		.amdhsa_dx10_clamp 1
		.amdhsa_ieee_mode 1
		.amdhsa_fp16_overflow 0
		.amdhsa_workgroup_processor_mode 1
		.amdhsa_memory_ordered 1
		.amdhsa_forward_progress 1
		.amdhsa_shared_vgpr_count 0
		.amdhsa_exception_fp_ieee_invalid_op 0
		.amdhsa_exception_fp_denorm_src 0
		.amdhsa_exception_fp_ieee_div_zero 0
		.amdhsa_exception_fp_ieee_overflow 0
		.amdhsa_exception_fp_ieee_underflow 0
		.amdhsa_exception_fp_ieee_inexact 0
		.amdhsa_exception_int_div_zero 0
	.end_amdhsa_kernel
	.section	.text._ZN7rocprim17ROCPRIM_400000_NS6detail17trampoline_kernelINS0_14default_configENS1_22reduce_config_selectorIN6thrust23THRUST_200600_302600_NS5tupleIblNS6_9null_typeES8_S8_S8_S8_S8_S8_S8_EEEEZNS1_11reduce_implILb1ES3_NS6_12zip_iteratorINS7_INS6_11hip_rocprim26transform_input_iterator_tIbNSD_35transform_pair_of_input_iterators_tIbNS6_6detail15normal_iteratorINS6_10device_ptrIKdEEEESL_NS6_8equal_toIdEEEENSG_9not_fun_tINSD_8identityEEEEENSD_19counting_iterator_tIlEES8_S8_S8_S8_S8_S8_S8_S8_EEEEPS9_S9_NSD_9__find_if7functorIS9_EEEE10hipError_tPvRmT1_T2_T3_mT4_P12ihipStream_tbEUlT_E1_NS1_11comp_targetILNS1_3genE2ELNS1_11target_archE906ELNS1_3gpuE6ELNS1_3repE0EEENS1_30default_config_static_selectorELNS0_4arch9wavefront6targetE0EEEvS14_,"axG",@progbits,_ZN7rocprim17ROCPRIM_400000_NS6detail17trampoline_kernelINS0_14default_configENS1_22reduce_config_selectorIN6thrust23THRUST_200600_302600_NS5tupleIblNS6_9null_typeES8_S8_S8_S8_S8_S8_S8_EEEEZNS1_11reduce_implILb1ES3_NS6_12zip_iteratorINS7_INS6_11hip_rocprim26transform_input_iterator_tIbNSD_35transform_pair_of_input_iterators_tIbNS6_6detail15normal_iteratorINS6_10device_ptrIKdEEEESL_NS6_8equal_toIdEEEENSG_9not_fun_tINSD_8identityEEEEENSD_19counting_iterator_tIlEES8_S8_S8_S8_S8_S8_S8_S8_EEEEPS9_S9_NSD_9__find_if7functorIS9_EEEE10hipError_tPvRmT1_T2_T3_mT4_P12ihipStream_tbEUlT_E1_NS1_11comp_targetILNS1_3genE2ELNS1_11target_archE906ELNS1_3gpuE6ELNS1_3repE0EEENS1_30default_config_static_selectorELNS0_4arch9wavefront6targetE0EEEvS14_,comdat
.Lfunc_end50:
	.size	_ZN7rocprim17ROCPRIM_400000_NS6detail17trampoline_kernelINS0_14default_configENS1_22reduce_config_selectorIN6thrust23THRUST_200600_302600_NS5tupleIblNS6_9null_typeES8_S8_S8_S8_S8_S8_S8_EEEEZNS1_11reduce_implILb1ES3_NS6_12zip_iteratorINS7_INS6_11hip_rocprim26transform_input_iterator_tIbNSD_35transform_pair_of_input_iterators_tIbNS6_6detail15normal_iteratorINS6_10device_ptrIKdEEEESL_NS6_8equal_toIdEEEENSG_9not_fun_tINSD_8identityEEEEENSD_19counting_iterator_tIlEES8_S8_S8_S8_S8_S8_S8_S8_EEEEPS9_S9_NSD_9__find_if7functorIS9_EEEE10hipError_tPvRmT1_T2_T3_mT4_P12ihipStream_tbEUlT_E1_NS1_11comp_targetILNS1_3genE2ELNS1_11target_archE906ELNS1_3gpuE6ELNS1_3repE0EEENS1_30default_config_static_selectorELNS0_4arch9wavefront6targetE0EEEvS14_, .Lfunc_end50-_ZN7rocprim17ROCPRIM_400000_NS6detail17trampoline_kernelINS0_14default_configENS1_22reduce_config_selectorIN6thrust23THRUST_200600_302600_NS5tupleIblNS6_9null_typeES8_S8_S8_S8_S8_S8_S8_EEEEZNS1_11reduce_implILb1ES3_NS6_12zip_iteratorINS7_INS6_11hip_rocprim26transform_input_iterator_tIbNSD_35transform_pair_of_input_iterators_tIbNS6_6detail15normal_iteratorINS6_10device_ptrIKdEEEESL_NS6_8equal_toIdEEEENSG_9not_fun_tINSD_8identityEEEEENSD_19counting_iterator_tIlEES8_S8_S8_S8_S8_S8_S8_S8_EEEEPS9_S9_NSD_9__find_if7functorIS9_EEEE10hipError_tPvRmT1_T2_T3_mT4_P12ihipStream_tbEUlT_E1_NS1_11comp_targetILNS1_3genE2ELNS1_11target_archE906ELNS1_3gpuE6ELNS1_3repE0EEENS1_30default_config_static_selectorELNS0_4arch9wavefront6targetE0EEEvS14_
                                        ; -- End function
	.set _ZN7rocprim17ROCPRIM_400000_NS6detail17trampoline_kernelINS0_14default_configENS1_22reduce_config_selectorIN6thrust23THRUST_200600_302600_NS5tupleIblNS6_9null_typeES8_S8_S8_S8_S8_S8_S8_EEEEZNS1_11reduce_implILb1ES3_NS6_12zip_iteratorINS7_INS6_11hip_rocprim26transform_input_iterator_tIbNSD_35transform_pair_of_input_iterators_tIbNS6_6detail15normal_iteratorINS6_10device_ptrIKdEEEESL_NS6_8equal_toIdEEEENSG_9not_fun_tINSD_8identityEEEEENSD_19counting_iterator_tIlEES8_S8_S8_S8_S8_S8_S8_S8_EEEEPS9_S9_NSD_9__find_if7functorIS9_EEEE10hipError_tPvRmT1_T2_T3_mT4_P12ihipStream_tbEUlT_E1_NS1_11comp_targetILNS1_3genE2ELNS1_11target_archE906ELNS1_3gpuE6ELNS1_3repE0EEENS1_30default_config_static_selectorELNS0_4arch9wavefront6targetE0EEEvS14_.num_vgpr, 0
	.set _ZN7rocprim17ROCPRIM_400000_NS6detail17trampoline_kernelINS0_14default_configENS1_22reduce_config_selectorIN6thrust23THRUST_200600_302600_NS5tupleIblNS6_9null_typeES8_S8_S8_S8_S8_S8_S8_EEEEZNS1_11reduce_implILb1ES3_NS6_12zip_iteratorINS7_INS6_11hip_rocprim26transform_input_iterator_tIbNSD_35transform_pair_of_input_iterators_tIbNS6_6detail15normal_iteratorINS6_10device_ptrIKdEEEESL_NS6_8equal_toIdEEEENSG_9not_fun_tINSD_8identityEEEEENSD_19counting_iterator_tIlEES8_S8_S8_S8_S8_S8_S8_S8_EEEEPS9_S9_NSD_9__find_if7functorIS9_EEEE10hipError_tPvRmT1_T2_T3_mT4_P12ihipStream_tbEUlT_E1_NS1_11comp_targetILNS1_3genE2ELNS1_11target_archE906ELNS1_3gpuE6ELNS1_3repE0EEENS1_30default_config_static_selectorELNS0_4arch9wavefront6targetE0EEEvS14_.num_agpr, 0
	.set _ZN7rocprim17ROCPRIM_400000_NS6detail17trampoline_kernelINS0_14default_configENS1_22reduce_config_selectorIN6thrust23THRUST_200600_302600_NS5tupleIblNS6_9null_typeES8_S8_S8_S8_S8_S8_S8_EEEEZNS1_11reduce_implILb1ES3_NS6_12zip_iteratorINS7_INS6_11hip_rocprim26transform_input_iterator_tIbNSD_35transform_pair_of_input_iterators_tIbNS6_6detail15normal_iteratorINS6_10device_ptrIKdEEEESL_NS6_8equal_toIdEEEENSG_9not_fun_tINSD_8identityEEEEENSD_19counting_iterator_tIlEES8_S8_S8_S8_S8_S8_S8_S8_EEEEPS9_S9_NSD_9__find_if7functorIS9_EEEE10hipError_tPvRmT1_T2_T3_mT4_P12ihipStream_tbEUlT_E1_NS1_11comp_targetILNS1_3genE2ELNS1_11target_archE906ELNS1_3gpuE6ELNS1_3repE0EEENS1_30default_config_static_selectorELNS0_4arch9wavefront6targetE0EEEvS14_.numbered_sgpr, 0
	.set _ZN7rocprim17ROCPRIM_400000_NS6detail17trampoline_kernelINS0_14default_configENS1_22reduce_config_selectorIN6thrust23THRUST_200600_302600_NS5tupleIblNS6_9null_typeES8_S8_S8_S8_S8_S8_S8_EEEEZNS1_11reduce_implILb1ES3_NS6_12zip_iteratorINS7_INS6_11hip_rocprim26transform_input_iterator_tIbNSD_35transform_pair_of_input_iterators_tIbNS6_6detail15normal_iteratorINS6_10device_ptrIKdEEEESL_NS6_8equal_toIdEEEENSG_9not_fun_tINSD_8identityEEEEENSD_19counting_iterator_tIlEES8_S8_S8_S8_S8_S8_S8_S8_EEEEPS9_S9_NSD_9__find_if7functorIS9_EEEE10hipError_tPvRmT1_T2_T3_mT4_P12ihipStream_tbEUlT_E1_NS1_11comp_targetILNS1_3genE2ELNS1_11target_archE906ELNS1_3gpuE6ELNS1_3repE0EEENS1_30default_config_static_selectorELNS0_4arch9wavefront6targetE0EEEvS14_.num_named_barrier, 0
	.set _ZN7rocprim17ROCPRIM_400000_NS6detail17trampoline_kernelINS0_14default_configENS1_22reduce_config_selectorIN6thrust23THRUST_200600_302600_NS5tupleIblNS6_9null_typeES8_S8_S8_S8_S8_S8_S8_EEEEZNS1_11reduce_implILb1ES3_NS6_12zip_iteratorINS7_INS6_11hip_rocprim26transform_input_iterator_tIbNSD_35transform_pair_of_input_iterators_tIbNS6_6detail15normal_iteratorINS6_10device_ptrIKdEEEESL_NS6_8equal_toIdEEEENSG_9not_fun_tINSD_8identityEEEEENSD_19counting_iterator_tIlEES8_S8_S8_S8_S8_S8_S8_S8_EEEEPS9_S9_NSD_9__find_if7functorIS9_EEEE10hipError_tPvRmT1_T2_T3_mT4_P12ihipStream_tbEUlT_E1_NS1_11comp_targetILNS1_3genE2ELNS1_11target_archE906ELNS1_3gpuE6ELNS1_3repE0EEENS1_30default_config_static_selectorELNS0_4arch9wavefront6targetE0EEEvS14_.private_seg_size, 0
	.set _ZN7rocprim17ROCPRIM_400000_NS6detail17trampoline_kernelINS0_14default_configENS1_22reduce_config_selectorIN6thrust23THRUST_200600_302600_NS5tupleIblNS6_9null_typeES8_S8_S8_S8_S8_S8_S8_EEEEZNS1_11reduce_implILb1ES3_NS6_12zip_iteratorINS7_INS6_11hip_rocprim26transform_input_iterator_tIbNSD_35transform_pair_of_input_iterators_tIbNS6_6detail15normal_iteratorINS6_10device_ptrIKdEEEESL_NS6_8equal_toIdEEEENSG_9not_fun_tINSD_8identityEEEEENSD_19counting_iterator_tIlEES8_S8_S8_S8_S8_S8_S8_S8_EEEEPS9_S9_NSD_9__find_if7functorIS9_EEEE10hipError_tPvRmT1_T2_T3_mT4_P12ihipStream_tbEUlT_E1_NS1_11comp_targetILNS1_3genE2ELNS1_11target_archE906ELNS1_3gpuE6ELNS1_3repE0EEENS1_30default_config_static_selectorELNS0_4arch9wavefront6targetE0EEEvS14_.uses_vcc, 0
	.set _ZN7rocprim17ROCPRIM_400000_NS6detail17trampoline_kernelINS0_14default_configENS1_22reduce_config_selectorIN6thrust23THRUST_200600_302600_NS5tupleIblNS6_9null_typeES8_S8_S8_S8_S8_S8_S8_EEEEZNS1_11reduce_implILb1ES3_NS6_12zip_iteratorINS7_INS6_11hip_rocprim26transform_input_iterator_tIbNSD_35transform_pair_of_input_iterators_tIbNS6_6detail15normal_iteratorINS6_10device_ptrIKdEEEESL_NS6_8equal_toIdEEEENSG_9not_fun_tINSD_8identityEEEEENSD_19counting_iterator_tIlEES8_S8_S8_S8_S8_S8_S8_S8_EEEEPS9_S9_NSD_9__find_if7functorIS9_EEEE10hipError_tPvRmT1_T2_T3_mT4_P12ihipStream_tbEUlT_E1_NS1_11comp_targetILNS1_3genE2ELNS1_11target_archE906ELNS1_3gpuE6ELNS1_3repE0EEENS1_30default_config_static_selectorELNS0_4arch9wavefront6targetE0EEEvS14_.uses_flat_scratch, 0
	.set _ZN7rocprim17ROCPRIM_400000_NS6detail17trampoline_kernelINS0_14default_configENS1_22reduce_config_selectorIN6thrust23THRUST_200600_302600_NS5tupleIblNS6_9null_typeES8_S8_S8_S8_S8_S8_S8_EEEEZNS1_11reduce_implILb1ES3_NS6_12zip_iteratorINS7_INS6_11hip_rocprim26transform_input_iterator_tIbNSD_35transform_pair_of_input_iterators_tIbNS6_6detail15normal_iteratorINS6_10device_ptrIKdEEEESL_NS6_8equal_toIdEEEENSG_9not_fun_tINSD_8identityEEEEENSD_19counting_iterator_tIlEES8_S8_S8_S8_S8_S8_S8_S8_EEEEPS9_S9_NSD_9__find_if7functorIS9_EEEE10hipError_tPvRmT1_T2_T3_mT4_P12ihipStream_tbEUlT_E1_NS1_11comp_targetILNS1_3genE2ELNS1_11target_archE906ELNS1_3gpuE6ELNS1_3repE0EEENS1_30default_config_static_selectorELNS0_4arch9wavefront6targetE0EEEvS14_.has_dyn_sized_stack, 0
	.set _ZN7rocprim17ROCPRIM_400000_NS6detail17trampoline_kernelINS0_14default_configENS1_22reduce_config_selectorIN6thrust23THRUST_200600_302600_NS5tupleIblNS6_9null_typeES8_S8_S8_S8_S8_S8_S8_EEEEZNS1_11reduce_implILb1ES3_NS6_12zip_iteratorINS7_INS6_11hip_rocprim26transform_input_iterator_tIbNSD_35transform_pair_of_input_iterators_tIbNS6_6detail15normal_iteratorINS6_10device_ptrIKdEEEESL_NS6_8equal_toIdEEEENSG_9not_fun_tINSD_8identityEEEEENSD_19counting_iterator_tIlEES8_S8_S8_S8_S8_S8_S8_S8_EEEEPS9_S9_NSD_9__find_if7functorIS9_EEEE10hipError_tPvRmT1_T2_T3_mT4_P12ihipStream_tbEUlT_E1_NS1_11comp_targetILNS1_3genE2ELNS1_11target_archE906ELNS1_3gpuE6ELNS1_3repE0EEENS1_30default_config_static_selectorELNS0_4arch9wavefront6targetE0EEEvS14_.has_recursion, 0
	.set _ZN7rocprim17ROCPRIM_400000_NS6detail17trampoline_kernelINS0_14default_configENS1_22reduce_config_selectorIN6thrust23THRUST_200600_302600_NS5tupleIblNS6_9null_typeES8_S8_S8_S8_S8_S8_S8_EEEEZNS1_11reduce_implILb1ES3_NS6_12zip_iteratorINS7_INS6_11hip_rocprim26transform_input_iterator_tIbNSD_35transform_pair_of_input_iterators_tIbNS6_6detail15normal_iteratorINS6_10device_ptrIKdEEEESL_NS6_8equal_toIdEEEENSG_9not_fun_tINSD_8identityEEEEENSD_19counting_iterator_tIlEES8_S8_S8_S8_S8_S8_S8_S8_EEEEPS9_S9_NSD_9__find_if7functorIS9_EEEE10hipError_tPvRmT1_T2_T3_mT4_P12ihipStream_tbEUlT_E1_NS1_11comp_targetILNS1_3genE2ELNS1_11target_archE906ELNS1_3gpuE6ELNS1_3repE0EEENS1_30default_config_static_selectorELNS0_4arch9wavefront6targetE0EEEvS14_.has_indirect_call, 0
	.section	.AMDGPU.csdata,"",@progbits
; Kernel info:
; codeLenInByte = 0
; TotalNumSgprs: 0
; NumVgprs: 0
; ScratchSize: 0
; MemoryBound: 0
; FloatMode: 240
; IeeeMode: 1
; LDSByteSize: 0 bytes/workgroup (compile time only)
; SGPRBlocks: 0
; VGPRBlocks: 0
; NumSGPRsForWavesPerEU: 1
; NumVGPRsForWavesPerEU: 1
; Occupancy: 16
; WaveLimiterHint : 0
; COMPUTE_PGM_RSRC2:SCRATCH_EN: 0
; COMPUTE_PGM_RSRC2:USER_SGPR: 6
; COMPUTE_PGM_RSRC2:TRAP_HANDLER: 0
; COMPUTE_PGM_RSRC2:TGID_X_EN: 1
; COMPUTE_PGM_RSRC2:TGID_Y_EN: 0
; COMPUTE_PGM_RSRC2:TGID_Z_EN: 0
; COMPUTE_PGM_RSRC2:TIDIG_COMP_CNT: 0
	.section	.text._ZN7rocprim17ROCPRIM_400000_NS6detail17trampoline_kernelINS0_14default_configENS1_22reduce_config_selectorIN6thrust23THRUST_200600_302600_NS5tupleIblNS6_9null_typeES8_S8_S8_S8_S8_S8_S8_EEEEZNS1_11reduce_implILb1ES3_NS6_12zip_iteratorINS7_INS6_11hip_rocprim26transform_input_iterator_tIbNSD_35transform_pair_of_input_iterators_tIbNS6_6detail15normal_iteratorINS6_10device_ptrIKdEEEESL_NS6_8equal_toIdEEEENSG_9not_fun_tINSD_8identityEEEEENSD_19counting_iterator_tIlEES8_S8_S8_S8_S8_S8_S8_S8_EEEEPS9_S9_NSD_9__find_if7functorIS9_EEEE10hipError_tPvRmT1_T2_T3_mT4_P12ihipStream_tbEUlT_E1_NS1_11comp_targetILNS1_3genE10ELNS1_11target_archE1201ELNS1_3gpuE5ELNS1_3repE0EEENS1_30default_config_static_selectorELNS0_4arch9wavefront6targetE0EEEvS14_,"axG",@progbits,_ZN7rocprim17ROCPRIM_400000_NS6detail17trampoline_kernelINS0_14default_configENS1_22reduce_config_selectorIN6thrust23THRUST_200600_302600_NS5tupleIblNS6_9null_typeES8_S8_S8_S8_S8_S8_S8_EEEEZNS1_11reduce_implILb1ES3_NS6_12zip_iteratorINS7_INS6_11hip_rocprim26transform_input_iterator_tIbNSD_35transform_pair_of_input_iterators_tIbNS6_6detail15normal_iteratorINS6_10device_ptrIKdEEEESL_NS6_8equal_toIdEEEENSG_9not_fun_tINSD_8identityEEEEENSD_19counting_iterator_tIlEES8_S8_S8_S8_S8_S8_S8_S8_EEEEPS9_S9_NSD_9__find_if7functorIS9_EEEE10hipError_tPvRmT1_T2_T3_mT4_P12ihipStream_tbEUlT_E1_NS1_11comp_targetILNS1_3genE10ELNS1_11target_archE1201ELNS1_3gpuE5ELNS1_3repE0EEENS1_30default_config_static_selectorELNS0_4arch9wavefront6targetE0EEEvS14_,comdat
	.protected	_ZN7rocprim17ROCPRIM_400000_NS6detail17trampoline_kernelINS0_14default_configENS1_22reduce_config_selectorIN6thrust23THRUST_200600_302600_NS5tupleIblNS6_9null_typeES8_S8_S8_S8_S8_S8_S8_EEEEZNS1_11reduce_implILb1ES3_NS6_12zip_iteratorINS7_INS6_11hip_rocprim26transform_input_iterator_tIbNSD_35transform_pair_of_input_iterators_tIbNS6_6detail15normal_iteratorINS6_10device_ptrIKdEEEESL_NS6_8equal_toIdEEEENSG_9not_fun_tINSD_8identityEEEEENSD_19counting_iterator_tIlEES8_S8_S8_S8_S8_S8_S8_S8_EEEEPS9_S9_NSD_9__find_if7functorIS9_EEEE10hipError_tPvRmT1_T2_T3_mT4_P12ihipStream_tbEUlT_E1_NS1_11comp_targetILNS1_3genE10ELNS1_11target_archE1201ELNS1_3gpuE5ELNS1_3repE0EEENS1_30default_config_static_selectorELNS0_4arch9wavefront6targetE0EEEvS14_ ; -- Begin function _ZN7rocprim17ROCPRIM_400000_NS6detail17trampoline_kernelINS0_14default_configENS1_22reduce_config_selectorIN6thrust23THRUST_200600_302600_NS5tupleIblNS6_9null_typeES8_S8_S8_S8_S8_S8_S8_EEEEZNS1_11reduce_implILb1ES3_NS6_12zip_iteratorINS7_INS6_11hip_rocprim26transform_input_iterator_tIbNSD_35transform_pair_of_input_iterators_tIbNS6_6detail15normal_iteratorINS6_10device_ptrIKdEEEESL_NS6_8equal_toIdEEEENSG_9not_fun_tINSD_8identityEEEEENSD_19counting_iterator_tIlEES8_S8_S8_S8_S8_S8_S8_S8_EEEEPS9_S9_NSD_9__find_if7functorIS9_EEEE10hipError_tPvRmT1_T2_T3_mT4_P12ihipStream_tbEUlT_E1_NS1_11comp_targetILNS1_3genE10ELNS1_11target_archE1201ELNS1_3gpuE5ELNS1_3repE0EEENS1_30default_config_static_selectorELNS0_4arch9wavefront6targetE0EEEvS14_
	.globl	_ZN7rocprim17ROCPRIM_400000_NS6detail17trampoline_kernelINS0_14default_configENS1_22reduce_config_selectorIN6thrust23THRUST_200600_302600_NS5tupleIblNS6_9null_typeES8_S8_S8_S8_S8_S8_S8_EEEEZNS1_11reduce_implILb1ES3_NS6_12zip_iteratorINS7_INS6_11hip_rocprim26transform_input_iterator_tIbNSD_35transform_pair_of_input_iterators_tIbNS6_6detail15normal_iteratorINS6_10device_ptrIKdEEEESL_NS6_8equal_toIdEEEENSG_9not_fun_tINSD_8identityEEEEENSD_19counting_iterator_tIlEES8_S8_S8_S8_S8_S8_S8_S8_EEEEPS9_S9_NSD_9__find_if7functorIS9_EEEE10hipError_tPvRmT1_T2_T3_mT4_P12ihipStream_tbEUlT_E1_NS1_11comp_targetILNS1_3genE10ELNS1_11target_archE1201ELNS1_3gpuE5ELNS1_3repE0EEENS1_30default_config_static_selectorELNS0_4arch9wavefront6targetE0EEEvS14_
	.p2align	8
	.type	_ZN7rocprim17ROCPRIM_400000_NS6detail17trampoline_kernelINS0_14default_configENS1_22reduce_config_selectorIN6thrust23THRUST_200600_302600_NS5tupleIblNS6_9null_typeES8_S8_S8_S8_S8_S8_S8_EEEEZNS1_11reduce_implILb1ES3_NS6_12zip_iteratorINS7_INS6_11hip_rocprim26transform_input_iterator_tIbNSD_35transform_pair_of_input_iterators_tIbNS6_6detail15normal_iteratorINS6_10device_ptrIKdEEEESL_NS6_8equal_toIdEEEENSG_9not_fun_tINSD_8identityEEEEENSD_19counting_iterator_tIlEES8_S8_S8_S8_S8_S8_S8_S8_EEEEPS9_S9_NSD_9__find_if7functorIS9_EEEE10hipError_tPvRmT1_T2_T3_mT4_P12ihipStream_tbEUlT_E1_NS1_11comp_targetILNS1_3genE10ELNS1_11target_archE1201ELNS1_3gpuE5ELNS1_3repE0EEENS1_30default_config_static_selectorELNS0_4arch9wavefront6targetE0EEEvS14_,@function
_ZN7rocprim17ROCPRIM_400000_NS6detail17trampoline_kernelINS0_14default_configENS1_22reduce_config_selectorIN6thrust23THRUST_200600_302600_NS5tupleIblNS6_9null_typeES8_S8_S8_S8_S8_S8_S8_EEEEZNS1_11reduce_implILb1ES3_NS6_12zip_iteratorINS7_INS6_11hip_rocprim26transform_input_iterator_tIbNSD_35transform_pair_of_input_iterators_tIbNS6_6detail15normal_iteratorINS6_10device_ptrIKdEEEESL_NS6_8equal_toIdEEEENSG_9not_fun_tINSD_8identityEEEEENSD_19counting_iterator_tIlEES8_S8_S8_S8_S8_S8_S8_S8_EEEEPS9_S9_NSD_9__find_if7functorIS9_EEEE10hipError_tPvRmT1_T2_T3_mT4_P12ihipStream_tbEUlT_E1_NS1_11comp_targetILNS1_3genE10ELNS1_11target_archE1201ELNS1_3gpuE5ELNS1_3repE0EEENS1_30default_config_static_selectorELNS0_4arch9wavefront6targetE0EEEvS14_: ; @_ZN7rocprim17ROCPRIM_400000_NS6detail17trampoline_kernelINS0_14default_configENS1_22reduce_config_selectorIN6thrust23THRUST_200600_302600_NS5tupleIblNS6_9null_typeES8_S8_S8_S8_S8_S8_S8_EEEEZNS1_11reduce_implILb1ES3_NS6_12zip_iteratorINS7_INS6_11hip_rocprim26transform_input_iterator_tIbNSD_35transform_pair_of_input_iterators_tIbNS6_6detail15normal_iteratorINS6_10device_ptrIKdEEEESL_NS6_8equal_toIdEEEENSG_9not_fun_tINSD_8identityEEEEENSD_19counting_iterator_tIlEES8_S8_S8_S8_S8_S8_S8_S8_EEEEPS9_S9_NSD_9__find_if7functorIS9_EEEE10hipError_tPvRmT1_T2_T3_mT4_P12ihipStream_tbEUlT_E1_NS1_11comp_targetILNS1_3genE10ELNS1_11target_archE1201ELNS1_3gpuE5ELNS1_3repE0EEENS1_30default_config_static_selectorELNS0_4arch9wavefront6targetE0EEEvS14_
; %bb.0:
	.section	.rodata,"a",@progbits
	.p2align	6, 0x0
	.amdhsa_kernel _ZN7rocprim17ROCPRIM_400000_NS6detail17trampoline_kernelINS0_14default_configENS1_22reduce_config_selectorIN6thrust23THRUST_200600_302600_NS5tupleIblNS6_9null_typeES8_S8_S8_S8_S8_S8_S8_EEEEZNS1_11reduce_implILb1ES3_NS6_12zip_iteratorINS7_INS6_11hip_rocprim26transform_input_iterator_tIbNSD_35transform_pair_of_input_iterators_tIbNS6_6detail15normal_iteratorINS6_10device_ptrIKdEEEESL_NS6_8equal_toIdEEEENSG_9not_fun_tINSD_8identityEEEEENSD_19counting_iterator_tIlEES8_S8_S8_S8_S8_S8_S8_S8_EEEEPS9_S9_NSD_9__find_if7functorIS9_EEEE10hipError_tPvRmT1_T2_T3_mT4_P12ihipStream_tbEUlT_E1_NS1_11comp_targetILNS1_3genE10ELNS1_11target_archE1201ELNS1_3gpuE5ELNS1_3repE0EEENS1_30default_config_static_selectorELNS0_4arch9wavefront6targetE0EEEvS14_
		.amdhsa_group_segment_fixed_size 0
		.amdhsa_private_segment_fixed_size 0
		.amdhsa_kernarg_size 88
		.amdhsa_user_sgpr_count 6
		.amdhsa_user_sgpr_private_segment_buffer 1
		.amdhsa_user_sgpr_dispatch_ptr 0
		.amdhsa_user_sgpr_queue_ptr 0
		.amdhsa_user_sgpr_kernarg_segment_ptr 1
		.amdhsa_user_sgpr_dispatch_id 0
		.amdhsa_user_sgpr_flat_scratch_init 0
		.amdhsa_user_sgpr_private_segment_size 0
		.amdhsa_wavefront_size32 1
		.amdhsa_uses_dynamic_stack 0
		.amdhsa_system_sgpr_private_segment_wavefront_offset 0
		.amdhsa_system_sgpr_workgroup_id_x 1
		.amdhsa_system_sgpr_workgroup_id_y 0
		.amdhsa_system_sgpr_workgroup_id_z 0
		.amdhsa_system_sgpr_workgroup_info 0
		.amdhsa_system_vgpr_workitem_id 0
		.amdhsa_next_free_vgpr 1
		.amdhsa_next_free_sgpr 1
		.amdhsa_reserve_vcc 0
		.amdhsa_reserve_flat_scratch 0
		.amdhsa_float_round_mode_32 0
		.amdhsa_float_round_mode_16_64 0
		.amdhsa_float_denorm_mode_32 3
		.amdhsa_float_denorm_mode_16_64 3
		.amdhsa_dx10_clamp 1
		.amdhsa_ieee_mode 1
		.amdhsa_fp16_overflow 0
		.amdhsa_workgroup_processor_mode 1
		.amdhsa_memory_ordered 1
		.amdhsa_forward_progress 1
		.amdhsa_shared_vgpr_count 0
		.amdhsa_exception_fp_ieee_invalid_op 0
		.amdhsa_exception_fp_denorm_src 0
		.amdhsa_exception_fp_ieee_div_zero 0
		.amdhsa_exception_fp_ieee_overflow 0
		.amdhsa_exception_fp_ieee_underflow 0
		.amdhsa_exception_fp_ieee_inexact 0
		.amdhsa_exception_int_div_zero 0
	.end_amdhsa_kernel
	.section	.text._ZN7rocprim17ROCPRIM_400000_NS6detail17trampoline_kernelINS0_14default_configENS1_22reduce_config_selectorIN6thrust23THRUST_200600_302600_NS5tupleIblNS6_9null_typeES8_S8_S8_S8_S8_S8_S8_EEEEZNS1_11reduce_implILb1ES3_NS6_12zip_iteratorINS7_INS6_11hip_rocprim26transform_input_iterator_tIbNSD_35transform_pair_of_input_iterators_tIbNS6_6detail15normal_iteratorINS6_10device_ptrIKdEEEESL_NS6_8equal_toIdEEEENSG_9not_fun_tINSD_8identityEEEEENSD_19counting_iterator_tIlEES8_S8_S8_S8_S8_S8_S8_S8_EEEEPS9_S9_NSD_9__find_if7functorIS9_EEEE10hipError_tPvRmT1_T2_T3_mT4_P12ihipStream_tbEUlT_E1_NS1_11comp_targetILNS1_3genE10ELNS1_11target_archE1201ELNS1_3gpuE5ELNS1_3repE0EEENS1_30default_config_static_selectorELNS0_4arch9wavefront6targetE0EEEvS14_,"axG",@progbits,_ZN7rocprim17ROCPRIM_400000_NS6detail17trampoline_kernelINS0_14default_configENS1_22reduce_config_selectorIN6thrust23THRUST_200600_302600_NS5tupleIblNS6_9null_typeES8_S8_S8_S8_S8_S8_S8_EEEEZNS1_11reduce_implILb1ES3_NS6_12zip_iteratorINS7_INS6_11hip_rocprim26transform_input_iterator_tIbNSD_35transform_pair_of_input_iterators_tIbNS6_6detail15normal_iteratorINS6_10device_ptrIKdEEEESL_NS6_8equal_toIdEEEENSG_9not_fun_tINSD_8identityEEEEENSD_19counting_iterator_tIlEES8_S8_S8_S8_S8_S8_S8_S8_EEEEPS9_S9_NSD_9__find_if7functorIS9_EEEE10hipError_tPvRmT1_T2_T3_mT4_P12ihipStream_tbEUlT_E1_NS1_11comp_targetILNS1_3genE10ELNS1_11target_archE1201ELNS1_3gpuE5ELNS1_3repE0EEENS1_30default_config_static_selectorELNS0_4arch9wavefront6targetE0EEEvS14_,comdat
.Lfunc_end51:
	.size	_ZN7rocprim17ROCPRIM_400000_NS6detail17trampoline_kernelINS0_14default_configENS1_22reduce_config_selectorIN6thrust23THRUST_200600_302600_NS5tupleIblNS6_9null_typeES8_S8_S8_S8_S8_S8_S8_EEEEZNS1_11reduce_implILb1ES3_NS6_12zip_iteratorINS7_INS6_11hip_rocprim26transform_input_iterator_tIbNSD_35transform_pair_of_input_iterators_tIbNS6_6detail15normal_iteratorINS6_10device_ptrIKdEEEESL_NS6_8equal_toIdEEEENSG_9not_fun_tINSD_8identityEEEEENSD_19counting_iterator_tIlEES8_S8_S8_S8_S8_S8_S8_S8_EEEEPS9_S9_NSD_9__find_if7functorIS9_EEEE10hipError_tPvRmT1_T2_T3_mT4_P12ihipStream_tbEUlT_E1_NS1_11comp_targetILNS1_3genE10ELNS1_11target_archE1201ELNS1_3gpuE5ELNS1_3repE0EEENS1_30default_config_static_selectorELNS0_4arch9wavefront6targetE0EEEvS14_, .Lfunc_end51-_ZN7rocprim17ROCPRIM_400000_NS6detail17trampoline_kernelINS0_14default_configENS1_22reduce_config_selectorIN6thrust23THRUST_200600_302600_NS5tupleIblNS6_9null_typeES8_S8_S8_S8_S8_S8_S8_EEEEZNS1_11reduce_implILb1ES3_NS6_12zip_iteratorINS7_INS6_11hip_rocprim26transform_input_iterator_tIbNSD_35transform_pair_of_input_iterators_tIbNS6_6detail15normal_iteratorINS6_10device_ptrIKdEEEESL_NS6_8equal_toIdEEEENSG_9not_fun_tINSD_8identityEEEEENSD_19counting_iterator_tIlEES8_S8_S8_S8_S8_S8_S8_S8_EEEEPS9_S9_NSD_9__find_if7functorIS9_EEEE10hipError_tPvRmT1_T2_T3_mT4_P12ihipStream_tbEUlT_E1_NS1_11comp_targetILNS1_3genE10ELNS1_11target_archE1201ELNS1_3gpuE5ELNS1_3repE0EEENS1_30default_config_static_selectorELNS0_4arch9wavefront6targetE0EEEvS14_
                                        ; -- End function
	.set _ZN7rocprim17ROCPRIM_400000_NS6detail17trampoline_kernelINS0_14default_configENS1_22reduce_config_selectorIN6thrust23THRUST_200600_302600_NS5tupleIblNS6_9null_typeES8_S8_S8_S8_S8_S8_S8_EEEEZNS1_11reduce_implILb1ES3_NS6_12zip_iteratorINS7_INS6_11hip_rocprim26transform_input_iterator_tIbNSD_35transform_pair_of_input_iterators_tIbNS6_6detail15normal_iteratorINS6_10device_ptrIKdEEEESL_NS6_8equal_toIdEEEENSG_9not_fun_tINSD_8identityEEEEENSD_19counting_iterator_tIlEES8_S8_S8_S8_S8_S8_S8_S8_EEEEPS9_S9_NSD_9__find_if7functorIS9_EEEE10hipError_tPvRmT1_T2_T3_mT4_P12ihipStream_tbEUlT_E1_NS1_11comp_targetILNS1_3genE10ELNS1_11target_archE1201ELNS1_3gpuE5ELNS1_3repE0EEENS1_30default_config_static_selectorELNS0_4arch9wavefront6targetE0EEEvS14_.num_vgpr, 0
	.set _ZN7rocprim17ROCPRIM_400000_NS6detail17trampoline_kernelINS0_14default_configENS1_22reduce_config_selectorIN6thrust23THRUST_200600_302600_NS5tupleIblNS6_9null_typeES8_S8_S8_S8_S8_S8_S8_EEEEZNS1_11reduce_implILb1ES3_NS6_12zip_iteratorINS7_INS6_11hip_rocprim26transform_input_iterator_tIbNSD_35transform_pair_of_input_iterators_tIbNS6_6detail15normal_iteratorINS6_10device_ptrIKdEEEESL_NS6_8equal_toIdEEEENSG_9not_fun_tINSD_8identityEEEEENSD_19counting_iterator_tIlEES8_S8_S8_S8_S8_S8_S8_S8_EEEEPS9_S9_NSD_9__find_if7functorIS9_EEEE10hipError_tPvRmT1_T2_T3_mT4_P12ihipStream_tbEUlT_E1_NS1_11comp_targetILNS1_3genE10ELNS1_11target_archE1201ELNS1_3gpuE5ELNS1_3repE0EEENS1_30default_config_static_selectorELNS0_4arch9wavefront6targetE0EEEvS14_.num_agpr, 0
	.set _ZN7rocprim17ROCPRIM_400000_NS6detail17trampoline_kernelINS0_14default_configENS1_22reduce_config_selectorIN6thrust23THRUST_200600_302600_NS5tupleIblNS6_9null_typeES8_S8_S8_S8_S8_S8_S8_EEEEZNS1_11reduce_implILb1ES3_NS6_12zip_iteratorINS7_INS6_11hip_rocprim26transform_input_iterator_tIbNSD_35transform_pair_of_input_iterators_tIbNS6_6detail15normal_iteratorINS6_10device_ptrIKdEEEESL_NS6_8equal_toIdEEEENSG_9not_fun_tINSD_8identityEEEEENSD_19counting_iterator_tIlEES8_S8_S8_S8_S8_S8_S8_S8_EEEEPS9_S9_NSD_9__find_if7functorIS9_EEEE10hipError_tPvRmT1_T2_T3_mT4_P12ihipStream_tbEUlT_E1_NS1_11comp_targetILNS1_3genE10ELNS1_11target_archE1201ELNS1_3gpuE5ELNS1_3repE0EEENS1_30default_config_static_selectorELNS0_4arch9wavefront6targetE0EEEvS14_.numbered_sgpr, 0
	.set _ZN7rocprim17ROCPRIM_400000_NS6detail17trampoline_kernelINS0_14default_configENS1_22reduce_config_selectorIN6thrust23THRUST_200600_302600_NS5tupleIblNS6_9null_typeES8_S8_S8_S8_S8_S8_S8_EEEEZNS1_11reduce_implILb1ES3_NS6_12zip_iteratorINS7_INS6_11hip_rocprim26transform_input_iterator_tIbNSD_35transform_pair_of_input_iterators_tIbNS6_6detail15normal_iteratorINS6_10device_ptrIKdEEEESL_NS6_8equal_toIdEEEENSG_9not_fun_tINSD_8identityEEEEENSD_19counting_iterator_tIlEES8_S8_S8_S8_S8_S8_S8_S8_EEEEPS9_S9_NSD_9__find_if7functorIS9_EEEE10hipError_tPvRmT1_T2_T3_mT4_P12ihipStream_tbEUlT_E1_NS1_11comp_targetILNS1_3genE10ELNS1_11target_archE1201ELNS1_3gpuE5ELNS1_3repE0EEENS1_30default_config_static_selectorELNS0_4arch9wavefront6targetE0EEEvS14_.num_named_barrier, 0
	.set _ZN7rocprim17ROCPRIM_400000_NS6detail17trampoline_kernelINS0_14default_configENS1_22reduce_config_selectorIN6thrust23THRUST_200600_302600_NS5tupleIblNS6_9null_typeES8_S8_S8_S8_S8_S8_S8_EEEEZNS1_11reduce_implILb1ES3_NS6_12zip_iteratorINS7_INS6_11hip_rocprim26transform_input_iterator_tIbNSD_35transform_pair_of_input_iterators_tIbNS6_6detail15normal_iteratorINS6_10device_ptrIKdEEEESL_NS6_8equal_toIdEEEENSG_9not_fun_tINSD_8identityEEEEENSD_19counting_iterator_tIlEES8_S8_S8_S8_S8_S8_S8_S8_EEEEPS9_S9_NSD_9__find_if7functorIS9_EEEE10hipError_tPvRmT1_T2_T3_mT4_P12ihipStream_tbEUlT_E1_NS1_11comp_targetILNS1_3genE10ELNS1_11target_archE1201ELNS1_3gpuE5ELNS1_3repE0EEENS1_30default_config_static_selectorELNS0_4arch9wavefront6targetE0EEEvS14_.private_seg_size, 0
	.set _ZN7rocprim17ROCPRIM_400000_NS6detail17trampoline_kernelINS0_14default_configENS1_22reduce_config_selectorIN6thrust23THRUST_200600_302600_NS5tupleIblNS6_9null_typeES8_S8_S8_S8_S8_S8_S8_EEEEZNS1_11reduce_implILb1ES3_NS6_12zip_iteratorINS7_INS6_11hip_rocprim26transform_input_iterator_tIbNSD_35transform_pair_of_input_iterators_tIbNS6_6detail15normal_iteratorINS6_10device_ptrIKdEEEESL_NS6_8equal_toIdEEEENSG_9not_fun_tINSD_8identityEEEEENSD_19counting_iterator_tIlEES8_S8_S8_S8_S8_S8_S8_S8_EEEEPS9_S9_NSD_9__find_if7functorIS9_EEEE10hipError_tPvRmT1_T2_T3_mT4_P12ihipStream_tbEUlT_E1_NS1_11comp_targetILNS1_3genE10ELNS1_11target_archE1201ELNS1_3gpuE5ELNS1_3repE0EEENS1_30default_config_static_selectorELNS0_4arch9wavefront6targetE0EEEvS14_.uses_vcc, 0
	.set _ZN7rocprim17ROCPRIM_400000_NS6detail17trampoline_kernelINS0_14default_configENS1_22reduce_config_selectorIN6thrust23THRUST_200600_302600_NS5tupleIblNS6_9null_typeES8_S8_S8_S8_S8_S8_S8_EEEEZNS1_11reduce_implILb1ES3_NS6_12zip_iteratorINS7_INS6_11hip_rocprim26transform_input_iterator_tIbNSD_35transform_pair_of_input_iterators_tIbNS6_6detail15normal_iteratorINS6_10device_ptrIKdEEEESL_NS6_8equal_toIdEEEENSG_9not_fun_tINSD_8identityEEEEENSD_19counting_iterator_tIlEES8_S8_S8_S8_S8_S8_S8_S8_EEEEPS9_S9_NSD_9__find_if7functorIS9_EEEE10hipError_tPvRmT1_T2_T3_mT4_P12ihipStream_tbEUlT_E1_NS1_11comp_targetILNS1_3genE10ELNS1_11target_archE1201ELNS1_3gpuE5ELNS1_3repE0EEENS1_30default_config_static_selectorELNS0_4arch9wavefront6targetE0EEEvS14_.uses_flat_scratch, 0
	.set _ZN7rocprim17ROCPRIM_400000_NS6detail17trampoline_kernelINS0_14default_configENS1_22reduce_config_selectorIN6thrust23THRUST_200600_302600_NS5tupleIblNS6_9null_typeES8_S8_S8_S8_S8_S8_S8_EEEEZNS1_11reduce_implILb1ES3_NS6_12zip_iteratorINS7_INS6_11hip_rocprim26transform_input_iterator_tIbNSD_35transform_pair_of_input_iterators_tIbNS6_6detail15normal_iteratorINS6_10device_ptrIKdEEEESL_NS6_8equal_toIdEEEENSG_9not_fun_tINSD_8identityEEEEENSD_19counting_iterator_tIlEES8_S8_S8_S8_S8_S8_S8_S8_EEEEPS9_S9_NSD_9__find_if7functorIS9_EEEE10hipError_tPvRmT1_T2_T3_mT4_P12ihipStream_tbEUlT_E1_NS1_11comp_targetILNS1_3genE10ELNS1_11target_archE1201ELNS1_3gpuE5ELNS1_3repE0EEENS1_30default_config_static_selectorELNS0_4arch9wavefront6targetE0EEEvS14_.has_dyn_sized_stack, 0
	.set _ZN7rocprim17ROCPRIM_400000_NS6detail17trampoline_kernelINS0_14default_configENS1_22reduce_config_selectorIN6thrust23THRUST_200600_302600_NS5tupleIblNS6_9null_typeES8_S8_S8_S8_S8_S8_S8_EEEEZNS1_11reduce_implILb1ES3_NS6_12zip_iteratorINS7_INS6_11hip_rocprim26transform_input_iterator_tIbNSD_35transform_pair_of_input_iterators_tIbNS6_6detail15normal_iteratorINS6_10device_ptrIKdEEEESL_NS6_8equal_toIdEEEENSG_9not_fun_tINSD_8identityEEEEENSD_19counting_iterator_tIlEES8_S8_S8_S8_S8_S8_S8_S8_EEEEPS9_S9_NSD_9__find_if7functorIS9_EEEE10hipError_tPvRmT1_T2_T3_mT4_P12ihipStream_tbEUlT_E1_NS1_11comp_targetILNS1_3genE10ELNS1_11target_archE1201ELNS1_3gpuE5ELNS1_3repE0EEENS1_30default_config_static_selectorELNS0_4arch9wavefront6targetE0EEEvS14_.has_recursion, 0
	.set _ZN7rocprim17ROCPRIM_400000_NS6detail17trampoline_kernelINS0_14default_configENS1_22reduce_config_selectorIN6thrust23THRUST_200600_302600_NS5tupleIblNS6_9null_typeES8_S8_S8_S8_S8_S8_S8_EEEEZNS1_11reduce_implILb1ES3_NS6_12zip_iteratorINS7_INS6_11hip_rocprim26transform_input_iterator_tIbNSD_35transform_pair_of_input_iterators_tIbNS6_6detail15normal_iteratorINS6_10device_ptrIKdEEEESL_NS6_8equal_toIdEEEENSG_9not_fun_tINSD_8identityEEEEENSD_19counting_iterator_tIlEES8_S8_S8_S8_S8_S8_S8_S8_EEEEPS9_S9_NSD_9__find_if7functorIS9_EEEE10hipError_tPvRmT1_T2_T3_mT4_P12ihipStream_tbEUlT_E1_NS1_11comp_targetILNS1_3genE10ELNS1_11target_archE1201ELNS1_3gpuE5ELNS1_3repE0EEENS1_30default_config_static_selectorELNS0_4arch9wavefront6targetE0EEEvS14_.has_indirect_call, 0
	.section	.AMDGPU.csdata,"",@progbits
; Kernel info:
; codeLenInByte = 0
; TotalNumSgprs: 0
; NumVgprs: 0
; ScratchSize: 0
; MemoryBound: 0
; FloatMode: 240
; IeeeMode: 1
; LDSByteSize: 0 bytes/workgroup (compile time only)
; SGPRBlocks: 0
; VGPRBlocks: 0
; NumSGPRsForWavesPerEU: 1
; NumVGPRsForWavesPerEU: 1
; Occupancy: 16
; WaveLimiterHint : 0
; COMPUTE_PGM_RSRC2:SCRATCH_EN: 0
; COMPUTE_PGM_RSRC2:USER_SGPR: 6
; COMPUTE_PGM_RSRC2:TRAP_HANDLER: 0
; COMPUTE_PGM_RSRC2:TGID_X_EN: 1
; COMPUTE_PGM_RSRC2:TGID_Y_EN: 0
; COMPUTE_PGM_RSRC2:TGID_Z_EN: 0
; COMPUTE_PGM_RSRC2:TIDIG_COMP_CNT: 0
	.section	.text._ZN7rocprim17ROCPRIM_400000_NS6detail17trampoline_kernelINS0_14default_configENS1_22reduce_config_selectorIN6thrust23THRUST_200600_302600_NS5tupleIblNS6_9null_typeES8_S8_S8_S8_S8_S8_S8_EEEEZNS1_11reduce_implILb1ES3_NS6_12zip_iteratorINS7_INS6_11hip_rocprim26transform_input_iterator_tIbNSD_35transform_pair_of_input_iterators_tIbNS6_6detail15normal_iteratorINS6_10device_ptrIKdEEEESL_NS6_8equal_toIdEEEENSG_9not_fun_tINSD_8identityEEEEENSD_19counting_iterator_tIlEES8_S8_S8_S8_S8_S8_S8_S8_EEEEPS9_S9_NSD_9__find_if7functorIS9_EEEE10hipError_tPvRmT1_T2_T3_mT4_P12ihipStream_tbEUlT_E1_NS1_11comp_targetILNS1_3genE10ELNS1_11target_archE1200ELNS1_3gpuE4ELNS1_3repE0EEENS1_30default_config_static_selectorELNS0_4arch9wavefront6targetE0EEEvS14_,"axG",@progbits,_ZN7rocprim17ROCPRIM_400000_NS6detail17trampoline_kernelINS0_14default_configENS1_22reduce_config_selectorIN6thrust23THRUST_200600_302600_NS5tupleIblNS6_9null_typeES8_S8_S8_S8_S8_S8_S8_EEEEZNS1_11reduce_implILb1ES3_NS6_12zip_iteratorINS7_INS6_11hip_rocprim26transform_input_iterator_tIbNSD_35transform_pair_of_input_iterators_tIbNS6_6detail15normal_iteratorINS6_10device_ptrIKdEEEESL_NS6_8equal_toIdEEEENSG_9not_fun_tINSD_8identityEEEEENSD_19counting_iterator_tIlEES8_S8_S8_S8_S8_S8_S8_S8_EEEEPS9_S9_NSD_9__find_if7functorIS9_EEEE10hipError_tPvRmT1_T2_T3_mT4_P12ihipStream_tbEUlT_E1_NS1_11comp_targetILNS1_3genE10ELNS1_11target_archE1200ELNS1_3gpuE4ELNS1_3repE0EEENS1_30default_config_static_selectorELNS0_4arch9wavefront6targetE0EEEvS14_,comdat
	.protected	_ZN7rocprim17ROCPRIM_400000_NS6detail17trampoline_kernelINS0_14default_configENS1_22reduce_config_selectorIN6thrust23THRUST_200600_302600_NS5tupleIblNS6_9null_typeES8_S8_S8_S8_S8_S8_S8_EEEEZNS1_11reduce_implILb1ES3_NS6_12zip_iteratorINS7_INS6_11hip_rocprim26transform_input_iterator_tIbNSD_35transform_pair_of_input_iterators_tIbNS6_6detail15normal_iteratorINS6_10device_ptrIKdEEEESL_NS6_8equal_toIdEEEENSG_9not_fun_tINSD_8identityEEEEENSD_19counting_iterator_tIlEES8_S8_S8_S8_S8_S8_S8_S8_EEEEPS9_S9_NSD_9__find_if7functorIS9_EEEE10hipError_tPvRmT1_T2_T3_mT4_P12ihipStream_tbEUlT_E1_NS1_11comp_targetILNS1_3genE10ELNS1_11target_archE1200ELNS1_3gpuE4ELNS1_3repE0EEENS1_30default_config_static_selectorELNS0_4arch9wavefront6targetE0EEEvS14_ ; -- Begin function _ZN7rocprim17ROCPRIM_400000_NS6detail17trampoline_kernelINS0_14default_configENS1_22reduce_config_selectorIN6thrust23THRUST_200600_302600_NS5tupleIblNS6_9null_typeES8_S8_S8_S8_S8_S8_S8_EEEEZNS1_11reduce_implILb1ES3_NS6_12zip_iteratorINS7_INS6_11hip_rocprim26transform_input_iterator_tIbNSD_35transform_pair_of_input_iterators_tIbNS6_6detail15normal_iteratorINS6_10device_ptrIKdEEEESL_NS6_8equal_toIdEEEENSG_9not_fun_tINSD_8identityEEEEENSD_19counting_iterator_tIlEES8_S8_S8_S8_S8_S8_S8_S8_EEEEPS9_S9_NSD_9__find_if7functorIS9_EEEE10hipError_tPvRmT1_T2_T3_mT4_P12ihipStream_tbEUlT_E1_NS1_11comp_targetILNS1_3genE10ELNS1_11target_archE1200ELNS1_3gpuE4ELNS1_3repE0EEENS1_30default_config_static_selectorELNS0_4arch9wavefront6targetE0EEEvS14_
	.globl	_ZN7rocprim17ROCPRIM_400000_NS6detail17trampoline_kernelINS0_14default_configENS1_22reduce_config_selectorIN6thrust23THRUST_200600_302600_NS5tupleIblNS6_9null_typeES8_S8_S8_S8_S8_S8_S8_EEEEZNS1_11reduce_implILb1ES3_NS6_12zip_iteratorINS7_INS6_11hip_rocprim26transform_input_iterator_tIbNSD_35transform_pair_of_input_iterators_tIbNS6_6detail15normal_iteratorINS6_10device_ptrIKdEEEESL_NS6_8equal_toIdEEEENSG_9not_fun_tINSD_8identityEEEEENSD_19counting_iterator_tIlEES8_S8_S8_S8_S8_S8_S8_S8_EEEEPS9_S9_NSD_9__find_if7functorIS9_EEEE10hipError_tPvRmT1_T2_T3_mT4_P12ihipStream_tbEUlT_E1_NS1_11comp_targetILNS1_3genE10ELNS1_11target_archE1200ELNS1_3gpuE4ELNS1_3repE0EEENS1_30default_config_static_selectorELNS0_4arch9wavefront6targetE0EEEvS14_
	.p2align	8
	.type	_ZN7rocprim17ROCPRIM_400000_NS6detail17trampoline_kernelINS0_14default_configENS1_22reduce_config_selectorIN6thrust23THRUST_200600_302600_NS5tupleIblNS6_9null_typeES8_S8_S8_S8_S8_S8_S8_EEEEZNS1_11reduce_implILb1ES3_NS6_12zip_iteratorINS7_INS6_11hip_rocprim26transform_input_iterator_tIbNSD_35transform_pair_of_input_iterators_tIbNS6_6detail15normal_iteratorINS6_10device_ptrIKdEEEESL_NS6_8equal_toIdEEEENSG_9not_fun_tINSD_8identityEEEEENSD_19counting_iterator_tIlEES8_S8_S8_S8_S8_S8_S8_S8_EEEEPS9_S9_NSD_9__find_if7functorIS9_EEEE10hipError_tPvRmT1_T2_T3_mT4_P12ihipStream_tbEUlT_E1_NS1_11comp_targetILNS1_3genE10ELNS1_11target_archE1200ELNS1_3gpuE4ELNS1_3repE0EEENS1_30default_config_static_selectorELNS0_4arch9wavefront6targetE0EEEvS14_,@function
_ZN7rocprim17ROCPRIM_400000_NS6detail17trampoline_kernelINS0_14default_configENS1_22reduce_config_selectorIN6thrust23THRUST_200600_302600_NS5tupleIblNS6_9null_typeES8_S8_S8_S8_S8_S8_S8_EEEEZNS1_11reduce_implILb1ES3_NS6_12zip_iteratorINS7_INS6_11hip_rocprim26transform_input_iterator_tIbNSD_35transform_pair_of_input_iterators_tIbNS6_6detail15normal_iteratorINS6_10device_ptrIKdEEEESL_NS6_8equal_toIdEEEENSG_9not_fun_tINSD_8identityEEEEENSD_19counting_iterator_tIlEES8_S8_S8_S8_S8_S8_S8_S8_EEEEPS9_S9_NSD_9__find_if7functorIS9_EEEE10hipError_tPvRmT1_T2_T3_mT4_P12ihipStream_tbEUlT_E1_NS1_11comp_targetILNS1_3genE10ELNS1_11target_archE1200ELNS1_3gpuE4ELNS1_3repE0EEENS1_30default_config_static_selectorELNS0_4arch9wavefront6targetE0EEEvS14_: ; @_ZN7rocprim17ROCPRIM_400000_NS6detail17trampoline_kernelINS0_14default_configENS1_22reduce_config_selectorIN6thrust23THRUST_200600_302600_NS5tupleIblNS6_9null_typeES8_S8_S8_S8_S8_S8_S8_EEEEZNS1_11reduce_implILb1ES3_NS6_12zip_iteratorINS7_INS6_11hip_rocprim26transform_input_iterator_tIbNSD_35transform_pair_of_input_iterators_tIbNS6_6detail15normal_iteratorINS6_10device_ptrIKdEEEESL_NS6_8equal_toIdEEEENSG_9not_fun_tINSD_8identityEEEEENSD_19counting_iterator_tIlEES8_S8_S8_S8_S8_S8_S8_S8_EEEEPS9_S9_NSD_9__find_if7functorIS9_EEEE10hipError_tPvRmT1_T2_T3_mT4_P12ihipStream_tbEUlT_E1_NS1_11comp_targetILNS1_3genE10ELNS1_11target_archE1200ELNS1_3gpuE4ELNS1_3repE0EEENS1_30default_config_static_selectorELNS0_4arch9wavefront6targetE0EEEvS14_
; %bb.0:
	.section	.rodata,"a",@progbits
	.p2align	6, 0x0
	.amdhsa_kernel _ZN7rocprim17ROCPRIM_400000_NS6detail17trampoline_kernelINS0_14default_configENS1_22reduce_config_selectorIN6thrust23THRUST_200600_302600_NS5tupleIblNS6_9null_typeES8_S8_S8_S8_S8_S8_S8_EEEEZNS1_11reduce_implILb1ES3_NS6_12zip_iteratorINS7_INS6_11hip_rocprim26transform_input_iterator_tIbNSD_35transform_pair_of_input_iterators_tIbNS6_6detail15normal_iteratorINS6_10device_ptrIKdEEEESL_NS6_8equal_toIdEEEENSG_9not_fun_tINSD_8identityEEEEENSD_19counting_iterator_tIlEES8_S8_S8_S8_S8_S8_S8_S8_EEEEPS9_S9_NSD_9__find_if7functorIS9_EEEE10hipError_tPvRmT1_T2_T3_mT4_P12ihipStream_tbEUlT_E1_NS1_11comp_targetILNS1_3genE10ELNS1_11target_archE1200ELNS1_3gpuE4ELNS1_3repE0EEENS1_30default_config_static_selectorELNS0_4arch9wavefront6targetE0EEEvS14_
		.amdhsa_group_segment_fixed_size 0
		.amdhsa_private_segment_fixed_size 0
		.amdhsa_kernarg_size 88
		.amdhsa_user_sgpr_count 6
		.amdhsa_user_sgpr_private_segment_buffer 1
		.amdhsa_user_sgpr_dispatch_ptr 0
		.amdhsa_user_sgpr_queue_ptr 0
		.amdhsa_user_sgpr_kernarg_segment_ptr 1
		.amdhsa_user_sgpr_dispatch_id 0
		.amdhsa_user_sgpr_flat_scratch_init 0
		.amdhsa_user_sgpr_private_segment_size 0
		.amdhsa_wavefront_size32 1
		.amdhsa_uses_dynamic_stack 0
		.amdhsa_system_sgpr_private_segment_wavefront_offset 0
		.amdhsa_system_sgpr_workgroup_id_x 1
		.amdhsa_system_sgpr_workgroup_id_y 0
		.amdhsa_system_sgpr_workgroup_id_z 0
		.amdhsa_system_sgpr_workgroup_info 0
		.amdhsa_system_vgpr_workitem_id 0
		.amdhsa_next_free_vgpr 1
		.amdhsa_next_free_sgpr 1
		.amdhsa_reserve_vcc 0
		.amdhsa_reserve_flat_scratch 0
		.amdhsa_float_round_mode_32 0
		.amdhsa_float_round_mode_16_64 0
		.amdhsa_float_denorm_mode_32 3
		.amdhsa_float_denorm_mode_16_64 3
		.amdhsa_dx10_clamp 1
		.amdhsa_ieee_mode 1
		.amdhsa_fp16_overflow 0
		.amdhsa_workgroup_processor_mode 1
		.amdhsa_memory_ordered 1
		.amdhsa_forward_progress 1
		.amdhsa_shared_vgpr_count 0
		.amdhsa_exception_fp_ieee_invalid_op 0
		.amdhsa_exception_fp_denorm_src 0
		.amdhsa_exception_fp_ieee_div_zero 0
		.amdhsa_exception_fp_ieee_overflow 0
		.amdhsa_exception_fp_ieee_underflow 0
		.amdhsa_exception_fp_ieee_inexact 0
		.amdhsa_exception_int_div_zero 0
	.end_amdhsa_kernel
	.section	.text._ZN7rocprim17ROCPRIM_400000_NS6detail17trampoline_kernelINS0_14default_configENS1_22reduce_config_selectorIN6thrust23THRUST_200600_302600_NS5tupleIblNS6_9null_typeES8_S8_S8_S8_S8_S8_S8_EEEEZNS1_11reduce_implILb1ES3_NS6_12zip_iteratorINS7_INS6_11hip_rocprim26transform_input_iterator_tIbNSD_35transform_pair_of_input_iterators_tIbNS6_6detail15normal_iteratorINS6_10device_ptrIKdEEEESL_NS6_8equal_toIdEEEENSG_9not_fun_tINSD_8identityEEEEENSD_19counting_iterator_tIlEES8_S8_S8_S8_S8_S8_S8_S8_EEEEPS9_S9_NSD_9__find_if7functorIS9_EEEE10hipError_tPvRmT1_T2_T3_mT4_P12ihipStream_tbEUlT_E1_NS1_11comp_targetILNS1_3genE10ELNS1_11target_archE1200ELNS1_3gpuE4ELNS1_3repE0EEENS1_30default_config_static_selectorELNS0_4arch9wavefront6targetE0EEEvS14_,"axG",@progbits,_ZN7rocprim17ROCPRIM_400000_NS6detail17trampoline_kernelINS0_14default_configENS1_22reduce_config_selectorIN6thrust23THRUST_200600_302600_NS5tupleIblNS6_9null_typeES8_S8_S8_S8_S8_S8_S8_EEEEZNS1_11reduce_implILb1ES3_NS6_12zip_iteratorINS7_INS6_11hip_rocprim26transform_input_iterator_tIbNSD_35transform_pair_of_input_iterators_tIbNS6_6detail15normal_iteratorINS6_10device_ptrIKdEEEESL_NS6_8equal_toIdEEEENSG_9not_fun_tINSD_8identityEEEEENSD_19counting_iterator_tIlEES8_S8_S8_S8_S8_S8_S8_S8_EEEEPS9_S9_NSD_9__find_if7functorIS9_EEEE10hipError_tPvRmT1_T2_T3_mT4_P12ihipStream_tbEUlT_E1_NS1_11comp_targetILNS1_3genE10ELNS1_11target_archE1200ELNS1_3gpuE4ELNS1_3repE0EEENS1_30default_config_static_selectorELNS0_4arch9wavefront6targetE0EEEvS14_,comdat
.Lfunc_end52:
	.size	_ZN7rocprim17ROCPRIM_400000_NS6detail17trampoline_kernelINS0_14default_configENS1_22reduce_config_selectorIN6thrust23THRUST_200600_302600_NS5tupleIblNS6_9null_typeES8_S8_S8_S8_S8_S8_S8_EEEEZNS1_11reduce_implILb1ES3_NS6_12zip_iteratorINS7_INS6_11hip_rocprim26transform_input_iterator_tIbNSD_35transform_pair_of_input_iterators_tIbNS6_6detail15normal_iteratorINS6_10device_ptrIKdEEEESL_NS6_8equal_toIdEEEENSG_9not_fun_tINSD_8identityEEEEENSD_19counting_iterator_tIlEES8_S8_S8_S8_S8_S8_S8_S8_EEEEPS9_S9_NSD_9__find_if7functorIS9_EEEE10hipError_tPvRmT1_T2_T3_mT4_P12ihipStream_tbEUlT_E1_NS1_11comp_targetILNS1_3genE10ELNS1_11target_archE1200ELNS1_3gpuE4ELNS1_3repE0EEENS1_30default_config_static_selectorELNS0_4arch9wavefront6targetE0EEEvS14_, .Lfunc_end52-_ZN7rocprim17ROCPRIM_400000_NS6detail17trampoline_kernelINS0_14default_configENS1_22reduce_config_selectorIN6thrust23THRUST_200600_302600_NS5tupleIblNS6_9null_typeES8_S8_S8_S8_S8_S8_S8_EEEEZNS1_11reduce_implILb1ES3_NS6_12zip_iteratorINS7_INS6_11hip_rocprim26transform_input_iterator_tIbNSD_35transform_pair_of_input_iterators_tIbNS6_6detail15normal_iteratorINS6_10device_ptrIKdEEEESL_NS6_8equal_toIdEEEENSG_9not_fun_tINSD_8identityEEEEENSD_19counting_iterator_tIlEES8_S8_S8_S8_S8_S8_S8_S8_EEEEPS9_S9_NSD_9__find_if7functorIS9_EEEE10hipError_tPvRmT1_T2_T3_mT4_P12ihipStream_tbEUlT_E1_NS1_11comp_targetILNS1_3genE10ELNS1_11target_archE1200ELNS1_3gpuE4ELNS1_3repE0EEENS1_30default_config_static_selectorELNS0_4arch9wavefront6targetE0EEEvS14_
                                        ; -- End function
	.set _ZN7rocprim17ROCPRIM_400000_NS6detail17trampoline_kernelINS0_14default_configENS1_22reduce_config_selectorIN6thrust23THRUST_200600_302600_NS5tupleIblNS6_9null_typeES8_S8_S8_S8_S8_S8_S8_EEEEZNS1_11reduce_implILb1ES3_NS6_12zip_iteratorINS7_INS6_11hip_rocprim26transform_input_iterator_tIbNSD_35transform_pair_of_input_iterators_tIbNS6_6detail15normal_iteratorINS6_10device_ptrIKdEEEESL_NS6_8equal_toIdEEEENSG_9not_fun_tINSD_8identityEEEEENSD_19counting_iterator_tIlEES8_S8_S8_S8_S8_S8_S8_S8_EEEEPS9_S9_NSD_9__find_if7functorIS9_EEEE10hipError_tPvRmT1_T2_T3_mT4_P12ihipStream_tbEUlT_E1_NS1_11comp_targetILNS1_3genE10ELNS1_11target_archE1200ELNS1_3gpuE4ELNS1_3repE0EEENS1_30default_config_static_selectorELNS0_4arch9wavefront6targetE0EEEvS14_.num_vgpr, 0
	.set _ZN7rocprim17ROCPRIM_400000_NS6detail17trampoline_kernelINS0_14default_configENS1_22reduce_config_selectorIN6thrust23THRUST_200600_302600_NS5tupleIblNS6_9null_typeES8_S8_S8_S8_S8_S8_S8_EEEEZNS1_11reduce_implILb1ES3_NS6_12zip_iteratorINS7_INS6_11hip_rocprim26transform_input_iterator_tIbNSD_35transform_pair_of_input_iterators_tIbNS6_6detail15normal_iteratorINS6_10device_ptrIKdEEEESL_NS6_8equal_toIdEEEENSG_9not_fun_tINSD_8identityEEEEENSD_19counting_iterator_tIlEES8_S8_S8_S8_S8_S8_S8_S8_EEEEPS9_S9_NSD_9__find_if7functorIS9_EEEE10hipError_tPvRmT1_T2_T3_mT4_P12ihipStream_tbEUlT_E1_NS1_11comp_targetILNS1_3genE10ELNS1_11target_archE1200ELNS1_3gpuE4ELNS1_3repE0EEENS1_30default_config_static_selectorELNS0_4arch9wavefront6targetE0EEEvS14_.num_agpr, 0
	.set _ZN7rocprim17ROCPRIM_400000_NS6detail17trampoline_kernelINS0_14default_configENS1_22reduce_config_selectorIN6thrust23THRUST_200600_302600_NS5tupleIblNS6_9null_typeES8_S8_S8_S8_S8_S8_S8_EEEEZNS1_11reduce_implILb1ES3_NS6_12zip_iteratorINS7_INS6_11hip_rocprim26transform_input_iterator_tIbNSD_35transform_pair_of_input_iterators_tIbNS6_6detail15normal_iteratorINS6_10device_ptrIKdEEEESL_NS6_8equal_toIdEEEENSG_9not_fun_tINSD_8identityEEEEENSD_19counting_iterator_tIlEES8_S8_S8_S8_S8_S8_S8_S8_EEEEPS9_S9_NSD_9__find_if7functorIS9_EEEE10hipError_tPvRmT1_T2_T3_mT4_P12ihipStream_tbEUlT_E1_NS1_11comp_targetILNS1_3genE10ELNS1_11target_archE1200ELNS1_3gpuE4ELNS1_3repE0EEENS1_30default_config_static_selectorELNS0_4arch9wavefront6targetE0EEEvS14_.numbered_sgpr, 0
	.set _ZN7rocprim17ROCPRIM_400000_NS6detail17trampoline_kernelINS0_14default_configENS1_22reduce_config_selectorIN6thrust23THRUST_200600_302600_NS5tupleIblNS6_9null_typeES8_S8_S8_S8_S8_S8_S8_EEEEZNS1_11reduce_implILb1ES3_NS6_12zip_iteratorINS7_INS6_11hip_rocprim26transform_input_iterator_tIbNSD_35transform_pair_of_input_iterators_tIbNS6_6detail15normal_iteratorINS6_10device_ptrIKdEEEESL_NS6_8equal_toIdEEEENSG_9not_fun_tINSD_8identityEEEEENSD_19counting_iterator_tIlEES8_S8_S8_S8_S8_S8_S8_S8_EEEEPS9_S9_NSD_9__find_if7functorIS9_EEEE10hipError_tPvRmT1_T2_T3_mT4_P12ihipStream_tbEUlT_E1_NS1_11comp_targetILNS1_3genE10ELNS1_11target_archE1200ELNS1_3gpuE4ELNS1_3repE0EEENS1_30default_config_static_selectorELNS0_4arch9wavefront6targetE0EEEvS14_.num_named_barrier, 0
	.set _ZN7rocprim17ROCPRIM_400000_NS6detail17trampoline_kernelINS0_14default_configENS1_22reduce_config_selectorIN6thrust23THRUST_200600_302600_NS5tupleIblNS6_9null_typeES8_S8_S8_S8_S8_S8_S8_EEEEZNS1_11reduce_implILb1ES3_NS6_12zip_iteratorINS7_INS6_11hip_rocprim26transform_input_iterator_tIbNSD_35transform_pair_of_input_iterators_tIbNS6_6detail15normal_iteratorINS6_10device_ptrIKdEEEESL_NS6_8equal_toIdEEEENSG_9not_fun_tINSD_8identityEEEEENSD_19counting_iterator_tIlEES8_S8_S8_S8_S8_S8_S8_S8_EEEEPS9_S9_NSD_9__find_if7functorIS9_EEEE10hipError_tPvRmT1_T2_T3_mT4_P12ihipStream_tbEUlT_E1_NS1_11comp_targetILNS1_3genE10ELNS1_11target_archE1200ELNS1_3gpuE4ELNS1_3repE0EEENS1_30default_config_static_selectorELNS0_4arch9wavefront6targetE0EEEvS14_.private_seg_size, 0
	.set _ZN7rocprim17ROCPRIM_400000_NS6detail17trampoline_kernelINS0_14default_configENS1_22reduce_config_selectorIN6thrust23THRUST_200600_302600_NS5tupleIblNS6_9null_typeES8_S8_S8_S8_S8_S8_S8_EEEEZNS1_11reduce_implILb1ES3_NS6_12zip_iteratorINS7_INS6_11hip_rocprim26transform_input_iterator_tIbNSD_35transform_pair_of_input_iterators_tIbNS6_6detail15normal_iteratorINS6_10device_ptrIKdEEEESL_NS6_8equal_toIdEEEENSG_9not_fun_tINSD_8identityEEEEENSD_19counting_iterator_tIlEES8_S8_S8_S8_S8_S8_S8_S8_EEEEPS9_S9_NSD_9__find_if7functorIS9_EEEE10hipError_tPvRmT1_T2_T3_mT4_P12ihipStream_tbEUlT_E1_NS1_11comp_targetILNS1_3genE10ELNS1_11target_archE1200ELNS1_3gpuE4ELNS1_3repE0EEENS1_30default_config_static_selectorELNS0_4arch9wavefront6targetE0EEEvS14_.uses_vcc, 0
	.set _ZN7rocprim17ROCPRIM_400000_NS6detail17trampoline_kernelINS0_14default_configENS1_22reduce_config_selectorIN6thrust23THRUST_200600_302600_NS5tupleIblNS6_9null_typeES8_S8_S8_S8_S8_S8_S8_EEEEZNS1_11reduce_implILb1ES3_NS6_12zip_iteratorINS7_INS6_11hip_rocprim26transform_input_iterator_tIbNSD_35transform_pair_of_input_iterators_tIbNS6_6detail15normal_iteratorINS6_10device_ptrIKdEEEESL_NS6_8equal_toIdEEEENSG_9not_fun_tINSD_8identityEEEEENSD_19counting_iterator_tIlEES8_S8_S8_S8_S8_S8_S8_S8_EEEEPS9_S9_NSD_9__find_if7functorIS9_EEEE10hipError_tPvRmT1_T2_T3_mT4_P12ihipStream_tbEUlT_E1_NS1_11comp_targetILNS1_3genE10ELNS1_11target_archE1200ELNS1_3gpuE4ELNS1_3repE0EEENS1_30default_config_static_selectorELNS0_4arch9wavefront6targetE0EEEvS14_.uses_flat_scratch, 0
	.set _ZN7rocprim17ROCPRIM_400000_NS6detail17trampoline_kernelINS0_14default_configENS1_22reduce_config_selectorIN6thrust23THRUST_200600_302600_NS5tupleIblNS6_9null_typeES8_S8_S8_S8_S8_S8_S8_EEEEZNS1_11reduce_implILb1ES3_NS6_12zip_iteratorINS7_INS6_11hip_rocprim26transform_input_iterator_tIbNSD_35transform_pair_of_input_iterators_tIbNS6_6detail15normal_iteratorINS6_10device_ptrIKdEEEESL_NS6_8equal_toIdEEEENSG_9not_fun_tINSD_8identityEEEEENSD_19counting_iterator_tIlEES8_S8_S8_S8_S8_S8_S8_S8_EEEEPS9_S9_NSD_9__find_if7functorIS9_EEEE10hipError_tPvRmT1_T2_T3_mT4_P12ihipStream_tbEUlT_E1_NS1_11comp_targetILNS1_3genE10ELNS1_11target_archE1200ELNS1_3gpuE4ELNS1_3repE0EEENS1_30default_config_static_selectorELNS0_4arch9wavefront6targetE0EEEvS14_.has_dyn_sized_stack, 0
	.set _ZN7rocprim17ROCPRIM_400000_NS6detail17trampoline_kernelINS0_14default_configENS1_22reduce_config_selectorIN6thrust23THRUST_200600_302600_NS5tupleIblNS6_9null_typeES8_S8_S8_S8_S8_S8_S8_EEEEZNS1_11reduce_implILb1ES3_NS6_12zip_iteratorINS7_INS6_11hip_rocprim26transform_input_iterator_tIbNSD_35transform_pair_of_input_iterators_tIbNS6_6detail15normal_iteratorINS6_10device_ptrIKdEEEESL_NS6_8equal_toIdEEEENSG_9not_fun_tINSD_8identityEEEEENSD_19counting_iterator_tIlEES8_S8_S8_S8_S8_S8_S8_S8_EEEEPS9_S9_NSD_9__find_if7functorIS9_EEEE10hipError_tPvRmT1_T2_T3_mT4_P12ihipStream_tbEUlT_E1_NS1_11comp_targetILNS1_3genE10ELNS1_11target_archE1200ELNS1_3gpuE4ELNS1_3repE0EEENS1_30default_config_static_selectorELNS0_4arch9wavefront6targetE0EEEvS14_.has_recursion, 0
	.set _ZN7rocprim17ROCPRIM_400000_NS6detail17trampoline_kernelINS0_14default_configENS1_22reduce_config_selectorIN6thrust23THRUST_200600_302600_NS5tupleIblNS6_9null_typeES8_S8_S8_S8_S8_S8_S8_EEEEZNS1_11reduce_implILb1ES3_NS6_12zip_iteratorINS7_INS6_11hip_rocprim26transform_input_iterator_tIbNSD_35transform_pair_of_input_iterators_tIbNS6_6detail15normal_iteratorINS6_10device_ptrIKdEEEESL_NS6_8equal_toIdEEEENSG_9not_fun_tINSD_8identityEEEEENSD_19counting_iterator_tIlEES8_S8_S8_S8_S8_S8_S8_S8_EEEEPS9_S9_NSD_9__find_if7functorIS9_EEEE10hipError_tPvRmT1_T2_T3_mT4_P12ihipStream_tbEUlT_E1_NS1_11comp_targetILNS1_3genE10ELNS1_11target_archE1200ELNS1_3gpuE4ELNS1_3repE0EEENS1_30default_config_static_selectorELNS0_4arch9wavefront6targetE0EEEvS14_.has_indirect_call, 0
	.section	.AMDGPU.csdata,"",@progbits
; Kernel info:
; codeLenInByte = 0
; TotalNumSgprs: 0
; NumVgprs: 0
; ScratchSize: 0
; MemoryBound: 0
; FloatMode: 240
; IeeeMode: 1
; LDSByteSize: 0 bytes/workgroup (compile time only)
; SGPRBlocks: 0
; VGPRBlocks: 0
; NumSGPRsForWavesPerEU: 1
; NumVGPRsForWavesPerEU: 1
; Occupancy: 16
; WaveLimiterHint : 0
; COMPUTE_PGM_RSRC2:SCRATCH_EN: 0
; COMPUTE_PGM_RSRC2:USER_SGPR: 6
; COMPUTE_PGM_RSRC2:TRAP_HANDLER: 0
; COMPUTE_PGM_RSRC2:TGID_X_EN: 1
; COMPUTE_PGM_RSRC2:TGID_Y_EN: 0
; COMPUTE_PGM_RSRC2:TGID_Z_EN: 0
; COMPUTE_PGM_RSRC2:TIDIG_COMP_CNT: 0
	.section	.text._ZN7rocprim17ROCPRIM_400000_NS6detail17trampoline_kernelINS0_14default_configENS1_22reduce_config_selectorIN6thrust23THRUST_200600_302600_NS5tupleIblNS6_9null_typeES8_S8_S8_S8_S8_S8_S8_EEEEZNS1_11reduce_implILb1ES3_NS6_12zip_iteratorINS7_INS6_11hip_rocprim26transform_input_iterator_tIbNSD_35transform_pair_of_input_iterators_tIbNS6_6detail15normal_iteratorINS6_10device_ptrIKdEEEESL_NS6_8equal_toIdEEEENSG_9not_fun_tINSD_8identityEEEEENSD_19counting_iterator_tIlEES8_S8_S8_S8_S8_S8_S8_S8_EEEEPS9_S9_NSD_9__find_if7functorIS9_EEEE10hipError_tPvRmT1_T2_T3_mT4_P12ihipStream_tbEUlT_E1_NS1_11comp_targetILNS1_3genE9ELNS1_11target_archE1100ELNS1_3gpuE3ELNS1_3repE0EEENS1_30default_config_static_selectorELNS0_4arch9wavefront6targetE0EEEvS14_,"axG",@progbits,_ZN7rocprim17ROCPRIM_400000_NS6detail17trampoline_kernelINS0_14default_configENS1_22reduce_config_selectorIN6thrust23THRUST_200600_302600_NS5tupleIblNS6_9null_typeES8_S8_S8_S8_S8_S8_S8_EEEEZNS1_11reduce_implILb1ES3_NS6_12zip_iteratorINS7_INS6_11hip_rocprim26transform_input_iterator_tIbNSD_35transform_pair_of_input_iterators_tIbNS6_6detail15normal_iteratorINS6_10device_ptrIKdEEEESL_NS6_8equal_toIdEEEENSG_9not_fun_tINSD_8identityEEEEENSD_19counting_iterator_tIlEES8_S8_S8_S8_S8_S8_S8_S8_EEEEPS9_S9_NSD_9__find_if7functorIS9_EEEE10hipError_tPvRmT1_T2_T3_mT4_P12ihipStream_tbEUlT_E1_NS1_11comp_targetILNS1_3genE9ELNS1_11target_archE1100ELNS1_3gpuE3ELNS1_3repE0EEENS1_30default_config_static_selectorELNS0_4arch9wavefront6targetE0EEEvS14_,comdat
	.protected	_ZN7rocprim17ROCPRIM_400000_NS6detail17trampoline_kernelINS0_14default_configENS1_22reduce_config_selectorIN6thrust23THRUST_200600_302600_NS5tupleIblNS6_9null_typeES8_S8_S8_S8_S8_S8_S8_EEEEZNS1_11reduce_implILb1ES3_NS6_12zip_iteratorINS7_INS6_11hip_rocprim26transform_input_iterator_tIbNSD_35transform_pair_of_input_iterators_tIbNS6_6detail15normal_iteratorINS6_10device_ptrIKdEEEESL_NS6_8equal_toIdEEEENSG_9not_fun_tINSD_8identityEEEEENSD_19counting_iterator_tIlEES8_S8_S8_S8_S8_S8_S8_S8_EEEEPS9_S9_NSD_9__find_if7functorIS9_EEEE10hipError_tPvRmT1_T2_T3_mT4_P12ihipStream_tbEUlT_E1_NS1_11comp_targetILNS1_3genE9ELNS1_11target_archE1100ELNS1_3gpuE3ELNS1_3repE0EEENS1_30default_config_static_selectorELNS0_4arch9wavefront6targetE0EEEvS14_ ; -- Begin function _ZN7rocprim17ROCPRIM_400000_NS6detail17trampoline_kernelINS0_14default_configENS1_22reduce_config_selectorIN6thrust23THRUST_200600_302600_NS5tupleIblNS6_9null_typeES8_S8_S8_S8_S8_S8_S8_EEEEZNS1_11reduce_implILb1ES3_NS6_12zip_iteratorINS7_INS6_11hip_rocprim26transform_input_iterator_tIbNSD_35transform_pair_of_input_iterators_tIbNS6_6detail15normal_iteratorINS6_10device_ptrIKdEEEESL_NS6_8equal_toIdEEEENSG_9not_fun_tINSD_8identityEEEEENSD_19counting_iterator_tIlEES8_S8_S8_S8_S8_S8_S8_S8_EEEEPS9_S9_NSD_9__find_if7functorIS9_EEEE10hipError_tPvRmT1_T2_T3_mT4_P12ihipStream_tbEUlT_E1_NS1_11comp_targetILNS1_3genE9ELNS1_11target_archE1100ELNS1_3gpuE3ELNS1_3repE0EEENS1_30default_config_static_selectorELNS0_4arch9wavefront6targetE0EEEvS14_
	.globl	_ZN7rocprim17ROCPRIM_400000_NS6detail17trampoline_kernelINS0_14default_configENS1_22reduce_config_selectorIN6thrust23THRUST_200600_302600_NS5tupleIblNS6_9null_typeES8_S8_S8_S8_S8_S8_S8_EEEEZNS1_11reduce_implILb1ES3_NS6_12zip_iteratorINS7_INS6_11hip_rocprim26transform_input_iterator_tIbNSD_35transform_pair_of_input_iterators_tIbNS6_6detail15normal_iteratorINS6_10device_ptrIKdEEEESL_NS6_8equal_toIdEEEENSG_9not_fun_tINSD_8identityEEEEENSD_19counting_iterator_tIlEES8_S8_S8_S8_S8_S8_S8_S8_EEEEPS9_S9_NSD_9__find_if7functorIS9_EEEE10hipError_tPvRmT1_T2_T3_mT4_P12ihipStream_tbEUlT_E1_NS1_11comp_targetILNS1_3genE9ELNS1_11target_archE1100ELNS1_3gpuE3ELNS1_3repE0EEENS1_30default_config_static_selectorELNS0_4arch9wavefront6targetE0EEEvS14_
	.p2align	8
	.type	_ZN7rocprim17ROCPRIM_400000_NS6detail17trampoline_kernelINS0_14default_configENS1_22reduce_config_selectorIN6thrust23THRUST_200600_302600_NS5tupleIblNS6_9null_typeES8_S8_S8_S8_S8_S8_S8_EEEEZNS1_11reduce_implILb1ES3_NS6_12zip_iteratorINS7_INS6_11hip_rocprim26transform_input_iterator_tIbNSD_35transform_pair_of_input_iterators_tIbNS6_6detail15normal_iteratorINS6_10device_ptrIKdEEEESL_NS6_8equal_toIdEEEENSG_9not_fun_tINSD_8identityEEEEENSD_19counting_iterator_tIlEES8_S8_S8_S8_S8_S8_S8_S8_EEEEPS9_S9_NSD_9__find_if7functorIS9_EEEE10hipError_tPvRmT1_T2_T3_mT4_P12ihipStream_tbEUlT_E1_NS1_11comp_targetILNS1_3genE9ELNS1_11target_archE1100ELNS1_3gpuE3ELNS1_3repE0EEENS1_30default_config_static_selectorELNS0_4arch9wavefront6targetE0EEEvS14_,@function
_ZN7rocprim17ROCPRIM_400000_NS6detail17trampoline_kernelINS0_14default_configENS1_22reduce_config_selectorIN6thrust23THRUST_200600_302600_NS5tupleIblNS6_9null_typeES8_S8_S8_S8_S8_S8_S8_EEEEZNS1_11reduce_implILb1ES3_NS6_12zip_iteratorINS7_INS6_11hip_rocprim26transform_input_iterator_tIbNSD_35transform_pair_of_input_iterators_tIbNS6_6detail15normal_iteratorINS6_10device_ptrIKdEEEESL_NS6_8equal_toIdEEEENSG_9not_fun_tINSD_8identityEEEEENSD_19counting_iterator_tIlEES8_S8_S8_S8_S8_S8_S8_S8_EEEEPS9_S9_NSD_9__find_if7functorIS9_EEEE10hipError_tPvRmT1_T2_T3_mT4_P12ihipStream_tbEUlT_E1_NS1_11comp_targetILNS1_3genE9ELNS1_11target_archE1100ELNS1_3gpuE3ELNS1_3repE0EEENS1_30default_config_static_selectorELNS0_4arch9wavefront6targetE0EEEvS14_: ; @_ZN7rocprim17ROCPRIM_400000_NS6detail17trampoline_kernelINS0_14default_configENS1_22reduce_config_selectorIN6thrust23THRUST_200600_302600_NS5tupleIblNS6_9null_typeES8_S8_S8_S8_S8_S8_S8_EEEEZNS1_11reduce_implILb1ES3_NS6_12zip_iteratorINS7_INS6_11hip_rocprim26transform_input_iterator_tIbNSD_35transform_pair_of_input_iterators_tIbNS6_6detail15normal_iteratorINS6_10device_ptrIKdEEEESL_NS6_8equal_toIdEEEENSG_9not_fun_tINSD_8identityEEEEENSD_19counting_iterator_tIlEES8_S8_S8_S8_S8_S8_S8_S8_EEEEPS9_S9_NSD_9__find_if7functorIS9_EEEE10hipError_tPvRmT1_T2_T3_mT4_P12ihipStream_tbEUlT_E1_NS1_11comp_targetILNS1_3genE9ELNS1_11target_archE1100ELNS1_3gpuE3ELNS1_3repE0EEENS1_30default_config_static_selectorELNS0_4arch9wavefront6targetE0EEEvS14_
; %bb.0:
	.section	.rodata,"a",@progbits
	.p2align	6, 0x0
	.amdhsa_kernel _ZN7rocprim17ROCPRIM_400000_NS6detail17trampoline_kernelINS0_14default_configENS1_22reduce_config_selectorIN6thrust23THRUST_200600_302600_NS5tupleIblNS6_9null_typeES8_S8_S8_S8_S8_S8_S8_EEEEZNS1_11reduce_implILb1ES3_NS6_12zip_iteratorINS7_INS6_11hip_rocprim26transform_input_iterator_tIbNSD_35transform_pair_of_input_iterators_tIbNS6_6detail15normal_iteratorINS6_10device_ptrIKdEEEESL_NS6_8equal_toIdEEEENSG_9not_fun_tINSD_8identityEEEEENSD_19counting_iterator_tIlEES8_S8_S8_S8_S8_S8_S8_S8_EEEEPS9_S9_NSD_9__find_if7functorIS9_EEEE10hipError_tPvRmT1_T2_T3_mT4_P12ihipStream_tbEUlT_E1_NS1_11comp_targetILNS1_3genE9ELNS1_11target_archE1100ELNS1_3gpuE3ELNS1_3repE0EEENS1_30default_config_static_selectorELNS0_4arch9wavefront6targetE0EEEvS14_
		.amdhsa_group_segment_fixed_size 0
		.amdhsa_private_segment_fixed_size 0
		.amdhsa_kernarg_size 88
		.amdhsa_user_sgpr_count 6
		.amdhsa_user_sgpr_private_segment_buffer 1
		.amdhsa_user_sgpr_dispatch_ptr 0
		.amdhsa_user_sgpr_queue_ptr 0
		.amdhsa_user_sgpr_kernarg_segment_ptr 1
		.amdhsa_user_sgpr_dispatch_id 0
		.amdhsa_user_sgpr_flat_scratch_init 0
		.amdhsa_user_sgpr_private_segment_size 0
		.amdhsa_wavefront_size32 1
		.amdhsa_uses_dynamic_stack 0
		.amdhsa_system_sgpr_private_segment_wavefront_offset 0
		.amdhsa_system_sgpr_workgroup_id_x 1
		.amdhsa_system_sgpr_workgroup_id_y 0
		.amdhsa_system_sgpr_workgroup_id_z 0
		.amdhsa_system_sgpr_workgroup_info 0
		.amdhsa_system_vgpr_workitem_id 0
		.amdhsa_next_free_vgpr 1
		.amdhsa_next_free_sgpr 1
		.amdhsa_reserve_vcc 0
		.amdhsa_reserve_flat_scratch 0
		.amdhsa_float_round_mode_32 0
		.amdhsa_float_round_mode_16_64 0
		.amdhsa_float_denorm_mode_32 3
		.amdhsa_float_denorm_mode_16_64 3
		.amdhsa_dx10_clamp 1
		.amdhsa_ieee_mode 1
		.amdhsa_fp16_overflow 0
		.amdhsa_workgroup_processor_mode 1
		.amdhsa_memory_ordered 1
		.amdhsa_forward_progress 1
		.amdhsa_shared_vgpr_count 0
		.amdhsa_exception_fp_ieee_invalid_op 0
		.amdhsa_exception_fp_denorm_src 0
		.amdhsa_exception_fp_ieee_div_zero 0
		.amdhsa_exception_fp_ieee_overflow 0
		.amdhsa_exception_fp_ieee_underflow 0
		.amdhsa_exception_fp_ieee_inexact 0
		.amdhsa_exception_int_div_zero 0
	.end_amdhsa_kernel
	.section	.text._ZN7rocprim17ROCPRIM_400000_NS6detail17trampoline_kernelINS0_14default_configENS1_22reduce_config_selectorIN6thrust23THRUST_200600_302600_NS5tupleIblNS6_9null_typeES8_S8_S8_S8_S8_S8_S8_EEEEZNS1_11reduce_implILb1ES3_NS6_12zip_iteratorINS7_INS6_11hip_rocprim26transform_input_iterator_tIbNSD_35transform_pair_of_input_iterators_tIbNS6_6detail15normal_iteratorINS6_10device_ptrIKdEEEESL_NS6_8equal_toIdEEEENSG_9not_fun_tINSD_8identityEEEEENSD_19counting_iterator_tIlEES8_S8_S8_S8_S8_S8_S8_S8_EEEEPS9_S9_NSD_9__find_if7functorIS9_EEEE10hipError_tPvRmT1_T2_T3_mT4_P12ihipStream_tbEUlT_E1_NS1_11comp_targetILNS1_3genE9ELNS1_11target_archE1100ELNS1_3gpuE3ELNS1_3repE0EEENS1_30default_config_static_selectorELNS0_4arch9wavefront6targetE0EEEvS14_,"axG",@progbits,_ZN7rocprim17ROCPRIM_400000_NS6detail17trampoline_kernelINS0_14default_configENS1_22reduce_config_selectorIN6thrust23THRUST_200600_302600_NS5tupleIblNS6_9null_typeES8_S8_S8_S8_S8_S8_S8_EEEEZNS1_11reduce_implILb1ES3_NS6_12zip_iteratorINS7_INS6_11hip_rocprim26transform_input_iterator_tIbNSD_35transform_pair_of_input_iterators_tIbNS6_6detail15normal_iteratorINS6_10device_ptrIKdEEEESL_NS6_8equal_toIdEEEENSG_9not_fun_tINSD_8identityEEEEENSD_19counting_iterator_tIlEES8_S8_S8_S8_S8_S8_S8_S8_EEEEPS9_S9_NSD_9__find_if7functorIS9_EEEE10hipError_tPvRmT1_T2_T3_mT4_P12ihipStream_tbEUlT_E1_NS1_11comp_targetILNS1_3genE9ELNS1_11target_archE1100ELNS1_3gpuE3ELNS1_3repE0EEENS1_30default_config_static_selectorELNS0_4arch9wavefront6targetE0EEEvS14_,comdat
.Lfunc_end53:
	.size	_ZN7rocprim17ROCPRIM_400000_NS6detail17trampoline_kernelINS0_14default_configENS1_22reduce_config_selectorIN6thrust23THRUST_200600_302600_NS5tupleIblNS6_9null_typeES8_S8_S8_S8_S8_S8_S8_EEEEZNS1_11reduce_implILb1ES3_NS6_12zip_iteratorINS7_INS6_11hip_rocprim26transform_input_iterator_tIbNSD_35transform_pair_of_input_iterators_tIbNS6_6detail15normal_iteratorINS6_10device_ptrIKdEEEESL_NS6_8equal_toIdEEEENSG_9not_fun_tINSD_8identityEEEEENSD_19counting_iterator_tIlEES8_S8_S8_S8_S8_S8_S8_S8_EEEEPS9_S9_NSD_9__find_if7functorIS9_EEEE10hipError_tPvRmT1_T2_T3_mT4_P12ihipStream_tbEUlT_E1_NS1_11comp_targetILNS1_3genE9ELNS1_11target_archE1100ELNS1_3gpuE3ELNS1_3repE0EEENS1_30default_config_static_selectorELNS0_4arch9wavefront6targetE0EEEvS14_, .Lfunc_end53-_ZN7rocprim17ROCPRIM_400000_NS6detail17trampoline_kernelINS0_14default_configENS1_22reduce_config_selectorIN6thrust23THRUST_200600_302600_NS5tupleIblNS6_9null_typeES8_S8_S8_S8_S8_S8_S8_EEEEZNS1_11reduce_implILb1ES3_NS6_12zip_iteratorINS7_INS6_11hip_rocprim26transform_input_iterator_tIbNSD_35transform_pair_of_input_iterators_tIbNS6_6detail15normal_iteratorINS6_10device_ptrIKdEEEESL_NS6_8equal_toIdEEEENSG_9not_fun_tINSD_8identityEEEEENSD_19counting_iterator_tIlEES8_S8_S8_S8_S8_S8_S8_S8_EEEEPS9_S9_NSD_9__find_if7functorIS9_EEEE10hipError_tPvRmT1_T2_T3_mT4_P12ihipStream_tbEUlT_E1_NS1_11comp_targetILNS1_3genE9ELNS1_11target_archE1100ELNS1_3gpuE3ELNS1_3repE0EEENS1_30default_config_static_selectorELNS0_4arch9wavefront6targetE0EEEvS14_
                                        ; -- End function
	.set _ZN7rocprim17ROCPRIM_400000_NS6detail17trampoline_kernelINS0_14default_configENS1_22reduce_config_selectorIN6thrust23THRUST_200600_302600_NS5tupleIblNS6_9null_typeES8_S8_S8_S8_S8_S8_S8_EEEEZNS1_11reduce_implILb1ES3_NS6_12zip_iteratorINS7_INS6_11hip_rocprim26transform_input_iterator_tIbNSD_35transform_pair_of_input_iterators_tIbNS6_6detail15normal_iteratorINS6_10device_ptrIKdEEEESL_NS6_8equal_toIdEEEENSG_9not_fun_tINSD_8identityEEEEENSD_19counting_iterator_tIlEES8_S8_S8_S8_S8_S8_S8_S8_EEEEPS9_S9_NSD_9__find_if7functorIS9_EEEE10hipError_tPvRmT1_T2_T3_mT4_P12ihipStream_tbEUlT_E1_NS1_11comp_targetILNS1_3genE9ELNS1_11target_archE1100ELNS1_3gpuE3ELNS1_3repE0EEENS1_30default_config_static_selectorELNS0_4arch9wavefront6targetE0EEEvS14_.num_vgpr, 0
	.set _ZN7rocprim17ROCPRIM_400000_NS6detail17trampoline_kernelINS0_14default_configENS1_22reduce_config_selectorIN6thrust23THRUST_200600_302600_NS5tupleIblNS6_9null_typeES8_S8_S8_S8_S8_S8_S8_EEEEZNS1_11reduce_implILb1ES3_NS6_12zip_iteratorINS7_INS6_11hip_rocprim26transform_input_iterator_tIbNSD_35transform_pair_of_input_iterators_tIbNS6_6detail15normal_iteratorINS6_10device_ptrIKdEEEESL_NS6_8equal_toIdEEEENSG_9not_fun_tINSD_8identityEEEEENSD_19counting_iterator_tIlEES8_S8_S8_S8_S8_S8_S8_S8_EEEEPS9_S9_NSD_9__find_if7functorIS9_EEEE10hipError_tPvRmT1_T2_T3_mT4_P12ihipStream_tbEUlT_E1_NS1_11comp_targetILNS1_3genE9ELNS1_11target_archE1100ELNS1_3gpuE3ELNS1_3repE0EEENS1_30default_config_static_selectorELNS0_4arch9wavefront6targetE0EEEvS14_.num_agpr, 0
	.set _ZN7rocprim17ROCPRIM_400000_NS6detail17trampoline_kernelINS0_14default_configENS1_22reduce_config_selectorIN6thrust23THRUST_200600_302600_NS5tupleIblNS6_9null_typeES8_S8_S8_S8_S8_S8_S8_EEEEZNS1_11reduce_implILb1ES3_NS6_12zip_iteratorINS7_INS6_11hip_rocprim26transform_input_iterator_tIbNSD_35transform_pair_of_input_iterators_tIbNS6_6detail15normal_iteratorINS6_10device_ptrIKdEEEESL_NS6_8equal_toIdEEEENSG_9not_fun_tINSD_8identityEEEEENSD_19counting_iterator_tIlEES8_S8_S8_S8_S8_S8_S8_S8_EEEEPS9_S9_NSD_9__find_if7functorIS9_EEEE10hipError_tPvRmT1_T2_T3_mT4_P12ihipStream_tbEUlT_E1_NS1_11comp_targetILNS1_3genE9ELNS1_11target_archE1100ELNS1_3gpuE3ELNS1_3repE0EEENS1_30default_config_static_selectorELNS0_4arch9wavefront6targetE0EEEvS14_.numbered_sgpr, 0
	.set _ZN7rocprim17ROCPRIM_400000_NS6detail17trampoline_kernelINS0_14default_configENS1_22reduce_config_selectorIN6thrust23THRUST_200600_302600_NS5tupleIblNS6_9null_typeES8_S8_S8_S8_S8_S8_S8_EEEEZNS1_11reduce_implILb1ES3_NS6_12zip_iteratorINS7_INS6_11hip_rocprim26transform_input_iterator_tIbNSD_35transform_pair_of_input_iterators_tIbNS6_6detail15normal_iteratorINS6_10device_ptrIKdEEEESL_NS6_8equal_toIdEEEENSG_9not_fun_tINSD_8identityEEEEENSD_19counting_iterator_tIlEES8_S8_S8_S8_S8_S8_S8_S8_EEEEPS9_S9_NSD_9__find_if7functorIS9_EEEE10hipError_tPvRmT1_T2_T3_mT4_P12ihipStream_tbEUlT_E1_NS1_11comp_targetILNS1_3genE9ELNS1_11target_archE1100ELNS1_3gpuE3ELNS1_3repE0EEENS1_30default_config_static_selectorELNS0_4arch9wavefront6targetE0EEEvS14_.num_named_barrier, 0
	.set _ZN7rocprim17ROCPRIM_400000_NS6detail17trampoline_kernelINS0_14default_configENS1_22reduce_config_selectorIN6thrust23THRUST_200600_302600_NS5tupleIblNS6_9null_typeES8_S8_S8_S8_S8_S8_S8_EEEEZNS1_11reduce_implILb1ES3_NS6_12zip_iteratorINS7_INS6_11hip_rocprim26transform_input_iterator_tIbNSD_35transform_pair_of_input_iterators_tIbNS6_6detail15normal_iteratorINS6_10device_ptrIKdEEEESL_NS6_8equal_toIdEEEENSG_9not_fun_tINSD_8identityEEEEENSD_19counting_iterator_tIlEES8_S8_S8_S8_S8_S8_S8_S8_EEEEPS9_S9_NSD_9__find_if7functorIS9_EEEE10hipError_tPvRmT1_T2_T3_mT4_P12ihipStream_tbEUlT_E1_NS1_11comp_targetILNS1_3genE9ELNS1_11target_archE1100ELNS1_3gpuE3ELNS1_3repE0EEENS1_30default_config_static_selectorELNS0_4arch9wavefront6targetE0EEEvS14_.private_seg_size, 0
	.set _ZN7rocprim17ROCPRIM_400000_NS6detail17trampoline_kernelINS0_14default_configENS1_22reduce_config_selectorIN6thrust23THRUST_200600_302600_NS5tupleIblNS6_9null_typeES8_S8_S8_S8_S8_S8_S8_EEEEZNS1_11reduce_implILb1ES3_NS6_12zip_iteratorINS7_INS6_11hip_rocprim26transform_input_iterator_tIbNSD_35transform_pair_of_input_iterators_tIbNS6_6detail15normal_iteratorINS6_10device_ptrIKdEEEESL_NS6_8equal_toIdEEEENSG_9not_fun_tINSD_8identityEEEEENSD_19counting_iterator_tIlEES8_S8_S8_S8_S8_S8_S8_S8_EEEEPS9_S9_NSD_9__find_if7functorIS9_EEEE10hipError_tPvRmT1_T2_T3_mT4_P12ihipStream_tbEUlT_E1_NS1_11comp_targetILNS1_3genE9ELNS1_11target_archE1100ELNS1_3gpuE3ELNS1_3repE0EEENS1_30default_config_static_selectorELNS0_4arch9wavefront6targetE0EEEvS14_.uses_vcc, 0
	.set _ZN7rocprim17ROCPRIM_400000_NS6detail17trampoline_kernelINS0_14default_configENS1_22reduce_config_selectorIN6thrust23THRUST_200600_302600_NS5tupleIblNS6_9null_typeES8_S8_S8_S8_S8_S8_S8_EEEEZNS1_11reduce_implILb1ES3_NS6_12zip_iteratorINS7_INS6_11hip_rocprim26transform_input_iterator_tIbNSD_35transform_pair_of_input_iterators_tIbNS6_6detail15normal_iteratorINS6_10device_ptrIKdEEEESL_NS6_8equal_toIdEEEENSG_9not_fun_tINSD_8identityEEEEENSD_19counting_iterator_tIlEES8_S8_S8_S8_S8_S8_S8_S8_EEEEPS9_S9_NSD_9__find_if7functorIS9_EEEE10hipError_tPvRmT1_T2_T3_mT4_P12ihipStream_tbEUlT_E1_NS1_11comp_targetILNS1_3genE9ELNS1_11target_archE1100ELNS1_3gpuE3ELNS1_3repE0EEENS1_30default_config_static_selectorELNS0_4arch9wavefront6targetE0EEEvS14_.uses_flat_scratch, 0
	.set _ZN7rocprim17ROCPRIM_400000_NS6detail17trampoline_kernelINS0_14default_configENS1_22reduce_config_selectorIN6thrust23THRUST_200600_302600_NS5tupleIblNS6_9null_typeES8_S8_S8_S8_S8_S8_S8_EEEEZNS1_11reduce_implILb1ES3_NS6_12zip_iteratorINS7_INS6_11hip_rocprim26transform_input_iterator_tIbNSD_35transform_pair_of_input_iterators_tIbNS6_6detail15normal_iteratorINS6_10device_ptrIKdEEEESL_NS6_8equal_toIdEEEENSG_9not_fun_tINSD_8identityEEEEENSD_19counting_iterator_tIlEES8_S8_S8_S8_S8_S8_S8_S8_EEEEPS9_S9_NSD_9__find_if7functorIS9_EEEE10hipError_tPvRmT1_T2_T3_mT4_P12ihipStream_tbEUlT_E1_NS1_11comp_targetILNS1_3genE9ELNS1_11target_archE1100ELNS1_3gpuE3ELNS1_3repE0EEENS1_30default_config_static_selectorELNS0_4arch9wavefront6targetE0EEEvS14_.has_dyn_sized_stack, 0
	.set _ZN7rocprim17ROCPRIM_400000_NS6detail17trampoline_kernelINS0_14default_configENS1_22reduce_config_selectorIN6thrust23THRUST_200600_302600_NS5tupleIblNS6_9null_typeES8_S8_S8_S8_S8_S8_S8_EEEEZNS1_11reduce_implILb1ES3_NS6_12zip_iteratorINS7_INS6_11hip_rocprim26transform_input_iterator_tIbNSD_35transform_pair_of_input_iterators_tIbNS6_6detail15normal_iteratorINS6_10device_ptrIKdEEEESL_NS6_8equal_toIdEEEENSG_9not_fun_tINSD_8identityEEEEENSD_19counting_iterator_tIlEES8_S8_S8_S8_S8_S8_S8_S8_EEEEPS9_S9_NSD_9__find_if7functorIS9_EEEE10hipError_tPvRmT1_T2_T3_mT4_P12ihipStream_tbEUlT_E1_NS1_11comp_targetILNS1_3genE9ELNS1_11target_archE1100ELNS1_3gpuE3ELNS1_3repE0EEENS1_30default_config_static_selectorELNS0_4arch9wavefront6targetE0EEEvS14_.has_recursion, 0
	.set _ZN7rocprim17ROCPRIM_400000_NS6detail17trampoline_kernelINS0_14default_configENS1_22reduce_config_selectorIN6thrust23THRUST_200600_302600_NS5tupleIblNS6_9null_typeES8_S8_S8_S8_S8_S8_S8_EEEEZNS1_11reduce_implILb1ES3_NS6_12zip_iteratorINS7_INS6_11hip_rocprim26transform_input_iterator_tIbNSD_35transform_pair_of_input_iterators_tIbNS6_6detail15normal_iteratorINS6_10device_ptrIKdEEEESL_NS6_8equal_toIdEEEENSG_9not_fun_tINSD_8identityEEEEENSD_19counting_iterator_tIlEES8_S8_S8_S8_S8_S8_S8_S8_EEEEPS9_S9_NSD_9__find_if7functorIS9_EEEE10hipError_tPvRmT1_T2_T3_mT4_P12ihipStream_tbEUlT_E1_NS1_11comp_targetILNS1_3genE9ELNS1_11target_archE1100ELNS1_3gpuE3ELNS1_3repE0EEENS1_30default_config_static_selectorELNS0_4arch9wavefront6targetE0EEEvS14_.has_indirect_call, 0
	.section	.AMDGPU.csdata,"",@progbits
; Kernel info:
; codeLenInByte = 0
; TotalNumSgprs: 0
; NumVgprs: 0
; ScratchSize: 0
; MemoryBound: 0
; FloatMode: 240
; IeeeMode: 1
; LDSByteSize: 0 bytes/workgroup (compile time only)
; SGPRBlocks: 0
; VGPRBlocks: 0
; NumSGPRsForWavesPerEU: 1
; NumVGPRsForWavesPerEU: 1
; Occupancy: 16
; WaveLimiterHint : 0
; COMPUTE_PGM_RSRC2:SCRATCH_EN: 0
; COMPUTE_PGM_RSRC2:USER_SGPR: 6
; COMPUTE_PGM_RSRC2:TRAP_HANDLER: 0
; COMPUTE_PGM_RSRC2:TGID_X_EN: 1
; COMPUTE_PGM_RSRC2:TGID_Y_EN: 0
; COMPUTE_PGM_RSRC2:TGID_Z_EN: 0
; COMPUTE_PGM_RSRC2:TIDIG_COMP_CNT: 0
	.section	.text._ZN7rocprim17ROCPRIM_400000_NS6detail17trampoline_kernelINS0_14default_configENS1_22reduce_config_selectorIN6thrust23THRUST_200600_302600_NS5tupleIblNS6_9null_typeES8_S8_S8_S8_S8_S8_S8_EEEEZNS1_11reduce_implILb1ES3_NS6_12zip_iteratorINS7_INS6_11hip_rocprim26transform_input_iterator_tIbNSD_35transform_pair_of_input_iterators_tIbNS6_6detail15normal_iteratorINS6_10device_ptrIKdEEEESL_NS6_8equal_toIdEEEENSG_9not_fun_tINSD_8identityEEEEENSD_19counting_iterator_tIlEES8_S8_S8_S8_S8_S8_S8_S8_EEEEPS9_S9_NSD_9__find_if7functorIS9_EEEE10hipError_tPvRmT1_T2_T3_mT4_P12ihipStream_tbEUlT_E1_NS1_11comp_targetILNS1_3genE8ELNS1_11target_archE1030ELNS1_3gpuE2ELNS1_3repE0EEENS1_30default_config_static_selectorELNS0_4arch9wavefront6targetE0EEEvS14_,"axG",@progbits,_ZN7rocprim17ROCPRIM_400000_NS6detail17trampoline_kernelINS0_14default_configENS1_22reduce_config_selectorIN6thrust23THRUST_200600_302600_NS5tupleIblNS6_9null_typeES8_S8_S8_S8_S8_S8_S8_EEEEZNS1_11reduce_implILb1ES3_NS6_12zip_iteratorINS7_INS6_11hip_rocprim26transform_input_iterator_tIbNSD_35transform_pair_of_input_iterators_tIbNS6_6detail15normal_iteratorINS6_10device_ptrIKdEEEESL_NS6_8equal_toIdEEEENSG_9not_fun_tINSD_8identityEEEEENSD_19counting_iterator_tIlEES8_S8_S8_S8_S8_S8_S8_S8_EEEEPS9_S9_NSD_9__find_if7functorIS9_EEEE10hipError_tPvRmT1_T2_T3_mT4_P12ihipStream_tbEUlT_E1_NS1_11comp_targetILNS1_3genE8ELNS1_11target_archE1030ELNS1_3gpuE2ELNS1_3repE0EEENS1_30default_config_static_selectorELNS0_4arch9wavefront6targetE0EEEvS14_,comdat
	.protected	_ZN7rocprim17ROCPRIM_400000_NS6detail17trampoline_kernelINS0_14default_configENS1_22reduce_config_selectorIN6thrust23THRUST_200600_302600_NS5tupleIblNS6_9null_typeES8_S8_S8_S8_S8_S8_S8_EEEEZNS1_11reduce_implILb1ES3_NS6_12zip_iteratorINS7_INS6_11hip_rocprim26transform_input_iterator_tIbNSD_35transform_pair_of_input_iterators_tIbNS6_6detail15normal_iteratorINS6_10device_ptrIKdEEEESL_NS6_8equal_toIdEEEENSG_9not_fun_tINSD_8identityEEEEENSD_19counting_iterator_tIlEES8_S8_S8_S8_S8_S8_S8_S8_EEEEPS9_S9_NSD_9__find_if7functorIS9_EEEE10hipError_tPvRmT1_T2_T3_mT4_P12ihipStream_tbEUlT_E1_NS1_11comp_targetILNS1_3genE8ELNS1_11target_archE1030ELNS1_3gpuE2ELNS1_3repE0EEENS1_30default_config_static_selectorELNS0_4arch9wavefront6targetE0EEEvS14_ ; -- Begin function _ZN7rocprim17ROCPRIM_400000_NS6detail17trampoline_kernelINS0_14default_configENS1_22reduce_config_selectorIN6thrust23THRUST_200600_302600_NS5tupleIblNS6_9null_typeES8_S8_S8_S8_S8_S8_S8_EEEEZNS1_11reduce_implILb1ES3_NS6_12zip_iteratorINS7_INS6_11hip_rocprim26transform_input_iterator_tIbNSD_35transform_pair_of_input_iterators_tIbNS6_6detail15normal_iteratorINS6_10device_ptrIKdEEEESL_NS6_8equal_toIdEEEENSG_9not_fun_tINSD_8identityEEEEENSD_19counting_iterator_tIlEES8_S8_S8_S8_S8_S8_S8_S8_EEEEPS9_S9_NSD_9__find_if7functorIS9_EEEE10hipError_tPvRmT1_T2_T3_mT4_P12ihipStream_tbEUlT_E1_NS1_11comp_targetILNS1_3genE8ELNS1_11target_archE1030ELNS1_3gpuE2ELNS1_3repE0EEENS1_30default_config_static_selectorELNS0_4arch9wavefront6targetE0EEEvS14_
	.globl	_ZN7rocprim17ROCPRIM_400000_NS6detail17trampoline_kernelINS0_14default_configENS1_22reduce_config_selectorIN6thrust23THRUST_200600_302600_NS5tupleIblNS6_9null_typeES8_S8_S8_S8_S8_S8_S8_EEEEZNS1_11reduce_implILb1ES3_NS6_12zip_iteratorINS7_INS6_11hip_rocprim26transform_input_iterator_tIbNSD_35transform_pair_of_input_iterators_tIbNS6_6detail15normal_iteratorINS6_10device_ptrIKdEEEESL_NS6_8equal_toIdEEEENSG_9not_fun_tINSD_8identityEEEEENSD_19counting_iterator_tIlEES8_S8_S8_S8_S8_S8_S8_S8_EEEEPS9_S9_NSD_9__find_if7functorIS9_EEEE10hipError_tPvRmT1_T2_T3_mT4_P12ihipStream_tbEUlT_E1_NS1_11comp_targetILNS1_3genE8ELNS1_11target_archE1030ELNS1_3gpuE2ELNS1_3repE0EEENS1_30default_config_static_selectorELNS0_4arch9wavefront6targetE0EEEvS14_
	.p2align	8
	.type	_ZN7rocprim17ROCPRIM_400000_NS6detail17trampoline_kernelINS0_14default_configENS1_22reduce_config_selectorIN6thrust23THRUST_200600_302600_NS5tupleIblNS6_9null_typeES8_S8_S8_S8_S8_S8_S8_EEEEZNS1_11reduce_implILb1ES3_NS6_12zip_iteratorINS7_INS6_11hip_rocprim26transform_input_iterator_tIbNSD_35transform_pair_of_input_iterators_tIbNS6_6detail15normal_iteratorINS6_10device_ptrIKdEEEESL_NS6_8equal_toIdEEEENSG_9not_fun_tINSD_8identityEEEEENSD_19counting_iterator_tIlEES8_S8_S8_S8_S8_S8_S8_S8_EEEEPS9_S9_NSD_9__find_if7functorIS9_EEEE10hipError_tPvRmT1_T2_T3_mT4_P12ihipStream_tbEUlT_E1_NS1_11comp_targetILNS1_3genE8ELNS1_11target_archE1030ELNS1_3gpuE2ELNS1_3repE0EEENS1_30default_config_static_selectorELNS0_4arch9wavefront6targetE0EEEvS14_,@function
_ZN7rocprim17ROCPRIM_400000_NS6detail17trampoline_kernelINS0_14default_configENS1_22reduce_config_selectorIN6thrust23THRUST_200600_302600_NS5tupleIblNS6_9null_typeES8_S8_S8_S8_S8_S8_S8_EEEEZNS1_11reduce_implILb1ES3_NS6_12zip_iteratorINS7_INS6_11hip_rocprim26transform_input_iterator_tIbNSD_35transform_pair_of_input_iterators_tIbNS6_6detail15normal_iteratorINS6_10device_ptrIKdEEEESL_NS6_8equal_toIdEEEENSG_9not_fun_tINSD_8identityEEEEENSD_19counting_iterator_tIlEES8_S8_S8_S8_S8_S8_S8_S8_EEEEPS9_S9_NSD_9__find_if7functorIS9_EEEE10hipError_tPvRmT1_T2_T3_mT4_P12ihipStream_tbEUlT_E1_NS1_11comp_targetILNS1_3genE8ELNS1_11target_archE1030ELNS1_3gpuE2ELNS1_3repE0EEENS1_30default_config_static_selectorELNS0_4arch9wavefront6targetE0EEEvS14_: ; @_ZN7rocprim17ROCPRIM_400000_NS6detail17trampoline_kernelINS0_14default_configENS1_22reduce_config_selectorIN6thrust23THRUST_200600_302600_NS5tupleIblNS6_9null_typeES8_S8_S8_S8_S8_S8_S8_EEEEZNS1_11reduce_implILb1ES3_NS6_12zip_iteratorINS7_INS6_11hip_rocprim26transform_input_iterator_tIbNSD_35transform_pair_of_input_iterators_tIbNS6_6detail15normal_iteratorINS6_10device_ptrIKdEEEESL_NS6_8equal_toIdEEEENSG_9not_fun_tINSD_8identityEEEEENSD_19counting_iterator_tIlEES8_S8_S8_S8_S8_S8_S8_S8_EEEEPS9_S9_NSD_9__find_if7functorIS9_EEEE10hipError_tPvRmT1_T2_T3_mT4_P12ihipStream_tbEUlT_E1_NS1_11comp_targetILNS1_3genE8ELNS1_11target_archE1030ELNS1_3gpuE2ELNS1_3repE0EEENS1_30default_config_static_selectorELNS0_4arch9wavefront6targetE0EEEvS14_
; %bb.0:
	s_clause 0x4
	s_load_dword s29, s[4:5], 0x4
	s_load_dwordx4 s[16:19], s[4:5], 0x8
	s_load_dwordx4 s[12:15], s[4:5], 0x28
	s_load_dword s28, s[4:5], 0x40
	s_load_dwordx2 s[20:21], s[4:5], 0x48
	s_waitcnt lgkmcnt(0)
	s_cmp_lt_i32 s29, 4
	s_cbranch_scc1 .LBB54_21
; %bb.1:
	s_cmp_gt_i32 s29, 7
	s_cbranch_scc0 .LBB54_22
; %bb.2:
	s_cmp_eq_u32 s29, 8
	s_mov_b32 s11, 0
	s_cbranch_scc0 .LBB54_23
; %bb.3:
	s_mov_b32 s7, 0
	s_lshl_b32 s26, s6, 11
	s_mov_b32 s27, s7
	s_lshr_b64 s[2:3], s[14:15], 11
	s_lshl_b64 s[0:1], s[26:27], 3
	s_add_u32 s22, s16, s0
	s_addc_u32 s23, s17, s1
	s_add_u32 s24, s18, s0
	s_addc_u32 s25, s19, s1
	;; [unrolled: 2-line block ×3, first 2 shown]
	s_cmp_lg_u64 s[2:3], s[6:7]
	s_cbranch_scc0 .LBB54_44
; %bb.4:
	v_lshlrev_b32_e32 v7, 3, v0
	v_mov_b32_e32 v33, 0x100
	v_add_co_u32 v29, s0, s22, v7
	v_add_co_ci_u32_e64 v30, null, s23, 0, s0
	v_add_co_u32 v31, s0, s24, v7
	v_add_co_ci_u32_e64 v32, null, s25, 0, s0
	v_add_co_u32 v1, vcc_lo, v29, 0x1000
	v_add_co_ci_u32_e64 v2, null, 0, v30, vcc_lo
	v_add_co_u32 v3, vcc_lo, v31, 0x1000
	v_add_co_ci_u32_e64 v4, null, 0, v32, vcc_lo
	v_add_co_u32 v13, vcc_lo, v29, 0x2000
	s_clause 0x1
	global_load_dwordx2 v[5:6], v7, s[22:23]
	global_load_dwordx2 v[7:8], v7, s[24:25]
	s_clause 0x1
	global_load_dwordx2 v[9:10], v[1:2], off offset:-2048
	global_load_dwordx2 v[1:2], v[1:2], off
	s_clause 0x1
	global_load_dwordx2 v[11:12], v[3:4], off offset:-2048
	global_load_dwordx2 v[3:4], v[3:4], off
	v_add_co_ci_u32_e64 v14, null, 0, v30, vcc_lo
	v_add_co_u32 v15, vcc_lo, v31, 0x2000
	v_add_co_ci_u32_e64 v16, null, 0, v32, vcc_lo
	v_add_co_u32 v19, vcc_lo, v29, 0x3000
	s_clause 0x1
	global_load_dwordx2 v[17:18], v[13:14], off offset:-2048
	global_load_dwordx2 v[13:14], v[13:14], off
	v_add_co_ci_u32_e64 v20, null, 0, v30, vcc_lo
	v_add_co_u32 v21, vcc_lo, v31, 0x3000
	v_add_co_ci_u32_e64 v22, null, 0, v32, vcc_lo
	s_clause 0x1
	global_load_dwordx2 v[23:24], v[15:16], off offset:-2048
	global_load_dwordx2 v[15:16], v[15:16], off
	s_clause 0x1
	global_load_dwordx2 v[25:26], v[19:20], off offset:-2048
	global_load_dwordx2 v[19:20], v[19:20], off
	;; [unrolled: 3-line block ×3, first 2 shown]
	v_add_co_u32 v29, vcc_lo, 0x3800, v29
	v_add_co_ci_u32_e64 v30, null, 0, v30, vcc_lo
	v_add_co_u32 v31, vcc_lo, 0x3800, v31
	v_add_co_ci_u32_e64 v32, null, 0, v32, vcc_lo
	global_load_dwordx2 v[29:30], v[29:30], off
	global_load_dwordx2 v[31:32], v[31:32], off
	s_waitcnt vmcnt(14)
	v_cmp_neq_f64_e64 s0, v[5:6], v[7:8]
	s_waitcnt vmcnt(11)
	v_cmp_neq_f64_e32 vcc_lo, v[9:10], v[11:12]
	s_waitcnt vmcnt(10)
	v_cmp_neq_f64_e64 s1, v[1:2], v[3:4]
	v_mov_b32_e32 v1, 0x300
	v_mov_b32_e32 v2, 0x500
	s_waitcnt vmcnt(7)
	v_cmp_neq_f64_e64 s2, v[17:18], v[23:24]
	s_waitcnt vmcnt(6)
	v_cmp_neq_f64_e64 s3, v[13:14], v[15:16]
	;; [unrolled: 2-line block ×4, first 2 shown]
	v_cndmask_b32_e32 v9, 0x200, v33, vcc_lo
	v_cndmask_b32_e64 v3, v9, 0, s0
	s_waitcnt vmcnt(0)
	v_cmp_neq_f64_e64 s10, v[29:30], v[31:32]
	s_or_b32 s0, s0, vcc_lo
	s_or_b32 vcc_lo, s0, s1
	v_cndmask_b32_e64 v1, 0x400, v1, s2
	s_or_b32 s0, vcc_lo, s2
	v_cndmask_b32_e64 v2, 0x600, v2, s8
	v_cndmask_b32_e32 v1, v1, v3, vcc_lo
	s_or_b32 vcc_lo, s0, s3
	s_or_b32 s0, vcc_lo, s8
	v_cndmask_b32_e32 v1, v2, v1, vcc_lo
	s_or_b32 vcc_lo, s0, s9
	v_add_co_u32 v2, s0, s27, v0
	v_add_co_ci_u32_e64 v3, null, s30, 0, s0
	v_cndmask_b32_e32 v1, 0x700, v1, vcc_lo
	v_add_co_u32 v1, s0, v2, v1
	v_add_co_ci_u32_e64 v2, null, 0, v3, s0
	s_or_b32 s0, vcc_lo, s10
	v_mov_b32_dpp v3, v1 quad_perm:[1,0,3,2] row_mask:0xf bank_mask:0xf
	v_cndmask_b32_e64 v5, 0, 1, s0
	v_mov_b32_dpp v4, v2 quad_perm:[1,0,3,2] row_mask:0xf bank_mask:0xf
	v_mov_b32_dpp v6, v5 quad_perm:[1,0,3,2] row_mask:0xf bank_mask:0xf
	v_cmp_lt_i64_e32 vcc_lo, v[1:2], v[3:4]
	v_and_b32_e32 v6, 1, v6
	s_and_b32 vcc_lo, s0, vcc_lo
	v_cndmask_b32_e32 v3, v3, v1, vcc_lo
	v_cndmask_b32_e32 v4, v4, v2, vcc_lo
	v_cmp_eq_u32_e32 vcc_lo, 1, v6
	v_cndmask_b32_e32 v2, v2, v4, vcc_lo
	v_cndmask_b32_e32 v1, v1, v3, vcc_lo
	v_cndmask_b32_e64 v5, v5, 1, vcc_lo
	v_mov_b32_dpp v4, v2 quad_perm:[2,3,0,1] row_mask:0xf bank_mask:0xf
	v_mov_b32_dpp v3, v1 quad_perm:[2,3,0,1] row_mask:0xf bank_mask:0xf
	v_and_b32_e32 v7, 1, v5
	v_mov_b32_dpp v6, v5 quad_perm:[2,3,0,1] row_mask:0xf bank_mask:0xf
	v_cmp_lt_i64_e32 vcc_lo, v[1:2], v[3:4]
	v_cmp_eq_u32_e64 s0, 1, v7
	v_and_b32_e32 v6, 1, v6
	s_and_b32 vcc_lo, s0, vcc_lo
	v_cmp_eq_u32_e64 s1, 1, v6
	v_cndmask_b32_e32 v3, v3, v1, vcc_lo
	v_cndmask_b32_e32 v4, v4, v2, vcc_lo
	v_cndmask_b32_e64 v5, v5, 1, s1
	v_cndmask_b32_e64 v1, v1, v3, s1
	;; [unrolled: 1-line block ×3, first 2 shown]
	v_and_b32_e32 v7, 1, v5
	v_mov_b32_dpp v3, v1 row_ror:4 row_mask:0xf bank_mask:0xf
	v_mov_b32_dpp v4, v2 row_ror:4 row_mask:0xf bank_mask:0xf
	;; [unrolled: 1-line block ×3, first 2 shown]
	v_cmp_eq_u32_e64 s0, 1, v7
	v_cmp_lt_i64_e32 vcc_lo, v[1:2], v[3:4]
	v_and_b32_e32 v6, 1, v6
	s_and_b32 vcc_lo, s0, vcc_lo
	v_cmp_eq_u32_e64 s1, 1, v6
	v_cndmask_b32_e32 v3, v3, v1, vcc_lo
	v_cndmask_b32_e32 v4, v4, v2, vcc_lo
	v_cndmask_b32_e64 v5, v5, 1, s1
	v_cndmask_b32_e64 v1, v1, v3, s1
	;; [unrolled: 1-line block ×3, first 2 shown]
	v_and_b32_e32 v7, 1, v5
	v_mov_b32_dpp v3, v1 row_ror:8 row_mask:0xf bank_mask:0xf
	v_mov_b32_dpp v4, v2 row_ror:8 row_mask:0xf bank_mask:0xf
	v_mov_b32_dpp v6, v5 row_ror:8 row_mask:0xf bank_mask:0xf
	v_cmp_eq_u32_e64 s0, 1, v7
	v_cmp_lt_i64_e32 vcc_lo, v[1:2], v[3:4]
	v_and_b32_e32 v6, 1, v6
	s_and_b32 vcc_lo, s0, vcc_lo
	v_cmp_eq_u32_e64 s1, 1, v6
	v_cndmask_b32_e32 v3, v3, v1, vcc_lo
	v_cndmask_b32_e32 v4, v4, v2, vcc_lo
	v_cndmask_b32_e64 v5, v5, 1, s1
	v_cndmask_b32_e64 v1, v1, v3, s1
	;; [unrolled: 1-line block ×3, first 2 shown]
	ds_swizzle_b32 v6, v5 offset:swizzle(BROADCAST,32,15)
	ds_swizzle_b32 v3, v1 offset:swizzle(BROADCAST,32,15)
	;; [unrolled: 1-line block ×3, first 2 shown]
	v_and_b32_e32 v7, 1, v5
	v_cmp_eq_u32_e64 s0, 1, v7
	v_mbcnt_lo_u32_b32 v7, -1, 0
	s_waitcnt lgkmcnt(2)
	v_and_b32_e32 v6, 1, v6
	s_waitcnt lgkmcnt(0)
	v_cmp_lt_i64_e32 vcc_lo, v[1:2], v[3:4]
	v_cmp_eq_u32_e64 s1, 1, v6
	v_mov_b32_e32 v6, 0
	s_and_b32 vcc_lo, s0, vcc_lo
	s_mov_b32 s0, exec_lo
	v_cndmask_b32_e32 v3, v3, v1, vcc_lo
	v_cndmask_b32_e32 v4, v4, v2, vcc_lo
	v_cndmask_b32_e64 v5, v5, 1, s1
	v_cndmask_b32_e64 v1, v1, v3, s1
	;; [unrolled: 1-line block ×3, first 2 shown]
	ds_bpermute_b32 v17, v6, v5 offset:124
	ds_bpermute_b32 v1, v6, v1 offset:124
	;; [unrolled: 1-line block ×3, first 2 shown]
	v_cmpx_eq_u32_e32 0, v7
	s_cbranch_execz .LBB54_6
; %bb.5:
	v_lshrrev_b32_e32 v3, 1, v0
	v_and_b32_e32 v3, 0x70, v3
	s_waitcnt lgkmcnt(2)
	ds_write_b8 v3, v17 offset:384
	s_waitcnt lgkmcnt(1)
	ds_write_b64 v3, v[1:2] offset:392
.LBB54_6:
	s_or_b32 exec_lo, exec_lo, s0
	s_mov_b32 s0, exec_lo
	s_waitcnt lgkmcnt(0)
	s_barrier
	buffer_gl0_inv
	v_cmpx_gt_u32_e32 32, v0
	s_cbranch_execz .LBB54_20
; %bb.7:
	v_and_b32_e32 v8, 7, v7
	v_lshlrev_b32_e32 v1, 4, v8
	v_cmp_ne_u32_e32 vcc_lo, 7, v8
	ds_read_u8 v10, v1 offset:384
	ds_read_b64 v[3:4], v1 offset:392
	v_add_co_ci_u32_e64 v2, null, 0, v7, vcc_lo
	v_lshlrev_b32_e32 v2, 2, v2
	s_waitcnt lgkmcnt(1)
	v_and_b32_e32 v1, 0xff, v10
	s_waitcnt lgkmcnt(0)
	ds_bpermute_b32 v5, v2, v3
	ds_bpermute_b32 v6, v2, v4
	;; [unrolled: 1-line block ×3, first 2 shown]
	s_waitcnt lgkmcnt(0)
	v_and_b32_e32 v1, v10, v11
	v_and_b32_e32 v1, 1, v1
	v_cmp_eq_u32_e32 vcc_lo, 1, v1
                                        ; implicit-def: $vgpr1_vgpr2
	s_and_saveexec_b32 s1, vcc_lo
	s_xor_b32 s1, exec_lo, s1
; %bb.8:
	v_cmp_lt_i64_e32 vcc_lo, v[5:6], v[3:4]
                                        ; implicit-def: $vgpr10
                                        ; implicit-def: $vgpr11
	v_cndmask_b32_e32 v2, v4, v6, vcc_lo
	v_cndmask_b32_e32 v1, v3, v5, vcc_lo
                                        ; implicit-def: $vgpr5_vgpr6
                                        ; implicit-def: $vgpr3_vgpr4
; %bb.9:
	s_or_saveexec_b32 s1, s1
	v_mov_b32_e32 v9, 1
	s_xor_b32 exec_lo, exec_lo, s1
; %bb.10:
	v_and_b32_e32 v1, 1, v10
	v_and_b32_e32 v9, 0xff, v11
	v_cmp_eq_u32_e32 vcc_lo, 1, v1
	v_cndmask_b32_e32 v2, v6, v4, vcc_lo
	v_cndmask_b32_e32 v1, v5, v3, vcc_lo
	v_cndmask_b32_e64 v9, v9, 1, vcc_lo
; %bb.11:
	s_or_b32 exec_lo, exec_lo, s1
	v_cmp_gt_u32_e32 vcc_lo, 6, v8
	v_cndmask_b32_e64 v3, 0, 2, vcc_lo
	v_add_lshl_u32 v3, v3, v7, 2
	ds_bpermute_b32 v8, v3, v9
	ds_bpermute_b32 v5, v3, v1
	;; [unrolled: 1-line block ×3, first 2 shown]
	s_waitcnt lgkmcnt(2)
	v_and_b32_e32 v3, v9, v8
	v_and_b32_e32 v3, 1, v3
	v_cmp_eq_u32_e32 vcc_lo, 1, v3
                                        ; implicit-def: $vgpr3_vgpr4
	s_and_saveexec_b32 s1, vcc_lo
	s_xor_b32 s1, exec_lo, s1
	s_cbranch_execz .LBB54_13
; %bb.12:
	s_waitcnt lgkmcnt(0)
	v_cmp_lt_i64_e32 vcc_lo, v[5:6], v[1:2]
                                        ; implicit-def: $vgpr9
                                        ; implicit-def: $vgpr8
	v_cndmask_b32_e32 v4, v2, v6, vcc_lo
	v_cndmask_b32_e32 v3, v1, v5, vcc_lo
                                        ; implicit-def: $vgpr5_vgpr6
                                        ; implicit-def: $vgpr1_vgpr2
.LBB54_13:
	s_or_saveexec_b32 s1, s1
	v_lshlrev_b32_e32 v10, 2, v7
	v_mov_b32_e32 v7, 1
	s_xor_b32 exec_lo, exec_lo, s1
	s_cbranch_execz .LBB54_15
; %bb.14:
	v_and_b32_e32 v3, 1, v9
	v_and_b32_e32 v7, 0xff, v8
	v_cmp_eq_u32_e32 vcc_lo, 1, v3
	s_waitcnt lgkmcnt(0)
	v_cndmask_b32_e32 v4, v6, v2, vcc_lo
	v_cndmask_b32_e32 v3, v5, v1, vcc_lo
	v_cndmask_b32_e64 v7, v7, 1, vcc_lo
.LBB54_15:
	s_or_b32 exec_lo, exec_lo, s1
	v_or_b32_e32 v1, 16, v10
	ds_bpermute_b32 v8, v1, v7
	s_waitcnt lgkmcnt(2)
	ds_bpermute_b32 v5, v1, v3
	s_waitcnt lgkmcnt(2)
	;; [unrolled: 2-line block ×3, first 2 shown]
	v_and_b32_e32 v1, v7, v8
	v_and_b32_e32 v1, 1, v1
	v_cmp_eq_u32_e32 vcc_lo, 1, v1
                                        ; implicit-def: $vgpr1_vgpr2
	s_and_saveexec_b32 s1, vcc_lo
	s_xor_b32 s1, exec_lo, s1
	s_cbranch_execz .LBB54_17
; %bb.16:
	s_waitcnt lgkmcnt(0)
	v_cmp_lt_i64_e32 vcc_lo, v[5:6], v[3:4]
                                        ; implicit-def: $vgpr7
                                        ; implicit-def: $vgpr8
	v_cndmask_b32_e32 v2, v4, v6, vcc_lo
	v_cndmask_b32_e32 v1, v3, v5, vcc_lo
                                        ; implicit-def: $vgpr5_vgpr6
                                        ; implicit-def: $vgpr3_vgpr4
.LBB54_17:
	s_or_saveexec_b32 s1, s1
	v_mov_b32_e32 v17, 1
	s_xor_b32 exec_lo, exec_lo, s1
	s_cbranch_execz .LBB54_19
; %bb.18:
	v_and_b32_e32 v1, 1, v7
	v_cmp_eq_u32_e32 vcc_lo, 1, v1
	s_waitcnt lgkmcnt(0)
	v_cndmask_b32_e32 v2, v6, v4, vcc_lo
	v_cndmask_b32_e32 v1, v5, v3, vcc_lo
	v_cndmask_b32_e64 v17, v8, 1, vcc_lo
.LBB54_19:
	s_or_b32 exec_lo, exec_lo, s1
.LBB54_20:
	s_or_b32 exec_lo, exec_lo, s0
	s_branch .LBB54_167
.LBB54_21:
	s_mov_b32 s24, 0
                                        ; implicit-def: $vgpr3_vgpr4
                                        ; implicit-def: $vgpr5
                                        ; implicit-def: $vgpr1_vgpr2
	s_cbranch_execnz .LBB54_247
	s_branch .LBB54_356
.LBB54_22:
	s_mov_b32 s11, -1
.LBB54_23:
	s_mov_b32 s24, 0
                                        ; implicit-def: $vgpr3_vgpr4
                                        ; implicit-def: $vgpr5
                                        ; implicit-def: $vgpr1_vgpr2
	s_and_b32 vcc_lo, exec_lo, s11
	s_cbranch_vccz .LBB54_172
.LBB54_24:
	s_cmp_eq_u32 s29, 4
	s_cbranch_scc0 .LBB54_43
; %bb.25:
	s_mov_b32 s7, 0
	s_lshl_b32 s22, s6, 10
	s_mov_b32 s23, s7
	s_lshr_b64 s[26:27], s[14:15], 10
	s_lshl_b64 s[0:1], s[22:23], 3
	s_add_u32 s8, s16, s0
	s_addc_u32 s9, s17, s1
	s_add_u32 s10, s18, s0
	s_addc_u32 s11, s19, s1
	;; [unrolled: 2-line block ×3, first 2 shown]
	s_cmp_lg_u64 s[26:27], s[6:7]
	s_cbranch_scc0 .LBB54_67
; %bb.26:
	v_lshlrev_b32_e32 v11, 3, v0
	v_mov_b32_e32 v17, 0x100
	v_add_co_u32 v13, s0, s8, v11
	v_add_co_ci_u32_e64 v14, null, s9, 0, s0
	v_add_co_u32 v15, s0, s10, v11
	v_add_co_ci_u32_e64 v16, null, s11, 0, s0
	v_add_co_u32 v1, vcc_lo, v13, 0x1000
	v_add_co_ci_u32_e64 v2, null, 0, v14, vcc_lo
	s_waitcnt lgkmcnt(1)
	v_add_co_u32 v3, vcc_lo, v15, 0x1000
	s_waitcnt lgkmcnt(0)
	v_add_co_ci_u32_e64 v4, null, 0, v16, vcc_lo
	global_load_dwordx2 v[5:6], v[1:2], off offset:-2048
	global_load_dwordx2 v[7:8], v[3:4], off offset:-2048
	s_clause 0x1
	global_load_dwordx2 v[9:10], v11, s[8:9]
	global_load_dwordx2 v[11:12], v11, s[10:11]
	global_load_dwordx2 v[1:2], v[1:2], off
	global_load_dwordx2 v[3:4], v[3:4], off
	v_add_co_u32 v13, vcc_lo, 0x1800, v13
	v_add_co_ci_u32_e64 v14, null, 0, v14, vcc_lo
	v_add_co_u32 v15, vcc_lo, 0x1800, v15
	v_add_co_ci_u32_e64 v16, null, 0, v16, vcc_lo
	global_load_dwordx2 v[13:14], v[13:14], off
	global_load_dwordx2 v[15:16], v[15:16], off
	s_waitcnt vmcnt(6)
	v_cmp_neq_f64_e32 vcc_lo, v[5:6], v[7:8]
	s_waitcnt vmcnt(4)
	v_cmp_neq_f64_e64 s0, v[9:10], v[11:12]
	s_waitcnt vmcnt(2)
	v_cmp_neq_f64_e64 s1, v[1:2], v[3:4]
	;; [unrolled: 2-line block ×3, first 2 shown]
	v_cndmask_b32_e32 v5, 0x200, v17, vcc_lo
	v_cndmask_b32_e64 v1, v5, 0, s0
	s_or_b32 s0, s0, vcc_lo
	s_or_b32 vcc_lo, s0, s1
	v_add_co_u32 v2, s0, s3, v0
	v_cndmask_b32_e32 v1, 0x300, v1, vcc_lo
	v_add_co_ci_u32_e64 v3, null, s23, 0, s0
	v_add_co_u32 v1, s0, v2, v1
	v_add_co_ci_u32_e64 v2, null, 0, v3, s0
	s_or_b32 s0, vcc_lo, s2
	v_mov_b32_dpp v3, v1 quad_perm:[1,0,3,2] row_mask:0xf bank_mask:0xf
	v_cndmask_b32_e64 v5, 0, 1, s0
	v_mov_b32_dpp v4, v2 quad_perm:[1,0,3,2] row_mask:0xf bank_mask:0xf
	v_mov_b32_dpp v6, v5 quad_perm:[1,0,3,2] row_mask:0xf bank_mask:0xf
	v_cmp_lt_i64_e32 vcc_lo, v[1:2], v[3:4]
	v_and_b32_e32 v6, 1, v6
	s_and_b32 vcc_lo, s0, vcc_lo
	v_cndmask_b32_e32 v3, v3, v1, vcc_lo
	v_cndmask_b32_e32 v4, v4, v2, vcc_lo
	v_cmp_eq_u32_e32 vcc_lo, 1, v6
	v_cndmask_b32_e32 v2, v2, v4, vcc_lo
	v_cndmask_b32_e32 v1, v1, v3, vcc_lo
	v_cndmask_b32_e64 v5, v5, 1, vcc_lo
	v_mov_b32_dpp v4, v2 quad_perm:[2,3,0,1] row_mask:0xf bank_mask:0xf
	v_mov_b32_dpp v3, v1 quad_perm:[2,3,0,1] row_mask:0xf bank_mask:0xf
	v_and_b32_e32 v7, 1, v5
	v_mov_b32_dpp v6, v5 quad_perm:[2,3,0,1] row_mask:0xf bank_mask:0xf
	v_cmp_lt_i64_e32 vcc_lo, v[1:2], v[3:4]
	v_cmp_eq_u32_e64 s0, 1, v7
	v_and_b32_e32 v6, 1, v6
	s_and_b32 vcc_lo, s0, vcc_lo
	v_cmp_eq_u32_e64 s1, 1, v6
	v_cndmask_b32_e32 v3, v3, v1, vcc_lo
	v_cndmask_b32_e32 v4, v4, v2, vcc_lo
	v_cndmask_b32_e64 v5, v5, 1, s1
	v_cndmask_b32_e64 v1, v1, v3, s1
	;; [unrolled: 1-line block ×3, first 2 shown]
	v_and_b32_e32 v7, 1, v5
	v_mov_b32_dpp v3, v1 row_ror:4 row_mask:0xf bank_mask:0xf
	v_mov_b32_dpp v4, v2 row_ror:4 row_mask:0xf bank_mask:0xf
	;; [unrolled: 1-line block ×3, first 2 shown]
	v_cmp_eq_u32_e64 s0, 1, v7
	v_cmp_lt_i64_e32 vcc_lo, v[1:2], v[3:4]
	v_and_b32_e32 v6, 1, v6
	s_and_b32 vcc_lo, s0, vcc_lo
	v_cmp_eq_u32_e64 s1, 1, v6
	v_cndmask_b32_e32 v3, v3, v1, vcc_lo
	v_cndmask_b32_e32 v4, v4, v2, vcc_lo
	v_cndmask_b32_e64 v5, v5, 1, s1
	v_cndmask_b32_e64 v1, v1, v3, s1
	;; [unrolled: 1-line block ×3, first 2 shown]
	v_and_b32_e32 v7, 1, v5
	v_mov_b32_dpp v3, v1 row_ror:8 row_mask:0xf bank_mask:0xf
	v_mov_b32_dpp v4, v2 row_ror:8 row_mask:0xf bank_mask:0xf
	;; [unrolled: 1-line block ×3, first 2 shown]
	v_cmp_eq_u32_e64 s0, 1, v7
	v_cmp_lt_i64_e32 vcc_lo, v[1:2], v[3:4]
	v_and_b32_e32 v6, 1, v6
	s_and_b32 vcc_lo, s0, vcc_lo
	v_cmp_eq_u32_e64 s1, 1, v6
	v_cndmask_b32_e32 v3, v3, v1, vcc_lo
	v_cndmask_b32_e32 v4, v4, v2, vcc_lo
	v_cndmask_b32_e64 v5, v5, 1, s1
	v_cndmask_b32_e64 v1, v1, v3, s1
	;; [unrolled: 1-line block ×3, first 2 shown]
	ds_swizzle_b32 v6, v5 offset:swizzle(BROADCAST,32,15)
	ds_swizzle_b32 v3, v1 offset:swizzle(BROADCAST,32,15)
	;; [unrolled: 1-line block ×3, first 2 shown]
	v_and_b32_e32 v7, 1, v5
	v_cmp_eq_u32_e64 s0, 1, v7
	v_mbcnt_lo_u32_b32 v7, -1, 0
	s_waitcnt lgkmcnt(2)
	v_and_b32_e32 v6, 1, v6
	s_waitcnt lgkmcnt(0)
	v_cmp_lt_i64_e32 vcc_lo, v[1:2], v[3:4]
	v_cmp_eq_u32_e64 s1, 1, v6
	v_mov_b32_e32 v6, 0
	s_and_b32 vcc_lo, s0, vcc_lo
	s_mov_b32 s0, exec_lo
	v_cndmask_b32_e32 v3, v3, v1, vcc_lo
	v_cndmask_b32_e32 v4, v4, v2, vcc_lo
	v_cndmask_b32_e64 v5, v5, 1, s1
	v_cndmask_b32_e64 v1, v1, v3, s1
	;; [unrolled: 1-line block ×3, first 2 shown]
	ds_bpermute_b32 v9, v6, v5 offset:124
	ds_bpermute_b32 v1, v6, v1 offset:124
	;; [unrolled: 1-line block ×3, first 2 shown]
	v_cmpx_eq_u32_e32 0, v7
	s_cbranch_execz .LBB54_28
; %bb.27:
	v_lshrrev_b32_e32 v3, 1, v0
	v_and_b32_e32 v3, 0x70, v3
	s_waitcnt lgkmcnt(2)
	ds_write_b8 v3, v9 offset:256
	s_waitcnt lgkmcnt(1)
	ds_write_b64 v3, v[1:2] offset:264
.LBB54_28:
	s_or_b32 exec_lo, exec_lo, s0
	s_mov_b32 s0, exec_lo
	s_waitcnt lgkmcnt(0)
	s_barrier
	buffer_gl0_inv
	v_cmpx_gt_u32_e32 32, v0
	s_cbranch_execz .LBB54_42
; %bb.29:
	v_and_b32_e32 v8, 7, v7
	v_lshlrev_b32_e32 v1, 4, v8
	v_cmp_ne_u32_e32 vcc_lo, 7, v8
	ds_read_u8 v10, v1 offset:256
	ds_read_b64 v[3:4], v1 offset:264
	v_add_co_ci_u32_e64 v2, null, 0, v7, vcc_lo
	v_lshlrev_b32_e32 v2, 2, v2
	s_waitcnt lgkmcnt(1)
	v_and_b32_e32 v1, 0xff, v10
	s_waitcnt lgkmcnt(0)
	ds_bpermute_b32 v5, v2, v3
	ds_bpermute_b32 v6, v2, v4
	;; [unrolled: 1-line block ×3, first 2 shown]
	s_waitcnt lgkmcnt(0)
	v_and_b32_e32 v1, v10, v11
	v_and_b32_e32 v1, 1, v1
	v_cmp_eq_u32_e32 vcc_lo, 1, v1
                                        ; implicit-def: $vgpr1_vgpr2
	s_and_saveexec_b32 s1, vcc_lo
	s_xor_b32 s1, exec_lo, s1
; %bb.30:
	v_cmp_lt_i64_e32 vcc_lo, v[5:6], v[3:4]
                                        ; implicit-def: $vgpr10
                                        ; implicit-def: $vgpr11
	v_cndmask_b32_e32 v2, v4, v6, vcc_lo
	v_cndmask_b32_e32 v1, v3, v5, vcc_lo
                                        ; implicit-def: $vgpr5_vgpr6
                                        ; implicit-def: $vgpr3_vgpr4
; %bb.31:
	s_or_saveexec_b32 s1, s1
	v_mov_b32_e32 v9, 1
	s_xor_b32 exec_lo, exec_lo, s1
; %bb.32:
	v_and_b32_e32 v1, 1, v10
	v_and_b32_e32 v9, 0xff, v11
	v_cmp_eq_u32_e32 vcc_lo, 1, v1
	v_cndmask_b32_e32 v2, v6, v4, vcc_lo
	v_cndmask_b32_e32 v1, v5, v3, vcc_lo
	v_cndmask_b32_e64 v9, v9, 1, vcc_lo
; %bb.33:
	s_or_b32 exec_lo, exec_lo, s1
	v_cmp_gt_u32_e32 vcc_lo, 6, v8
	v_cndmask_b32_e64 v3, 0, 2, vcc_lo
	v_add_lshl_u32 v3, v3, v7, 2
	ds_bpermute_b32 v8, v3, v9
	ds_bpermute_b32 v5, v3, v1
	;; [unrolled: 1-line block ×3, first 2 shown]
	s_waitcnt lgkmcnt(2)
	v_and_b32_e32 v3, v9, v8
	v_and_b32_e32 v3, 1, v3
	v_cmp_eq_u32_e32 vcc_lo, 1, v3
                                        ; implicit-def: $vgpr3_vgpr4
	s_and_saveexec_b32 s1, vcc_lo
	s_xor_b32 s1, exec_lo, s1
	s_cbranch_execz .LBB54_35
; %bb.34:
	s_waitcnt lgkmcnt(0)
	v_cmp_lt_i64_e32 vcc_lo, v[5:6], v[1:2]
                                        ; implicit-def: $vgpr9
                                        ; implicit-def: $vgpr8
	v_cndmask_b32_e32 v4, v2, v6, vcc_lo
	v_cndmask_b32_e32 v3, v1, v5, vcc_lo
                                        ; implicit-def: $vgpr5_vgpr6
                                        ; implicit-def: $vgpr1_vgpr2
.LBB54_35:
	s_or_saveexec_b32 s1, s1
	v_lshlrev_b32_e32 v10, 2, v7
	v_mov_b32_e32 v7, 1
	s_xor_b32 exec_lo, exec_lo, s1
	s_cbranch_execz .LBB54_37
; %bb.36:
	v_and_b32_e32 v3, 1, v9
	v_and_b32_e32 v7, 0xff, v8
	v_cmp_eq_u32_e32 vcc_lo, 1, v3
	s_waitcnt lgkmcnt(0)
	v_cndmask_b32_e32 v4, v6, v2, vcc_lo
	v_cndmask_b32_e32 v3, v5, v1, vcc_lo
	v_cndmask_b32_e64 v7, v7, 1, vcc_lo
.LBB54_37:
	s_or_b32 exec_lo, exec_lo, s1
	v_or_b32_e32 v1, 16, v10
	ds_bpermute_b32 v8, v1, v7
	s_waitcnt lgkmcnt(2)
	ds_bpermute_b32 v5, v1, v3
	s_waitcnt lgkmcnt(2)
	;; [unrolled: 2-line block ×3, first 2 shown]
	v_and_b32_e32 v1, v7, v8
	v_and_b32_e32 v1, 1, v1
	v_cmp_eq_u32_e32 vcc_lo, 1, v1
                                        ; implicit-def: $vgpr1_vgpr2
	s_and_saveexec_b32 s1, vcc_lo
	s_xor_b32 s1, exec_lo, s1
	s_cbranch_execz .LBB54_39
; %bb.38:
	s_waitcnt lgkmcnt(0)
	v_cmp_lt_i64_e32 vcc_lo, v[5:6], v[3:4]
                                        ; implicit-def: $vgpr7
                                        ; implicit-def: $vgpr8
	v_cndmask_b32_e32 v2, v4, v6, vcc_lo
	v_cndmask_b32_e32 v1, v3, v5, vcc_lo
                                        ; implicit-def: $vgpr5_vgpr6
                                        ; implicit-def: $vgpr3_vgpr4
.LBB54_39:
	s_or_saveexec_b32 s1, s1
	v_mov_b32_e32 v9, 1
	s_xor_b32 exec_lo, exec_lo, s1
	s_cbranch_execz .LBB54_41
; %bb.40:
	v_and_b32_e32 v1, 1, v7
	v_cmp_eq_u32_e32 vcc_lo, 1, v1
	s_waitcnt lgkmcnt(0)
	v_cndmask_b32_e32 v2, v6, v4, vcc_lo
	v_cndmask_b32_e32 v1, v5, v3, vcc_lo
	v_cndmask_b32_e64 v9, v8, 1, vcc_lo
.LBB54_41:
	s_or_b32 exec_lo, exec_lo, s1
.LBB54_42:
	s_or_b32 exec_lo, exec_lo, s0
	s_branch .LBB54_242
.LBB54_43:
                                        ; implicit-def: $vgpr3_vgpr4
                                        ; implicit-def: $vgpr5
                                        ; implicit-def: $vgpr1_vgpr2
	s_branch .LBB54_356
.LBB54_44:
                                        ; implicit-def: $vgpr1_vgpr2
                                        ; implicit-def: $vgpr17
	s_cbranch_execz .LBB54_167
; %bb.45:
	v_mov_b32_e32 v15, 0
	v_mov_b32_e32 v1, 0
	;; [unrolled: 1-line block ×6, first 2 shown]
	s_sub_i32 s26, s14, s26
	s_mov_b32 s0, exec_lo
	v_cmpx_gt_u32_e64 s26, v0
	s_cbranch_execz .LBB54_47
; %bb.46:
	v_lshlrev_b32_e32 v1, 3, v0
	global_load_dwordx2 v[3:4], v1, s[22:23]
	s_waitcnt lgkmcnt(0)
	global_load_dwordx2 v[5:6], v1, s[24:25]
	v_add_co_u32 v1, s1, s27, v0
	v_add_co_ci_u32_e64 v2, null, s30, 0, s1
	s_waitcnt vmcnt(0)
	v_cmp_neq_f64_e32 vcc_lo, v[3:4], v[5:6]
	v_cndmask_b32_e64 v17, 0, 1, vcc_lo
.LBB54_47:
	s_or_b32 exec_lo, exec_lo, s0
	v_or_b32_e32 v3, 0x100, v0
	v_cmp_gt_u32_e64 s9, s26, v3
	s_and_saveexec_b32 s0, s9
	s_cbranch_execz .LBB54_49
; %bb.48:
	s_waitcnt lgkmcnt(0)
	v_lshlrev_b32_e32 v6, 3, v3
	v_add_co_u32 v15, s1, s27, v3
	v_add_co_ci_u32_e64 v16, null, s30, 0, s1
	s_clause 0x1
	global_load_dwordx2 v[4:5], v6, s[22:23]
	global_load_dwordx2 v[6:7], v6, s[24:25]
	s_waitcnt vmcnt(0)
	v_cmp_neq_f64_e32 vcc_lo, v[4:5], v[6:7]
	v_cndmask_b32_e64 v24, 0, 1, vcc_lo
.LBB54_49:
	s_or_b32 exec_lo, exec_lo, s0
	v_or_b32_e32 v3, 0x200, v0
	v_mov_b32_e32 v11, 0
	v_mov_b32_e32 v13, 0
	;; [unrolled: 1-line block ×5, first 2 shown]
	v_cmp_gt_u32_e64 s8, s26, v3
	v_mov_b32_e32 v23, 0
	s_and_saveexec_b32 s0, s8
	s_cbranch_execz .LBB54_51
; %bb.50:
	s_waitcnt lgkmcnt(0)
	v_lshlrev_b32_e32 v6, 3, v3
	v_add_co_u32 v13, s1, s27, v3
	v_add_co_ci_u32_e64 v14, null, s30, 0, s1
	s_clause 0x1
	global_load_dwordx2 v[4:5], v6, s[22:23]
	global_load_dwordx2 v[6:7], v6, s[24:25]
	s_waitcnt vmcnt(0)
	v_cmp_neq_f64_e32 vcc_lo, v[4:5], v[6:7]
	v_cndmask_b32_e64 v23, 0, 1, vcc_lo
.LBB54_51:
	s_or_b32 exec_lo, exec_lo, s0
	v_or_b32_e32 v3, 0x300, v0
	v_cmp_gt_u32_e64 s3, s26, v3
	s_and_saveexec_b32 s0, s3
	s_cbranch_execz .LBB54_53
; %bb.52:
	s_waitcnt lgkmcnt(0)
	v_lshlrev_b32_e32 v6, 3, v3
	v_add_co_u32 v11, s1, s27, v3
	v_add_co_ci_u32_e64 v12, null, s30, 0, s1
	s_clause 0x1
	global_load_dwordx2 v[4:5], v6, s[22:23]
	global_load_dwordx2 v[6:7], v6, s[24:25]
	s_waitcnt vmcnt(0)
	v_cmp_neq_f64_e32 vcc_lo, v[4:5], v[6:7]
	v_cndmask_b32_e64 v22, 0, 1, vcc_lo
.LBB54_53:
	s_or_b32 exec_lo, exec_lo, s0
	v_or_b32_e32 v3, 0x400, v0
	v_mov_b32_e32 v7, 0
	v_mov_b32_e32 v9, 0
	;; [unrolled: 1-line block ×5, first 2 shown]
	v_cmp_gt_u32_e64 s2, s26, v3
	v_mov_b32_e32 v21, 0
	s_and_saveexec_b32 s0, s2
	s_cbranch_execz .LBB54_55
; %bb.54:
	s_waitcnt lgkmcnt(0)
	v_lshlrev_b32_e32 v6, 3, v3
	v_add_co_u32 v9, s1, s27, v3
	v_add_co_ci_u32_e64 v10, null, s30, 0, s1
	s_clause 0x1
	global_load_dwordx2 v[4:5], v6, s[22:23]
	global_load_dwordx2 v[18:19], v6, s[24:25]
	s_waitcnt vmcnt(0)
	v_cmp_neq_f64_e32 vcc_lo, v[4:5], v[18:19]
	v_cndmask_b32_e64 v21, 0, 1, vcc_lo
.LBB54_55:
	s_or_b32 exec_lo, exec_lo, s0
	v_or_b32_e32 v3, 0x500, v0
	v_cmp_gt_u32_e64 s1, s26, v3
	s_and_saveexec_b32 s0, s1
	s_cbranch_execz .LBB54_57
; %bb.56:
	s_waitcnt lgkmcnt(0)
	v_lshlrev_b32_e32 v6, 3, v3
	v_add_co_u32 v7, s10, s27, v3
	v_add_co_ci_u32_e64 v8, null, s30, 0, s10
	s_clause 0x1
	global_load_dwordx2 v[4:5], v6, s[22:23]
	global_load_dwordx2 v[18:19], v6, s[24:25]
	s_waitcnt vmcnt(0)
	v_cmp_neq_f64_e32 vcc_lo, v[4:5], v[18:19]
	v_cndmask_b32_e64 v20, 0, 1, vcc_lo
.LBB54_57:
	s_or_b32 exec_lo, exec_lo, s0
	v_or_b32_e32 v25, 0x600, v0
	v_mov_b32_e32 v3, 0
	s_waitcnt lgkmcnt(0)
	v_mov_b32_e32 v5, 0
	v_mov_b32_e32 v4, 0
	;; [unrolled: 1-line block ×4, first 2 shown]
	v_cmp_gt_u32_e64 s0, s26, v25
	v_mov_b32_e32 v19, 0
	s_and_saveexec_b32 s10, s0
	s_cbranch_execz .LBB54_59
; %bb.58:
	v_lshlrev_b32_e32 v5, 3, v25
	s_clause 0x1
	global_load_dwordx2 v[26:27], v5, s[22:23]
	global_load_dwordx2 v[28:29], v5, s[24:25]
	v_add_co_u32 v5, s31, s27, v25
	v_add_co_ci_u32_e64 v6, null, s30, 0, s31
	s_waitcnt vmcnt(0)
	v_cmp_neq_f64_e32 vcc_lo, v[26:27], v[28:29]
	v_cndmask_b32_e64 v19, 0, 1, vcc_lo
.LBB54_59:
	s_or_b32 exec_lo, exec_lo, s10
	v_or_b32_e32 v25, 0x700, v0
	v_cmp_gt_u32_e32 vcc_lo, s26, v25
	s_and_saveexec_b32 s31, vcc_lo
	s_cbranch_execnz .LBB54_78
; %bb.60:
	s_or_b32 exec_lo, exec_lo, s31
	s_and_saveexec_b32 s22, s9
	s_cbranch_execnz .LBB54_79
.LBB54_61:
	s_or_b32 exec_lo, exec_lo, s22
	s_and_saveexec_b32 s10, s8
	s_cbranch_execnz .LBB54_84
.LBB54_62:
	s_or_b32 exec_lo, exec_lo, s10
	s_and_saveexec_b32 s9, s3
	s_cbranch_execnz .LBB54_89
.LBB54_63:
	s_or_b32 exec_lo, exec_lo, s9
	s_and_saveexec_b32 s8, s2
	s_cbranch_execnz .LBB54_94
.LBB54_64:
	s_or_b32 exec_lo, exec_lo, s8
	s_and_saveexec_b32 s3, s1
	s_cbranch_execnz .LBB54_99
.LBB54_65:
	s_or_b32 exec_lo, exec_lo, s3
	s_and_saveexec_b32 s2, s0
	s_cbranch_execnz .LBB54_104
.LBB54_66:
	s_or_b32 exec_lo, exec_lo, s2
	s_and_saveexec_b32 s1, vcc_lo
	s_cbranch_execnz .LBB54_109
	s_branch .LBB54_114
.LBB54_67:
                                        ; implicit-def: $vgpr1_vgpr2
                                        ; implicit-def: $vgpr9
	s_cbranch_execz .LBB54_242
; %bb.68:
	v_mov_b32_e32 v7, 0
	v_mov_b32_e32 v1, 0
	;; [unrolled: 1-line block ×6, first 2 shown]
	s_sub_i32 s22, s14, s22
	s_mov_b32 s0, exec_lo
	v_cmpx_gt_u32_e64 s22, v0
	s_cbranch_execz .LBB54_70
; %bb.69:
	v_lshlrev_b32_e32 v1, 3, v0
	s_waitcnt lgkmcnt(0)
	s_clause 0x1
	global_load_dwordx2 v[3:4], v1, s[8:9]
	global_load_dwordx2 v[5:6], v1, s[10:11]
	v_add_co_u32 v1, s1, s3, v0
	v_add_co_ci_u32_e64 v2, null, s23, 0, s1
	s_waitcnt vmcnt(0)
	v_cmp_neq_f64_e32 vcc_lo, v[3:4], v[5:6]
	v_cndmask_b32_e64 v9, 0, 1, vcc_lo
.LBB54_70:
	s_or_b32 exec_lo, exec_lo, s0
	s_waitcnt lgkmcnt(1)
	v_or_b32_e32 v3, 0x100, v0
	v_cmp_gt_u32_e64 s1, s22, v3
	s_and_saveexec_b32 s0, s1
	s_cbranch_execz .LBB54_72
; %bb.71:
	s_waitcnt lgkmcnt(0)
	v_lshlrev_b32_e32 v6, 3, v3
	v_add_co_u32 v7, s2, s3, v3
	v_add_co_ci_u32_e64 v8, null, s23, 0, s2
	s_clause 0x1
	global_load_dwordx2 v[4:5], v6, s[8:9]
	global_load_dwordx2 v[10:11], v6, s[10:11]
	s_waitcnt vmcnt(0)
	v_cmp_neq_f64_e32 vcc_lo, v[4:5], v[10:11]
	v_cndmask_b32_e64 v12, 0, 1, vcc_lo
.LBB54_72:
	s_or_b32 exec_lo, exec_lo, s0
	v_or_b32_e32 v13, 0x200, v0
	s_waitcnt lgkmcnt(0)
	v_mov_b32_e32 v3, 0
	v_mov_b32_e32 v5, 0
	;; [unrolled: 1-line block ×5, first 2 shown]
	v_cmp_gt_u32_e64 s0, s22, v13
	v_mov_b32_e32 v11, 0
	s_and_saveexec_b32 s2, s0
	s_cbranch_execz .LBB54_74
; %bb.73:
	v_lshlrev_b32_e32 v5, 3, v13
	s_clause 0x1
	global_load_dwordx2 v[14:15], v5, s[8:9]
	global_load_dwordx2 v[16:17], v5, s[10:11]
	v_add_co_u32 v5, s25, s3, v13
	v_add_co_ci_u32_e64 v6, null, s23, 0, s25
	s_waitcnt vmcnt(0)
	v_cmp_neq_f64_e32 vcc_lo, v[14:15], v[16:17]
	v_cndmask_b32_e64 v11, 0, 1, vcc_lo
.LBB54_74:
	s_or_b32 exec_lo, exec_lo, s2
	v_or_b32_e32 v13, 0x300, v0
	v_cmp_gt_u32_e32 vcc_lo, s22, v13
	s_and_saveexec_b32 s25, vcc_lo
	s_cbranch_execnz .LBB54_173
; %bb.75:
	s_or_b32 exec_lo, exec_lo, s25
	s_and_saveexec_b32 s3, s1
	s_cbranch_execnz .LBB54_174
.LBB54_76:
	s_or_b32 exec_lo, exec_lo, s3
	s_and_saveexec_b32 s2, s0
	s_cbranch_execnz .LBB54_179
.LBB54_77:
	s_or_b32 exec_lo, exec_lo, s2
	s_and_saveexec_b32 s1, vcc_lo
	s_cbranch_execnz .LBB54_184
	s_branch .LBB54_189
.LBB54_78:
	v_lshlrev_b32_e32 v3, 3, v25
	s_clause 0x1
	global_load_dwordx2 v[26:27], v3, s[22:23]
	global_load_dwordx2 v[28:29], v3, s[24:25]
	v_add_co_u32 v3, s10, s27, v25
	v_add_co_ci_u32_e64 v4, null, s30, 0, s10
	s_waitcnt vmcnt(0)
	v_cmp_neq_f64_e64 s10, v[26:27], v[28:29]
	v_cndmask_b32_e64 v18, 0, 1, s10
	s_or_b32 exec_lo, exec_lo, s31
	s_and_saveexec_b32 s22, s9
	s_cbranch_execz .LBB54_61
.LBB54_79:
	v_and_b32_e32 v17, 1, v17
	v_and_b32_e32 v25, 1, v24
	v_cmp_eq_u32_e64 s9, 1, v17
	v_cmp_eq_u32_e64 s10, 1, v25
                                        ; implicit-def: $vgpr17
	s_and_b32 s10, s9, s10
	s_xor_b32 s10, s10, -1
	s_and_saveexec_b32 s23, s10
	s_xor_b32 s10, exec_lo, s23
; %bb.80:
	v_and_b32_e32 v17, 0xffff, v24
	v_cndmask_b32_e64 v2, v16, v2, s9
	v_cndmask_b32_e64 v1, v15, v1, s9
                                        ; implicit-def: $vgpr15_vgpr16
	v_cndmask_b32_e64 v17, v17, 1, s9
; %bb.81:
	s_andn2_saveexec_b32 s10, s10
; %bb.82:
	v_cmp_lt_i64_e64 s9, v[15:16], v[1:2]
	v_mov_b32_e32 v17, 1
	v_cndmask_b32_e64 v2, v2, v16, s9
	v_cndmask_b32_e64 v1, v1, v15, s9
; %bb.83:
	s_or_b32 exec_lo, exec_lo, s10
	s_or_b32 exec_lo, exec_lo, s22
	s_and_saveexec_b32 s10, s8
	s_cbranch_execz .LBB54_62
.LBB54_84:
	v_and_b32_e32 v15, 1, v17
	v_and_b32_e32 v16, 1, v23
                                        ; implicit-def: $vgpr17
	v_cmp_eq_u32_e64 s8, 1, v15
	v_cmp_eq_u32_e64 s9, 1, v16
	s_and_b32 s9, s8, s9
	s_xor_b32 s9, s9, -1
	s_and_saveexec_b32 s22, s9
	s_xor_b32 s9, exec_lo, s22
; %bb.85:
	v_and_b32_e32 v15, 0xffff, v23
	v_cndmask_b32_e64 v2, v14, v2, s8
	v_cndmask_b32_e64 v1, v13, v1, s8
                                        ; implicit-def: $vgpr13_vgpr14
	v_cndmask_b32_e64 v17, v15, 1, s8
; %bb.86:
	s_andn2_saveexec_b32 s9, s9
; %bb.87:
	v_cmp_lt_i64_e64 s8, v[13:14], v[1:2]
	v_mov_b32_e32 v17, 1
	v_cndmask_b32_e64 v2, v2, v14, s8
	v_cndmask_b32_e64 v1, v1, v13, s8
; %bb.88:
	s_or_b32 exec_lo, exec_lo, s9
	s_or_b32 exec_lo, exec_lo, s10
	s_and_saveexec_b32 s9, s3
	s_cbranch_execz .LBB54_63
.LBB54_89:
	v_and_b32_e32 v13, 1, v17
	v_and_b32_e32 v14, 1, v22
                                        ; implicit-def: $vgpr17
	v_cmp_eq_u32_e64 s3, 1, v13
	v_cmp_eq_u32_e64 s8, 1, v14
	s_and_b32 s8, s3, s8
	s_xor_b32 s8, s8, -1
	s_and_saveexec_b32 s10, s8
	s_xor_b32 s8, exec_lo, s10
; %bb.90:
	v_and_b32_e32 v13, 0xffff, v22
	v_cndmask_b32_e64 v2, v12, v2, s3
	v_cndmask_b32_e64 v1, v11, v1, s3
                                        ; implicit-def: $vgpr11_vgpr12
	v_cndmask_b32_e64 v17, v13, 1, s3
; %bb.91:
	s_andn2_saveexec_b32 s8, s8
; %bb.92:
	v_cmp_lt_i64_e64 s3, v[11:12], v[1:2]
	v_mov_b32_e32 v17, 1
	v_cndmask_b32_e64 v2, v2, v12, s3
	v_cndmask_b32_e64 v1, v1, v11, s3
; %bb.93:
	s_or_b32 exec_lo, exec_lo, s8
	s_or_b32 exec_lo, exec_lo, s9
	s_and_saveexec_b32 s8, s2
	s_cbranch_execz .LBB54_64
.LBB54_94:
	v_and_b32_e32 v11, 1, v17
	v_and_b32_e32 v12, 1, v21
                                        ; implicit-def: $vgpr17
	v_cmp_eq_u32_e64 s2, 1, v11
	v_cmp_eq_u32_e64 s3, 1, v12
	s_and_b32 s3, s2, s3
	s_xor_b32 s3, s3, -1
	s_and_saveexec_b32 s9, s3
	s_xor_b32 s3, exec_lo, s9
; %bb.95:
	v_and_b32_e32 v11, 0xffff, v21
	v_cndmask_b32_e64 v2, v10, v2, s2
	v_cndmask_b32_e64 v1, v9, v1, s2
                                        ; implicit-def: $vgpr9_vgpr10
	v_cndmask_b32_e64 v17, v11, 1, s2
; %bb.96:
	s_andn2_saveexec_b32 s3, s3
; %bb.97:
	v_cmp_lt_i64_e64 s2, v[9:10], v[1:2]
	v_mov_b32_e32 v17, 1
	v_cndmask_b32_e64 v2, v2, v10, s2
	v_cndmask_b32_e64 v1, v1, v9, s2
; %bb.98:
	s_or_b32 exec_lo, exec_lo, s3
	s_or_b32 exec_lo, exec_lo, s8
	s_and_saveexec_b32 s3, s1
	s_cbranch_execz .LBB54_65
.LBB54_99:
	v_and_b32_e32 v9, 1, v17
	v_and_b32_e32 v10, 1, v20
                                        ; implicit-def: $vgpr17
	v_cmp_eq_u32_e64 s1, 1, v9
	v_cmp_eq_u32_e64 s2, 1, v10
	s_and_b32 s2, s1, s2
	s_xor_b32 s2, s2, -1
	s_and_saveexec_b32 s8, s2
	s_xor_b32 s2, exec_lo, s8
; %bb.100:
	v_and_b32_e32 v9, 0xffff, v20
	v_cndmask_b32_e64 v2, v8, v2, s1
	v_cndmask_b32_e64 v1, v7, v1, s1
                                        ; implicit-def: $vgpr7_vgpr8
	v_cndmask_b32_e64 v17, v9, 1, s1
; %bb.101:
	s_andn2_saveexec_b32 s2, s2
; %bb.102:
	v_cmp_lt_i64_e64 s1, v[7:8], v[1:2]
	v_mov_b32_e32 v17, 1
	v_cndmask_b32_e64 v2, v2, v8, s1
	v_cndmask_b32_e64 v1, v1, v7, s1
; %bb.103:
	s_or_b32 exec_lo, exec_lo, s2
	s_or_b32 exec_lo, exec_lo, s3
	s_and_saveexec_b32 s2, s0
	s_cbranch_execz .LBB54_66
.LBB54_104:
	v_and_b32_e32 v7, 1, v17
	v_and_b32_e32 v8, 1, v19
                                        ; implicit-def: $vgpr17
	v_cmp_eq_u32_e64 s0, 1, v7
	v_cmp_eq_u32_e64 s1, 1, v8
	s_and_b32 s1, s0, s1
	s_xor_b32 s1, s1, -1
	s_and_saveexec_b32 s3, s1
	s_xor_b32 s1, exec_lo, s3
; %bb.105:
	v_and_b32_e32 v7, 0xffff, v19
	v_cndmask_b32_e64 v2, v6, v2, s0
	v_cndmask_b32_e64 v1, v5, v1, s0
                                        ; implicit-def: $vgpr5_vgpr6
	v_cndmask_b32_e64 v17, v7, 1, s0
; %bb.106:
	s_andn2_saveexec_b32 s1, s1
; %bb.107:
	v_cmp_lt_i64_e64 s0, v[5:6], v[1:2]
	v_mov_b32_e32 v17, 1
	v_cndmask_b32_e64 v2, v2, v6, s0
	v_cndmask_b32_e64 v1, v1, v5, s0
; %bb.108:
	s_or_b32 exec_lo, exec_lo, s1
	s_or_b32 exec_lo, exec_lo, s2
	s_and_saveexec_b32 s1, vcc_lo
	s_cbranch_execz .LBB54_114
.LBB54_109:
	v_and_b32_e32 v5, 1, v17
	v_and_b32_e32 v6, 1, v18
                                        ; implicit-def: $vgpr17
	v_cmp_eq_u32_e32 vcc_lo, 1, v5
	v_cmp_eq_u32_e64 s0, 1, v6
	s_and_b32 s0, vcc_lo, s0
	s_xor_b32 s0, s0, -1
	s_and_saveexec_b32 s2, s0
	s_xor_b32 s0, exec_lo, s2
; %bb.110:
	v_and_b32_e32 v5, 0xffff, v18
	v_cndmask_b32_e32 v2, v4, v2, vcc_lo
	v_cndmask_b32_e32 v1, v3, v1, vcc_lo
                                        ; implicit-def: $vgpr3_vgpr4
	v_cndmask_b32_e64 v17, v5, 1, vcc_lo
; %bb.111:
	s_andn2_saveexec_b32 s0, s0
; %bb.112:
	v_cmp_lt_i64_e32 vcc_lo, v[3:4], v[1:2]
	v_mov_b32_e32 v17, 1
	v_cndmask_b32_e32 v2, v2, v4, vcc_lo
	v_cndmask_b32_e32 v1, v1, v3, vcc_lo
; %bb.113:
	s_or_b32 exec_lo, exec_lo, s0
.LBB54_114:
	s_or_b32 exec_lo, exec_lo, s1
	v_mbcnt_lo_u32_b32 v5, -1, 0
	v_and_b32_e32 v6, 0xe0, v0
	s_min_u32 s0, s26, 0x100
	s_mov_b32 s1, exec_lo
	v_cmp_ne_u32_e32 vcc_lo, 31, v5
	v_sub_nc_u32_e64 v6, s0, v6 clamp
	v_add_nc_u32_e32 v8, 1, v5
	v_add_co_ci_u32_e64 v3, null, 0, v5, vcc_lo
	v_lshlrev_b32_e32 v4, 2, v3
	ds_bpermute_b32 v7, v4, v17
	ds_bpermute_b32 v3, v4, v1
	;; [unrolled: 1-line block ×3, first 2 shown]
	v_cmpx_lt_u32_e64 v8, v6
	s_xor_b32 s1, exec_lo, s1
	s_cbranch_execz .LBB54_120
; %bb.115:
	s_waitcnt lgkmcnt(2)
	v_and_b32_e32 v8, v7, v17
	s_mov_b32 s2, exec_lo
	v_cmpx_ne_u32_e32 0, v8
	s_xor_b32 s2, exec_lo, s2
	s_cbranch_execz .LBB54_117
; %bb.116:
	s_waitcnt lgkmcnt(0)
	v_cmp_lt_i64_e32 vcc_lo, v[3:4], v[1:2]
                                        ; implicit-def: $vgpr17
                                        ; implicit-def: $vgpr7
	v_cndmask_b32_e32 v2, v2, v4, vcc_lo
	v_cndmask_b32_e32 v1, v1, v3, vcc_lo
                                        ; implicit-def: $vgpr3_vgpr4
.LBB54_117:
	s_or_saveexec_b32 s2, s2
	v_mov_b32_e32 v8, 1
	s_xor_b32 exec_lo, exec_lo, s2
	s_cbranch_execz .LBB54_119
; %bb.118:
	v_and_b32_e32 v8, 1, v17
	v_and_b32_e32 v7, 0xff, v7
	v_cmp_eq_u32_e32 vcc_lo, 1, v8
	s_waitcnt lgkmcnt(0)
	v_cndmask_b32_e32 v2, v4, v2, vcc_lo
	v_cndmask_b32_e32 v1, v3, v1, vcc_lo
	v_cndmask_b32_e64 v8, v7, 1, vcc_lo
.LBB54_119:
	s_or_b32 exec_lo, exec_lo, s2
	v_mov_b32_e32 v17, v8
.LBB54_120:
	s_or_b32 exec_lo, exec_lo, s1
	v_cmp_gt_u32_e32 vcc_lo, 30, v5
	v_add_nc_u32_e32 v8, 2, v5
	s_mov_b32 s1, exec_lo
	s_waitcnt lgkmcnt(1)
	v_cndmask_b32_e64 v3, 0, 2, vcc_lo
	s_waitcnt lgkmcnt(0)
	v_add_lshl_u32 v4, v3, v5, 2
	ds_bpermute_b32 v7, v4, v17
	ds_bpermute_b32 v3, v4, v1
	ds_bpermute_b32 v4, v4, v2
	v_cmpx_lt_u32_e64 v8, v6
	s_cbranch_execz .LBB54_126
; %bb.121:
	s_waitcnt lgkmcnt(2)
	v_and_b32_e32 v8, v17, v7
	s_mov_b32 s2, exec_lo
	v_and_b32_e32 v8, 1, v8
	v_cmpx_eq_u32_e32 1, v8
	s_xor_b32 s2, exec_lo, s2
	s_cbranch_execz .LBB54_123
; %bb.122:
	s_waitcnt lgkmcnt(0)
	v_cmp_lt_i64_e32 vcc_lo, v[3:4], v[1:2]
                                        ; implicit-def: $vgpr17
                                        ; implicit-def: $vgpr7
	v_cndmask_b32_e32 v2, v2, v4, vcc_lo
	v_cndmask_b32_e32 v1, v1, v3, vcc_lo
                                        ; implicit-def: $vgpr3_vgpr4
.LBB54_123:
	s_or_saveexec_b32 s2, s2
	v_mov_b32_e32 v8, 1
	s_xor_b32 exec_lo, exec_lo, s2
	s_cbranch_execz .LBB54_125
; %bb.124:
	v_and_b32_e32 v8, 1, v17
	v_and_b32_e32 v7, 0xff, v7
	v_cmp_eq_u32_e32 vcc_lo, 1, v8
	s_waitcnt lgkmcnt(0)
	v_cndmask_b32_e32 v2, v4, v2, vcc_lo
	v_cndmask_b32_e32 v1, v3, v1, vcc_lo
	v_cndmask_b32_e64 v8, v7, 1, vcc_lo
.LBB54_125:
	s_or_b32 exec_lo, exec_lo, s2
	v_mov_b32_e32 v17, v8
.LBB54_126:
	s_or_b32 exec_lo, exec_lo, s1
	v_cmp_gt_u32_e32 vcc_lo, 28, v5
	v_add_nc_u32_e32 v8, 4, v5
	s_mov_b32 s1, exec_lo
	s_waitcnt lgkmcnt(1)
	v_cndmask_b32_e64 v3, 0, 4, vcc_lo
	s_waitcnt lgkmcnt(0)
	v_add_lshl_u32 v4, v3, v5, 2
	ds_bpermute_b32 v7, v4, v17
	ds_bpermute_b32 v3, v4, v1
	ds_bpermute_b32 v4, v4, v2
	v_cmpx_lt_u32_e64 v8, v6
	s_cbranch_execz .LBB54_132
; %bb.127:
	s_waitcnt lgkmcnt(2)
	v_and_b32_e32 v8, v17, v7
	s_mov_b32 s2, exec_lo
	v_and_b32_e32 v8, 1, v8
	v_cmpx_eq_u32_e32 1, v8
	s_xor_b32 s2, exec_lo, s2
	s_cbranch_execz .LBB54_129
; %bb.128:
	s_waitcnt lgkmcnt(0)
	v_cmp_lt_i64_e32 vcc_lo, v[3:4], v[1:2]
                                        ; implicit-def: $vgpr17
                                        ; implicit-def: $vgpr7
	v_cndmask_b32_e32 v2, v2, v4, vcc_lo
	v_cndmask_b32_e32 v1, v1, v3, vcc_lo
                                        ; implicit-def: $vgpr3_vgpr4
.LBB54_129:
	s_or_saveexec_b32 s2, s2
	v_mov_b32_e32 v8, 1
	s_xor_b32 exec_lo, exec_lo, s2
	s_cbranch_execz .LBB54_131
; %bb.130:
	v_and_b32_e32 v8, 1, v17
	v_and_b32_e32 v7, 0xff, v7
	v_cmp_eq_u32_e32 vcc_lo, 1, v8
	s_waitcnt lgkmcnt(0)
	v_cndmask_b32_e32 v2, v4, v2, vcc_lo
	v_cndmask_b32_e32 v1, v3, v1, vcc_lo
	v_cndmask_b32_e64 v8, v7, 1, vcc_lo
.LBB54_131:
	s_or_b32 exec_lo, exec_lo, s2
	v_mov_b32_e32 v17, v8
.LBB54_132:
	;; [unrolled: 46-line block ×3, first 2 shown]
	s_or_b32 exec_lo, exec_lo, s1
	s_waitcnt lgkmcnt(2)
	v_lshlrev_b32_e32 v7, 2, v5
	v_add_nc_u32_e32 v9, 16, v5
	s_waitcnt lgkmcnt(0)
	v_or_b32_e32 v4, 64, v7
	v_cmp_lt_u32_e32 vcc_lo, v9, v6
	v_mov_b32_e32 v6, v17
	ds_bpermute_b32 v8, v4, v17
	ds_bpermute_b32 v3, v4, v1
	;; [unrolled: 1-line block ×3, first 2 shown]
	s_and_saveexec_b32 s1, vcc_lo
	s_cbranch_execz .LBB54_144
; %bb.139:
	s_waitcnt lgkmcnt(2)
	v_and_b32_e32 v6, v17, v8
	s_mov_b32 s2, exec_lo
	v_and_b32_e32 v6, 1, v6
	v_cmpx_eq_u32_e32 1, v6
	s_xor_b32 s2, exec_lo, s2
	s_cbranch_execz .LBB54_141
; %bb.140:
	s_waitcnt lgkmcnt(0)
	v_cmp_lt_i64_e32 vcc_lo, v[3:4], v[1:2]
                                        ; implicit-def: $vgpr17
                                        ; implicit-def: $vgpr8
	v_cndmask_b32_e32 v2, v2, v4, vcc_lo
	v_cndmask_b32_e32 v1, v1, v3, vcc_lo
                                        ; implicit-def: $vgpr3_vgpr4
.LBB54_141:
	s_or_saveexec_b32 s2, s2
	v_mov_b32_e32 v6, 1
	s_xor_b32 exec_lo, exec_lo, s2
	s_cbranch_execz .LBB54_143
; %bb.142:
	v_and_b32_e32 v6, 1, v17
	v_cmp_eq_u32_e32 vcc_lo, 1, v6
	v_cndmask_b32_e64 v6, v8, 1, vcc_lo
	s_waitcnt lgkmcnt(0)
	v_cndmask_b32_e32 v2, v4, v2, vcc_lo
	v_cndmask_b32_e32 v1, v3, v1, vcc_lo
.LBB54_143:
	s_or_b32 exec_lo, exec_lo, s2
	v_and_b32_e32 v17, 0xff, v6
.LBB54_144:
	s_or_b32 exec_lo, exec_lo, s1
	s_mov_b32 s1, exec_lo
	v_cmpx_eq_u32_e32 0, v5
	s_cbranch_execz .LBB54_146
; %bb.145:
	s_waitcnt lgkmcnt(1)
	v_lshrrev_b32_e32 v3, 1, v0
	v_and_b32_e32 v3, 0x70, v3
	ds_write_b8 v3, v6 offset:512
	ds_write_b64 v3, v[1:2] offset:520
.LBB54_146:
	s_or_b32 exec_lo, exec_lo, s1
	s_mov_b32 s1, exec_lo
	s_waitcnt lgkmcnt(0)
	s_barrier
	buffer_gl0_inv
	v_cmpx_gt_u32_e32 8, v0
	s_cbranch_execz .LBB54_166
; %bb.147:
	v_lshlrev_b32_e32 v1, 4, v5
	v_and_b32_e32 v6, 7, v5
	s_add_i32 s0, s0, 31
	s_mov_b32 s2, exec_lo
	s_lshr_b32 s0, s0, 5
	ds_read_u8 v8, v1 offset:512
	ds_read_b64 v[1:2], v1 offset:520
	v_cmp_ne_u32_e32 vcc_lo, 7, v6
	v_add_nc_u32_e32 v10, 1, v6
	v_add_co_ci_u32_e64 v3, null, 0, v5, vcc_lo
	v_lshlrev_b32_e32 v4, 2, v3
	s_waitcnt lgkmcnt(1)
	v_and_b32_e32 v17, 0xff, v8
	s_waitcnt lgkmcnt(0)
	ds_bpermute_b32 v3, v4, v1
	ds_bpermute_b32 v9, v4, v17
	;; [unrolled: 1-line block ×3, first 2 shown]
	v_cmpx_gt_u32_e64 s0, v10
	s_cbranch_execz .LBB54_153
; %bb.148:
	s_waitcnt lgkmcnt(1)
	v_and_b32_e32 v10, v17, v9
	s_mov_b32 s3, exec_lo
	v_and_b32_e32 v10, 1, v10
	v_cmpx_eq_u32_e32 1, v10
	s_xor_b32 s3, exec_lo, s3
	s_cbranch_execz .LBB54_150
; %bb.149:
	s_waitcnt lgkmcnt(0)
	v_cmp_lt_i64_e32 vcc_lo, v[3:4], v[1:2]
                                        ; implicit-def: $vgpr8
                                        ; implicit-def: $vgpr9
	v_cndmask_b32_e32 v2, v2, v4, vcc_lo
	v_cndmask_b32_e32 v1, v1, v3, vcc_lo
                                        ; implicit-def: $vgpr3_vgpr4
.LBB54_150:
	s_or_saveexec_b32 s3, s3
	v_mov_b32_e32 v17, 1
	s_xor_b32 exec_lo, exec_lo, s3
	s_cbranch_execz .LBB54_152
; %bb.151:
	v_and_b32_e32 v8, 1, v8
	v_cmp_eq_u32_e32 vcc_lo, 1, v8
	v_and_b32_e32 v8, 0xff, v9
	s_waitcnt lgkmcnt(0)
	v_cndmask_b32_e32 v2, v4, v2, vcc_lo
	v_cndmask_b32_e32 v1, v3, v1, vcc_lo
	v_cndmask_b32_e64 v17, v8, 1, vcc_lo
.LBB54_152:
	s_or_b32 exec_lo, exec_lo, s3
.LBB54_153:
	s_or_b32 exec_lo, exec_lo, s2
	v_cmp_gt_u32_e32 vcc_lo, 6, v6
	v_add_nc_u32_e32 v8, 2, v6
	s_mov_b32 s2, exec_lo
	s_waitcnt lgkmcnt(2)
	v_cndmask_b32_e64 v3, 0, 2, vcc_lo
	s_waitcnt lgkmcnt(0)
	v_add_lshl_u32 v4, v3, v5, 2
	ds_bpermute_b32 v5, v4, v17
	ds_bpermute_b32 v3, v4, v1
	;; [unrolled: 1-line block ×3, first 2 shown]
	v_cmpx_gt_u32_e64 s0, v8
	s_cbranch_execz .LBB54_159
; %bb.154:
	s_waitcnt lgkmcnt(2)
	v_and_b32_e32 v8, v17, v5
	s_mov_b32 s3, exec_lo
	v_and_b32_e32 v8, 1, v8
	v_cmpx_eq_u32_e32 1, v8
	s_xor_b32 s3, exec_lo, s3
	s_cbranch_execz .LBB54_156
; %bb.155:
	s_waitcnt lgkmcnt(0)
	v_cmp_lt_i64_e32 vcc_lo, v[3:4], v[1:2]
                                        ; implicit-def: $vgpr17
                                        ; implicit-def: $vgpr5
	v_cndmask_b32_e32 v2, v2, v4, vcc_lo
	v_cndmask_b32_e32 v1, v1, v3, vcc_lo
                                        ; implicit-def: $vgpr3_vgpr4
.LBB54_156:
	s_or_saveexec_b32 s3, s3
	v_mov_b32_e32 v8, 1
	s_xor_b32 exec_lo, exec_lo, s3
	s_cbranch_execz .LBB54_158
; %bb.157:
	v_and_b32_e32 v8, 1, v17
	v_and_b32_e32 v5, 0xff, v5
	v_cmp_eq_u32_e32 vcc_lo, 1, v8
	s_waitcnt lgkmcnt(0)
	v_cndmask_b32_e32 v2, v4, v2, vcc_lo
	v_cndmask_b32_e32 v1, v3, v1, vcc_lo
	v_cndmask_b32_e64 v8, v5, 1, vcc_lo
.LBB54_158:
	s_or_b32 exec_lo, exec_lo, s3
	v_mov_b32_e32 v17, v8
.LBB54_159:
	s_or_b32 exec_lo, exec_lo, s2
	s_waitcnt lgkmcnt(0)
	v_or_b32_e32 v4, 16, v7
	v_add_nc_u32_e32 v6, 4, v6
	ds_bpermute_b32 v5, v4, v17
	ds_bpermute_b32 v3, v4, v1
	ds_bpermute_b32 v4, v4, v2
	v_cmp_gt_u32_e32 vcc_lo, s0, v6
	s_and_saveexec_b32 s0, vcc_lo
	s_cbranch_execz .LBB54_165
; %bb.160:
	s_waitcnt lgkmcnt(2)
	v_and_b32_e32 v6, v17, v5
	s_mov_b32 s2, exec_lo
	v_and_b32_e32 v6, 1, v6
	v_cmpx_eq_u32_e32 1, v6
	s_xor_b32 s2, exec_lo, s2
	s_cbranch_execz .LBB54_162
; %bb.161:
	s_waitcnt lgkmcnt(0)
	v_cmp_lt_i64_e32 vcc_lo, v[3:4], v[1:2]
                                        ; implicit-def: $vgpr17
                                        ; implicit-def: $vgpr5
	v_cndmask_b32_e32 v2, v2, v4, vcc_lo
	v_cndmask_b32_e32 v1, v1, v3, vcc_lo
                                        ; implicit-def: $vgpr3_vgpr4
.LBB54_162:
	s_or_saveexec_b32 s2, s2
	v_mov_b32_e32 v6, 1
	s_xor_b32 exec_lo, exec_lo, s2
	s_cbranch_execz .LBB54_164
; %bb.163:
	v_and_b32_e32 v6, 1, v17
	v_cmp_eq_u32_e32 vcc_lo, 1, v6
	s_waitcnt lgkmcnt(0)
	v_cndmask_b32_e32 v2, v4, v2, vcc_lo
	v_cndmask_b32_e32 v1, v3, v1, vcc_lo
	v_cndmask_b32_e64 v6, v5, 1, vcc_lo
.LBB54_164:
	s_or_b32 exec_lo, exec_lo, s2
	v_mov_b32_e32 v17, v6
.LBB54_165:
	s_or_b32 exec_lo, exec_lo, s0
.LBB54_166:
	s_or_b32 exec_lo, exec_lo, s1
.LBB54_167:
	s_mov_b32 s24, 0
                                        ; implicit-def: $vgpr3_vgpr4
                                        ; implicit-def: $vgpr5
	s_mov_b32 s0, exec_lo
	v_cmpx_eq_u32_e32 0, v0
	s_xor_b32 s2, exec_lo, s0
	s_cbranch_execz .LBB54_171
; %bb.168:
	s_waitcnt lgkmcnt(0)
	v_mov_b32_e32 v3, s20
	v_mov_b32_e32 v4, s21
	v_mov_b32_e32 v5, s28
	s_cmp_eq_u64 s[14:15], 0
	s_cbranch_scc1 .LBB54_170
; %bb.169:
	v_and_b32_e32 v3, 1, v17
	v_cmp_gt_i64_e32 vcc_lo, s[20:21], v[1:2]
	s_bitcmp1_b32 s28, 0
	s_cselect_b32 s1, -1, 0
	v_cmp_eq_u32_e64 s0, 1, v3
	v_cndmask_b32_e64 v5, v17, 1, s1
	s_and_b32 vcc_lo, s0, vcc_lo
	v_cndmask_b32_e32 v3, s20, v1, vcc_lo
	v_cndmask_b32_e32 v4, s21, v2, vcc_lo
	v_cndmask_b32_e64 v3, v1, v3, s1
	v_cndmask_b32_e64 v4, v2, v4, s1
.LBB54_170:
	s_mov_b32 s24, exec_lo
.LBB54_171:
	s_or_b32 exec_lo, exec_lo, s2
	v_mov_b32_e32 v1, s6
	v_mov_b32_e32 v2, s7
	s_and_b32 vcc_lo, exec_lo, s11
	s_cbranch_vccnz .LBB54_24
.LBB54_172:
	s_branch .LBB54_356
.LBB54_173:
	v_lshlrev_b32_e32 v3, 3, v13
	s_clause 0x1
	global_load_dwordx2 v[14:15], v3, s[8:9]
	global_load_dwordx2 v[16:17], v3, s[10:11]
	v_add_co_u32 v3, s2, s3, v13
	v_add_co_ci_u32_e64 v4, null, s23, 0, s2
	s_waitcnt vmcnt(0)
	v_cmp_neq_f64_e64 s2, v[14:15], v[16:17]
	v_cndmask_b32_e64 v10, 0, 1, s2
	s_or_b32 exec_lo, exec_lo, s25
	s_and_saveexec_b32 s3, s1
	s_cbranch_execz .LBB54_76
.LBB54_174:
	v_and_b32_e32 v9, 1, v9
	v_and_b32_e32 v13, 1, v12
	v_cmp_eq_u32_e64 s1, 1, v9
	v_cmp_eq_u32_e64 s2, 1, v13
                                        ; implicit-def: $vgpr9
	s_and_b32 s2, s1, s2
	s_xor_b32 s2, s2, -1
	s_and_saveexec_b32 s8, s2
	s_xor_b32 s2, exec_lo, s8
; %bb.175:
	v_and_b32_e32 v9, 0xffff, v12
	v_cndmask_b32_e64 v2, v8, v2, s1
	v_cndmask_b32_e64 v1, v7, v1, s1
                                        ; implicit-def: $vgpr7_vgpr8
	v_cndmask_b32_e64 v9, v9, 1, s1
; %bb.176:
	s_andn2_saveexec_b32 s2, s2
; %bb.177:
	v_cmp_lt_i64_e64 s1, v[7:8], v[1:2]
	v_mov_b32_e32 v9, 1
	v_cndmask_b32_e64 v2, v2, v8, s1
	v_cndmask_b32_e64 v1, v1, v7, s1
; %bb.178:
	s_or_b32 exec_lo, exec_lo, s2
	s_or_b32 exec_lo, exec_lo, s3
	s_and_saveexec_b32 s2, s0
	s_cbranch_execz .LBB54_77
.LBB54_179:
	v_and_b32_e32 v7, 1, v9
	v_and_b32_e32 v8, 1, v11
                                        ; implicit-def: $vgpr9
	v_cmp_eq_u32_e64 s0, 1, v7
	v_cmp_eq_u32_e64 s1, 1, v8
	s_and_b32 s1, s0, s1
	s_xor_b32 s1, s1, -1
	s_and_saveexec_b32 s3, s1
	s_xor_b32 s1, exec_lo, s3
; %bb.180:
	v_and_b32_e32 v7, 0xffff, v11
	v_cndmask_b32_e64 v2, v6, v2, s0
	v_cndmask_b32_e64 v1, v5, v1, s0
                                        ; implicit-def: $vgpr5_vgpr6
	v_cndmask_b32_e64 v9, v7, 1, s0
; %bb.181:
	s_andn2_saveexec_b32 s1, s1
; %bb.182:
	v_cmp_lt_i64_e64 s0, v[5:6], v[1:2]
	v_mov_b32_e32 v9, 1
	v_cndmask_b32_e64 v2, v2, v6, s0
	v_cndmask_b32_e64 v1, v1, v5, s0
; %bb.183:
	s_or_b32 exec_lo, exec_lo, s1
	s_or_b32 exec_lo, exec_lo, s2
	s_and_saveexec_b32 s1, vcc_lo
	s_cbranch_execz .LBB54_189
.LBB54_184:
	v_and_b32_e32 v5, 1, v9
	v_and_b32_e32 v6, 1, v10
                                        ; implicit-def: $vgpr9
	v_cmp_eq_u32_e32 vcc_lo, 1, v5
	v_cmp_eq_u32_e64 s0, 1, v6
	s_and_b32 s0, vcc_lo, s0
	s_xor_b32 s0, s0, -1
	s_and_saveexec_b32 s2, s0
	s_xor_b32 s0, exec_lo, s2
; %bb.185:
	v_and_b32_e32 v5, 0xffff, v10
	v_cndmask_b32_e32 v2, v4, v2, vcc_lo
	v_cndmask_b32_e32 v1, v3, v1, vcc_lo
                                        ; implicit-def: $vgpr3_vgpr4
	v_cndmask_b32_e64 v9, v5, 1, vcc_lo
; %bb.186:
	s_andn2_saveexec_b32 s0, s0
; %bb.187:
	v_cmp_lt_i64_e32 vcc_lo, v[3:4], v[1:2]
	v_mov_b32_e32 v9, 1
	v_cndmask_b32_e32 v2, v2, v4, vcc_lo
	v_cndmask_b32_e32 v1, v1, v3, vcc_lo
; %bb.188:
	s_or_b32 exec_lo, exec_lo, s0
.LBB54_189:
	s_or_b32 exec_lo, exec_lo, s1
	v_mbcnt_lo_u32_b32 v5, -1, 0
	v_and_b32_e32 v6, 0xe0, v0
	s_min_u32 s0, s22, 0x100
	s_mov_b32 s1, exec_lo
	v_cmp_ne_u32_e32 vcc_lo, 31, v5
	v_sub_nc_u32_e64 v6, s0, v6 clamp
	v_add_nc_u32_e32 v8, 1, v5
	v_add_co_ci_u32_e64 v3, null, 0, v5, vcc_lo
	v_lshlrev_b32_e32 v4, 2, v3
	ds_bpermute_b32 v7, v4, v9
	ds_bpermute_b32 v3, v4, v1
	;; [unrolled: 1-line block ×3, first 2 shown]
	v_cmpx_lt_u32_e64 v8, v6
	s_xor_b32 s1, exec_lo, s1
	s_cbranch_execz .LBB54_195
; %bb.190:
	s_waitcnt lgkmcnt(2)
	v_and_b32_e32 v8, v7, v9
	s_mov_b32 s2, exec_lo
	v_cmpx_ne_u32_e32 0, v8
	s_xor_b32 s2, exec_lo, s2
	s_cbranch_execz .LBB54_192
; %bb.191:
	s_waitcnt lgkmcnt(0)
	v_cmp_lt_i64_e32 vcc_lo, v[3:4], v[1:2]
                                        ; implicit-def: $vgpr9
                                        ; implicit-def: $vgpr7
	v_cndmask_b32_e32 v2, v2, v4, vcc_lo
	v_cndmask_b32_e32 v1, v1, v3, vcc_lo
                                        ; implicit-def: $vgpr3_vgpr4
.LBB54_192:
	s_or_saveexec_b32 s2, s2
	v_mov_b32_e32 v8, 1
	s_xor_b32 exec_lo, exec_lo, s2
	s_cbranch_execz .LBB54_194
; %bb.193:
	v_and_b32_e32 v8, 1, v9
	v_and_b32_e32 v7, 0xff, v7
	v_cmp_eq_u32_e32 vcc_lo, 1, v8
	s_waitcnt lgkmcnt(0)
	v_cndmask_b32_e32 v2, v4, v2, vcc_lo
	v_cndmask_b32_e32 v1, v3, v1, vcc_lo
	v_cndmask_b32_e64 v8, v7, 1, vcc_lo
.LBB54_194:
	s_or_b32 exec_lo, exec_lo, s2
	v_mov_b32_e32 v9, v8
.LBB54_195:
	s_or_b32 exec_lo, exec_lo, s1
	v_cmp_gt_u32_e32 vcc_lo, 30, v5
	v_add_nc_u32_e32 v8, 2, v5
	s_mov_b32 s1, exec_lo
	s_waitcnt lgkmcnt(1)
	v_cndmask_b32_e64 v3, 0, 2, vcc_lo
	s_waitcnt lgkmcnt(0)
	v_add_lshl_u32 v4, v3, v5, 2
	ds_bpermute_b32 v7, v4, v9
	ds_bpermute_b32 v3, v4, v1
	ds_bpermute_b32 v4, v4, v2
	v_cmpx_lt_u32_e64 v8, v6
	s_cbranch_execz .LBB54_201
; %bb.196:
	s_waitcnt lgkmcnt(2)
	v_and_b32_e32 v8, v9, v7
	s_mov_b32 s2, exec_lo
	v_and_b32_e32 v8, 1, v8
	v_cmpx_eq_u32_e32 1, v8
	s_xor_b32 s2, exec_lo, s2
	s_cbranch_execz .LBB54_198
; %bb.197:
	s_waitcnt lgkmcnt(0)
	v_cmp_lt_i64_e32 vcc_lo, v[3:4], v[1:2]
                                        ; implicit-def: $vgpr9
                                        ; implicit-def: $vgpr7
	v_cndmask_b32_e32 v2, v2, v4, vcc_lo
	v_cndmask_b32_e32 v1, v1, v3, vcc_lo
                                        ; implicit-def: $vgpr3_vgpr4
.LBB54_198:
	s_or_saveexec_b32 s2, s2
	v_mov_b32_e32 v8, 1
	s_xor_b32 exec_lo, exec_lo, s2
	s_cbranch_execz .LBB54_200
; %bb.199:
	v_and_b32_e32 v8, 1, v9
	v_and_b32_e32 v7, 0xff, v7
	v_cmp_eq_u32_e32 vcc_lo, 1, v8
	s_waitcnt lgkmcnt(0)
	v_cndmask_b32_e32 v2, v4, v2, vcc_lo
	v_cndmask_b32_e32 v1, v3, v1, vcc_lo
	v_cndmask_b32_e64 v8, v7, 1, vcc_lo
.LBB54_200:
	s_or_b32 exec_lo, exec_lo, s2
	v_mov_b32_e32 v9, v8
.LBB54_201:
	s_or_b32 exec_lo, exec_lo, s1
	v_cmp_gt_u32_e32 vcc_lo, 28, v5
	v_add_nc_u32_e32 v8, 4, v5
	s_mov_b32 s1, exec_lo
	s_waitcnt lgkmcnt(1)
	v_cndmask_b32_e64 v3, 0, 4, vcc_lo
	s_waitcnt lgkmcnt(0)
	v_add_lshl_u32 v4, v3, v5, 2
	ds_bpermute_b32 v7, v4, v9
	ds_bpermute_b32 v3, v4, v1
	ds_bpermute_b32 v4, v4, v2
	v_cmpx_lt_u32_e64 v8, v6
	s_cbranch_execz .LBB54_207
; %bb.202:
	s_waitcnt lgkmcnt(2)
	v_and_b32_e32 v8, v9, v7
	s_mov_b32 s2, exec_lo
	v_and_b32_e32 v8, 1, v8
	v_cmpx_eq_u32_e32 1, v8
	s_xor_b32 s2, exec_lo, s2
	s_cbranch_execz .LBB54_204
; %bb.203:
	s_waitcnt lgkmcnt(0)
	v_cmp_lt_i64_e32 vcc_lo, v[3:4], v[1:2]
                                        ; implicit-def: $vgpr9
                                        ; implicit-def: $vgpr7
	v_cndmask_b32_e32 v2, v2, v4, vcc_lo
	v_cndmask_b32_e32 v1, v1, v3, vcc_lo
                                        ; implicit-def: $vgpr3_vgpr4
.LBB54_204:
	s_or_saveexec_b32 s2, s2
	v_mov_b32_e32 v8, 1
	s_xor_b32 exec_lo, exec_lo, s2
	s_cbranch_execz .LBB54_206
; %bb.205:
	v_and_b32_e32 v8, 1, v9
	v_and_b32_e32 v7, 0xff, v7
	v_cmp_eq_u32_e32 vcc_lo, 1, v8
	s_waitcnt lgkmcnt(0)
	v_cndmask_b32_e32 v2, v4, v2, vcc_lo
	v_cndmask_b32_e32 v1, v3, v1, vcc_lo
	v_cndmask_b32_e64 v8, v7, 1, vcc_lo
.LBB54_206:
	s_or_b32 exec_lo, exec_lo, s2
	v_mov_b32_e32 v9, v8
.LBB54_207:
	;; [unrolled: 46-line block ×3, first 2 shown]
	s_or_b32 exec_lo, exec_lo, s1
	s_waitcnt lgkmcnt(2)
	v_lshlrev_b32_e32 v7, 2, v5
	v_add_nc_u32_e32 v10, 16, v5
	s_waitcnt lgkmcnt(0)
	v_or_b32_e32 v4, 64, v7
	v_cmp_lt_u32_e32 vcc_lo, v10, v6
	v_mov_b32_e32 v6, v9
	ds_bpermute_b32 v8, v4, v9
	ds_bpermute_b32 v3, v4, v1
	ds_bpermute_b32 v4, v4, v2
	s_and_saveexec_b32 s1, vcc_lo
	s_cbranch_execz .LBB54_219
; %bb.214:
	s_waitcnt lgkmcnt(2)
	v_and_b32_e32 v6, v9, v8
	s_mov_b32 s2, exec_lo
	v_and_b32_e32 v6, 1, v6
	v_cmpx_eq_u32_e32 1, v6
	s_xor_b32 s2, exec_lo, s2
	s_cbranch_execz .LBB54_216
; %bb.215:
	s_waitcnt lgkmcnt(0)
	v_cmp_lt_i64_e32 vcc_lo, v[3:4], v[1:2]
                                        ; implicit-def: $vgpr9
                                        ; implicit-def: $vgpr8
	v_cndmask_b32_e32 v2, v2, v4, vcc_lo
	v_cndmask_b32_e32 v1, v1, v3, vcc_lo
                                        ; implicit-def: $vgpr3_vgpr4
.LBB54_216:
	s_or_saveexec_b32 s2, s2
	v_mov_b32_e32 v6, 1
	s_xor_b32 exec_lo, exec_lo, s2
	s_cbranch_execz .LBB54_218
; %bb.217:
	v_and_b32_e32 v6, 1, v9
	v_cmp_eq_u32_e32 vcc_lo, 1, v6
	v_cndmask_b32_e64 v6, v8, 1, vcc_lo
	s_waitcnt lgkmcnt(0)
	v_cndmask_b32_e32 v2, v4, v2, vcc_lo
	v_cndmask_b32_e32 v1, v3, v1, vcc_lo
.LBB54_218:
	s_or_b32 exec_lo, exec_lo, s2
	v_and_b32_e32 v9, 0xff, v6
.LBB54_219:
	s_or_b32 exec_lo, exec_lo, s1
	s_mov_b32 s1, exec_lo
	v_cmpx_eq_u32_e32 0, v5
	s_cbranch_execz .LBB54_221
; %bb.220:
	s_waitcnt lgkmcnt(1)
	v_lshrrev_b32_e32 v3, 1, v0
	v_and_b32_e32 v3, 0x70, v3
	ds_write_b8 v3, v6 offset:512
	ds_write_b64 v3, v[1:2] offset:520
.LBB54_221:
	s_or_b32 exec_lo, exec_lo, s1
	s_mov_b32 s1, exec_lo
	s_waitcnt lgkmcnt(0)
	s_barrier
	buffer_gl0_inv
	v_cmpx_gt_u32_e32 8, v0
	s_cbranch_execz .LBB54_241
; %bb.222:
	v_lshlrev_b32_e32 v1, 4, v5
	v_and_b32_e32 v6, 7, v5
	s_add_i32 s0, s0, 31
	s_mov_b32 s2, exec_lo
	s_lshr_b32 s0, s0, 5
	ds_read_u8 v8, v1 offset:512
	ds_read_b64 v[1:2], v1 offset:520
	v_cmp_ne_u32_e32 vcc_lo, 7, v6
	v_add_nc_u32_e32 v11, 1, v6
	v_add_co_ci_u32_e64 v3, null, 0, v5, vcc_lo
	v_lshlrev_b32_e32 v4, 2, v3
	s_waitcnt lgkmcnt(1)
	v_and_b32_e32 v9, 0xff, v8
	s_waitcnt lgkmcnt(0)
	ds_bpermute_b32 v3, v4, v1
	ds_bpermute_b32 v10, v4, v9
	;; [unrolled: 1-line block ×3, first 2 shown]
	v_cmpx_gt_u32_e64 s0, v11
	s_cbranch_execz .LBB54_228
; %bb.223:
	s_waitcnt lgkmcnt(1)
	v_and_b32_e32 v9, v9, v10
	s_mov_b32 s3, exec_lo
	v_and_b32_e32 v9, 1, v9
	v_cmpx_eq_u32_e32 1, v9
	s_xor_b32 s3, exec_lo, s3
	s_cbranch_execz .LBB54_225
; %bb.224:
	s_waitcnt lgkmcnt(0)
	v_cmp_lt_i64_e32 vcc_lo, v[3:4], v[1:2]
                                        ; implicit-def: $vgpr8
                                        ; implicit-def: $vgpr10
	v_cndmask_b32_e32 v2, v2, v4, vcc_lo
	v_cndmask_b32_e32 v1, v1, v3, vcc_lo
                                        ; implicit-def: $vgpr3_vgpr4
.LBB54_225:
	s_or_saveexec_b32 s3, s3
	v_mov_b32_e32 v9, 1
	s_xor_b32 exec_lo, exec_lo, s3
	s_cbranch_execz .LBB54_227
; %bb.226:
	v_and_b32_e32 v8, 1, v8
	v_cmp_eq_u32_e32 vcc_lo, 1, v8
	v_and_b32_e32 v8, 0xff, v10
	s_waitcnt lgkmcnt(0)
	v_cndmask_b32_e32 v2, v4, v2, vcc_lo
	v_cndmask_b32_e32 v1, v3, v1, vcc_lo
	v_cndmask_b32_e64 v9, v8, 1, vcc_lo
.LBB54_227:
	s_or_b32 exec_lo, exec_lo, s3
.LBB54_228:
	s_or_b32 exec_lo, exec_lo, s2
	v_cmp_gt_u32_e32 vcc_lo, 6, v6
	v_add_nc_u32_e32 v8, 2, v6
	s_mov_b32 s2, exec_lo
	s_waitcnt lgkmcnt(2)
	v_cndmask_b32_e64 v3, 0, 2, vcc_lo
	s_waitcnt lgkmcnt(0)
	v_add_lshl_u32 v4, v3, v5, 2
	ds_bpermute_b32 v5, v4, v9
	ds_bpermute_b32 v3, v4, v1
	;; [unrolled: 1-line block ×3, first 2 shown]
	v_cmpx_gt_u32_e64 s0, v8
	s_cbranch_execz .LBB54_234
; %bb.229:
	s_waitcnt lgkmcnt(2)
	v_and_b32_e32 v8, v9, v5
	s_mov_b32 s3, exec_lo
	v_and_b32_e32 v8, 1, v8
	v_cmpx_eq_u32_e32 1, v8
	s_xor_b32 s3, exec_lo, s3
	s_cbranch_execz .LBB54_231
; %bb.230:
	s_waitcnt lgkmcnt(0)
	v_cmp_lt_i64_e32 vcc_lo, v[3:4], v[1:2]
                                        ; implicit-def: $vgpr9
                                        ; implicit-def: $vgpr5
	v_cndmask_b32_e32 v2, v2, v4, vcc_lo
	v_cndmask_b32_e32 v1, v1, v3, vcc_lo
                                        ; implicit-def: $vgpr3_vgpr4
.LBB54_231:
	s_or_saveexec_b32 s3, s3
	v_mov_b32_e32 v8, 1
	s_xor_b32 exec_lo, exec_lo, s3
	s_cbranch_execz .LBB54_233
; %bb.232:
	v_and_b32_e32 v8, 1, v9
	v_and_b32_e32 v5, 0xff, v5
	v_cmp_eq_u32_e32 vcc_lo, 1, v8
	s_waitcnt lgkmcnt(0)
	v_cndmask_b32_e32 v2, v4, v2, vcc_lo
	v_cndmask_b32_e32 v1, v3, v1, vcc_lo
	v_cndmask_b32_e64 v8, v5, 1, vcc_lo
.LBB54_233:
	s_or_b32 exec_lo, exec_lo, s3
	v_mov_b32_e32 v9, v8
.LBB54_234:
	s_or_b32 exec_lo, exec_lo, s2
	s_waitcnt lgkmcnt(0)
	v_or_b32_e32 v4, 16, v7
	v_add_nc_u32_e32 v6, 4, v6
	ds_bpermute_b32 v5, v4, v9
	ds_bpermute_b32 v3, v4, v1
	;; [unrolled: 1-line block ×3, first 2 shown]
	v_cmp_gt_u32_e32 vcc_lo, s0, v6
	s_and_saveexec_b32 s0, vcc_lo
	s_cbranch_execz .LBB54_240
; %bb.235:
	s_waitcnt lgkmcnt(2)
	v_and_b32_e32 v6, v9, v5
	s_mov_b32 s2, exec_lo
	v_and_b32_e32 v6, 1, v6
	v_cmpx_eq_u32_e32 1, v6
	s_xor_b32 s2, exec_lo, s2
	s_cbranch_execz .LBB54_237
; %bb.236:
	s_waitcnt lgkmcnt(0)
	v_cmp_lt_i64_e32 vcc_lo, v[3:4], v[1:2]
                                        ; implicit-def: $vgpr9
                                        ; implicit-def: $vgpr5
	v_cndmask_b32_e32 v2, v2, v4, vcc_lo
	v_cndmask_b32_e32 v1, v1, v3, vcc_lo
                                        ; implicit-def: $vgpr3_vgpr4
.LBB54_237:
	s_or_saveexec_b32 s2, s2
	v_mov_b32_e32 v6, 1
	s_xor_b32 exec_lo, exec_lo, s2
	s_cbranch_execz .LBB54_239
; %bb.238:
	v_and_b32_e32 v6, 1, v9
	v_cmp_eq_u32_e32 vcc_lo, 1, v6
	s_waitcnt lgkmcnt(0)
	v_cndmask_b32_e32 v2, v4, v2, vcc_lo
	v_cndmask_b32_e32 v1, v3, v1, vcc_lo
	v_cndmask_b32_e64 v6, v5, 1, vcc_lo
.LBB54_239:
	s_or_b32 exec_lo, exec_lo, s2
	v_mov_b32_e32 v9, v6
.LBB54_240:
	s_or_b32 exec_lo, exec_lo, s0
.LBB54_241:
	s_or_b32 exec_lo, exec_lo, s1
.LBB54_242:
                                        ; implicit-def: $vgpr3_vgpr4
                                        ; implicit-def: $vgpr5
	s_mov_b32 s0, exec_lo
	v_cmpx_eq_u32_e32 0, v0
	s_xor_b32 s2, exec_lo, s0
	s_cbranch_execz .LBB54_246
; %bb.243:
	s_waitcnt lgkmcnt(0)
	v_mov_b32_e32 v3, s20
	v_mov_b32_e32 v4, s21
	;; [unrolled: 1-line block ×3, first 2 shown]
	s_cmp_eq_u64 s[14:15], 0
	s_cbranch_scc1 .LBB54_245
; %bb.244:
	v_and_b32_e32 v3, 1, v9
	v_cmp_gt_i64_e32 vcc_lo, s[20:21], v[1:2]
	s_bitcmp1_b32 s28, 0
	s_cselect_b32 s1, -1, 0
	v_cmp_eq_u32_e64 s0, 1, v3
	v_cndmask_b32_e64 v5, v9, 1, s1
	s_and_b32 vcc_lo, s0, vcc_lo
	v_cndmask_b32_e32 v3, s20, v1, vcc_lo
	v_cndmask_b32_e32 v4, s21, v2, vcc_lo
	v_cndmask_b32_e64 v3, v1, v3, s1
	v_cndmask_b32_e64 v4, v2, v4, s1
.LBB54_245:
	s_or_b32 s24, s24, exec_lo
.LBB54_246:
	s_or_b32 exec_lo, exec_lo, s2
	v_mov_b32_e32 v1, s6
	v_mov_b32_e32 v2, s7
	s_branch .LBB54_356
.LBB54_247:
	s_cmp_gt_i32 s29, 1
	s_cbranch_scc0 .LBB54_267
; %bb.248:
	s_cmp_eq_u32 s29, 2
	s_cbranch_scc0 .LBB54_268
; %bb.249:
	s_mov_b32 s7, 0
	s_lshl_b32 s10, s6, 9
	s_mov_b32 s11, s7
	s_lshr_b64 s[26:27], s[14:15], 9
	s_lshl_b64 s[0:1], s[10:11], 3
	s_add_u32 s2, s16, s0
	s_addc_u32 s3, s17, s1
	s_add_u32 s8, s18, s0
	s_addc_u32 s9, s19, s1
	;; [unrolled: 2-line block ×3, first 2 shown]
	s_cmp_lg_u64 s[26:27], s[6:7]
	s_cbranch_scc0 .LBB54_269
; %bb.250:
	v_lshlrev_b32_e32 v7, 3, v0
	v_add_co_u32 v1, s0, s2, v7
	v_add_co_ci_u32_e64 v2, null, s3, 0, s0
	s_waitcnt lgkmcnt(1)
	v_add_co_u32 v3, s0, s8, v7
	s_waitcnt lgkmcnt(0)
	v_add_co_ci_u32_e64 v4, null, s9, 0, s0
	v_add_co_u32 v1, vcc_lo, 0x800, v1
	v_add_co_ci_u32_e64 v2, null, 0, v2, vcc_lo
	v_add_co_u32 v3, vcc_lo, 0x800, v3
	v_add_co_ci_u32_e64 v4, null, 0, v4, vcc_lo
	s_clause 0x1
	global_load_dwordx2 v[5:6], v7, s[2:3]
	global_load_dwordx2 v[7:8], v7, s[8:9]
	global_load_dwordx2 v[1:2], v[1:2], off
	global_load_dwordx2 v[3:4], v[3:4], off
	v_add_co_u32 v9, s0, s11, v0
	v_add_co_ci_u32_e64 v10, null, s22, 0, s0
	v_add_co_u32 v11, vcc_lo, 0x100, v9
	v_add_co_ci_u32_e64 v12, null, 0, v10, vcc_lo
	s_waitcnt vmcnt(2)
	v_cmp_neq_f64_e32 vcc_lo, v[5:6], v[7:8]
	v_mbcnt_lo_u32_b32 v8, -1, 0
	s_waitcnt vmcnt(0)
	v_cmp_neq_f64_e64 s0, v[1:2], v[3:4]
	v_cndmask_b32_e32 v2, v12, v10, vcc_lo
	v_cndmask_b32_e32 v1, v11, v9, vcc_lo
	s_or_b32 s0, vcc_lo, s0
	v_cndmask_b32_e64 v5, 0, 1, s0
	v_mov_b32_dpp v4, v2 quad_perm:[1,0,3,2] row_mask:0xf bank_mask:0xf
	v_mov_b32_dpp v3, v1 quad_perm:[1,0,3,2] row_mask:0xf bank_mask:0xf
	;; [unrolled: 1-line block ×3, first 2 shown]
	v_cmp_lt_i64_e32 vcc_lo, v[1:2], v[3:4]
	v_and_b32_e32 v6, 1, v6
	s_and_b32 vcc_lo, s0, vcc_lo
	v_cndmask_b32_e32 v3, v3, v1, vcc_lo
	v_cndmask_b32_e32 v4, v4, v2, vcc_lo
	v_cmp_eq_u32_e32 vcc_lo, 1, v6
	v_cndmask_b32_e32 v2, v2, v4, vcc_lo
	v_cndmask_b32_e32 v1, v1, v3, vcc_lo
	v_cndmask_b32_e64 v5, v5, 1, vcc_lo
	v_mov_b32_dpp v4, v2 quad_perm:[2,3,0,1] row_mask:0xf bank_mask:0xf
	v_mov_b32_dpp v3, v1 quad_perm:[2,3,0,1] row_mask:0xf bank_mask:0xf
	v_and_b32_e32 v7, 1, v5
	v_mov_b32_dpp v6, v5 quad_perm:[2,3,0,1] row_mask:0xf bank_mask:0xf
	v_cmp_lt_i64_e32 vcc_lo, v[1:2], v[3:4]
	v_cmp_eq_u32_e64 s0, 1, v7
	v_and_b32_e32 v6, 1, v6
	s_and_b32 vcc_lo, s0, vcc_lo
	v_cmp_eq_u32_e64 s1, 1, v6
	v_cndmask_b32_e32 v3, v3, v1, vcc_lo
	v_cndmask_b32_e32 v4, v4, v2, vcc_lo
	v_cndmask_b32_e64 v5, v5, 1, s1
	v_cndmask_b32_e64 v1, v1, v3, s1
	;; [unrolled: 1-line block ×3, first 2 shown]
	v_and_b32_e32 v7, 1, v5
	v_mov_b32_dpp v3, v1 row_ror:4 row_mask:0xf bank_mask:0xf
	v_mov_b32_dpp v4, v2 row_ror:4 row_mask:0xf bank_mask:0xf
	;; [unrolled: 1-line block ×3, first 2 shown]
	v_cmp_eq_u32_e64 s0, 1, v7
	v_cmp_lt_i64_e32 vcc_lo, v[1:2], v[3:4]
	v_and_b32_e32 v6, 1, v6
	s_and_b32 vcc_lo, s0, vcc_lo
	v_cmp_eq_u32_e64 s1, 1, v6
	v_cndmask_b32_e32 v3, v3, v1, vcc_lo
	v_cndmask_b32_e32 v4, v4, v2, vcc_lo
	v_cndmask_b32_e64 v5, v5, 1, s1
	v_cndmask_b32_e64 v1, v1, v3, s1
	v_cndmask_b32_e64 v2, v2, v4, s1
	v_and_b32_e32 v7, 1, v5
	v_mov_b32_dpp v3, v1 row_ror:8 row_mask:0xf bank_mask:0xf
	v_mov_b32_dpp v4, v2 row_ror:8 row_mask:0xf bank_mask:0xf
	;; [unrolled: 1-line block ×3, first 2 shown]
	v_cmp_eq_u32_e64 s0, 1, v7
	v_cmp_lt_i64_e32 vcc_lo, v[1:2], v[3:4]
	v_and_b32_e32 v6, 1, v6
	s_and_b32 vcc_lo, s0, vcc_lo
	v_cmp_eq_u32_e64 s1, 1, v6
	v_cndmask_b32_e32 v3, v3, v1, vcc_lo
	v_cndmask_b32_e32 v4, v4, v2, vcc_lo
	v_cndmask_b32_e64 v5, v5, 1, s1
	v_cndmask_b32_e64 v1, v1, v3, s1
	v_cndmask_b32_e64 v2, v2, v4, s1
	ds_swizzle_b32 v6, v5 offset:swizzle(BROADCAST,32,15)
	ds_swizzle_b32 v3, v1 offset:swizzle(BROADCAST,32,15)
	;; [unrolled: 1-line block ×3, first 2 shown]
	v_and_b32_e32 v7, 1, v5
	v_cmp_eq_u32_e64 s0, 1, v7
	s_waitcnt lgkmcnt(2)
	v_and_b32_e32 v6, 1, v6
	s_waitcnt lgkmcnt(0)
	v_cmp_lt_i64_e32 vcc_lo, v[1:2], v[3:4]
	v_cmp_eq_u32_e64 s1, 1, v6
	v_mov_b32_e32 v6, 0
	s_and_b32 vcc_lo, s0, vcc_lo
	s_mov_b32 s0, exec_lo
	v_cndmask_b32_e32 v3, v3, v1, vcc_lo
	v_cndmask_b32_e32 v4, v4, v2, vcc_lo
	v_cndmask_b32_e64 v5, v5, 1, s1
	v_cndmask_b32_e64 v1, v1, v3, s1
	;; [unrolled: 1-line block ×3, first 2 shown]
	ds_bpermute_b32 v7, v6, v5 offset:124
	ds_bpermute_b32 v1, v6, v1 offset:124
	;; [unrolled: 1-line block ×3, first 2 shown]
	v_cmpx_eq_u32_e32 0, v8
	s_cbranch_execz .LBB54_252
; %bb.251:
	v_lshrrev_b32_e32 v3, 1, v0
	v_and_b32_e32 v3, 0x70, v3
	s_waitcnt lgkmcnt(2)
	ds_write_b8 v3, v7 offset:128
	s_waitcnt lgkmcnt(1)
	ds_write_b64 v3, v[1:2] offset:136
.LBB54_252:
	s_or_b32 exec_lo, exec_lo, s0
	s_mov_b32 s0, exec_lo
	s_waitcnt lgkmcnt(0)
	s_barrier
	buffer_gl0_inv
	v_cmpx_gt_u32_e32 32, v0
	s_cbranch_execz .LBB54_266
; %bb.253:
	v_and_b32_e32 v7, 7, v8
	v_lshlrev_b32_e32 v1, 4, v7
	v_cmp_ne_u32_e32 vcc_lo, 7, v7
	ds_read_u8 v10, v1 offset:128
	ds_read_b64 v[3:4], v1 offset:136
	v_add_co_ci_u32_e64 v2, null, 0, v8, vcc_lo
	v_lshlrev_b32_e32 v2, 2, v2
	s_waitcnt lgkmcnt(1)
	v_and_b32_e32 v1, 0xff, v10
	s_waitcnt lgkmcnt(0)
	ds_bpermute_b32 v5, v2, v3
	ds_bpermute_b32 v6, v2, v4
	;; [unrolled: 1-line block ×3, first 2 shown]
	s_waitcnt lgkmcnt(0)
	v_and_b32_e32 v1, v10, v11
	v_and_b32_e32 v1, 1, v1
	v_cmp_eq_u32_e32 vcc_lo, 1, v1
                                        ; implicit-def: $vgpr1_vgpr2
	s_and_saveexec_b32 s1, vcc_lo
	s_xor_b32 s1, exec_lo, s1
; %bb.254:
	v_cmp_lt_i64_e32 vcc_lo, v[5:6], v[3:4]
                                        ; implicit-def: $vgpr10
                                        ; implicit-def: $vgpr11
	v_cndmask_b32_e32 v2, v4, v6, vcc_lo
	v_cndmask_b32_e32 v1, v3, v5, vcc_lo
                                        ; implicit-def: $vgpr5_vgpr6
                                        ; implicit-def: $vgpr3_vgpr4
; %bb.255:
	s_or_saveexec_b32 s1, s1
	v_mov_b32_e32 v9, 1
	s_xor_b32 exec_lo, exec_lo, s1
; %bb.256:
	v_and_b32_e32 v1, 1, v10
	v_and_b32_e32 v9, 0xff, v11
	v_cmp_eq_u32_e32 vcc_lo, 1, v1
	v_cndmask_b32_e32 v2, v6, v4, vcc_lo
	v_cndmask_b32_e32 v1, v5, v3, vcc_lo
	v_cndmask_b32_e64 v9, v9, 1, vcc_lo
; %bb.257:
	s_or_b32 exec_lo, exec_lo, s1
	v_cmp_gt_u32_e32 vcc_lo, 6, v7
	v_cndmask_b32_e64 v3, 0, 2, vcc_lo
	v_add_lshl_u32 v3, v3, v8, 2
	ds_bpermute_b32 v7, v3, v9
	ds_bpermute_b32 v5, v3, v1
	;; [unrolled: 1-line block ×3, first 2 shown]
	s_waitcnt lgkmcnt(2)
	v_and_b32_e32 v3, v9, v7
	v_and_b32_e32 v3, 1, v3
	v_cmp_eq_u32_e32 vcc_lo, 1, v3
                                        ; implicit-def: $vgpr3_vgpr4
	s_and_saveexec_b32 s1, vcc_lo
	s_xor_b32 s1, exec_lo, s1
	s_cbranch_execz .LBB54_259
; %bb.258:
	s_waitcnt lgkmcnt(0)
	v_cmp_lt_i64_e32 vcc_lo, v[5:6], v[1:2]
                                        ; implicit-def: $vgpr9
                                        ; implicit-def: $vgpr7
	v_cndmask_b32_e32 v4, v2, v6, vcc_lo
	v_cndmask_b32_e32 v3, v1, v5, vcc_lo
                                        ; implicit-def: $vgpr5_vgpr6
                                        ; implicit-def: $vgpr1_vgpr2
.LBB54_259:
	s_or_saveexec_b32 s1, s1
	v_lshlrev_b32_e32 v10, 2, v8
	v_mov_b32_e32 v8, 1
	s_xor_b32 exec_lo, exec_lo, s1
	s_cbranch_execz .LBB54_261
; %bb.260:
	v_and_b32_e32 v3, 1, v9
	v_and_b32_e32 v7, 0xff, v7
	v_cmp_eq_u32_e32 vcc_lo, 1, v3
	s_waitcnt lgkmcnt(0)
	v_cndmask_b32_e32 v4, v6, v2, vcc_lo
	v_cndmask_b32_e32 v3, v5, v1, vcc_lo
	v_cndmask_b32_e64 v8, v7, 1, vcc_lo
.LBB54_261:
	s_or_b32 exec_lo, exec_lo, s1
	v_or_b32_e32 v1, 16, v10
	ds_bpermute_b32 v9, v1, v8
	s_waitcnt lgkmcnt(2)
	ds_bpermute_b32 v5, v1, v3
	s_waitcnt lgkmcnt(2)
	;; [unrolled: 2-line block ×3, first 2 shown]
	v_and_b32_e32 v1, v8, v9
	v_and_b32_e32 v1, 1, v1
	v_cmp_eq_u32_e32 vcc_lo, 1, v1
                                        ; implicit-def: $vgpr1_vgpr2
	s_and_saveexec_b32 s1, vcc_lo
	s_xor_b32 s1, exec_lo, s1
	s_cbranch_execz .LBB54_263
; %bb.262:
	s_waitcnt lgkmcnt(0)
	v_cmp_lt_i64_e32 vcc_lo, v[5:6], v[3:4]
                                        ; implicit-def: $vgpr8
                                        ; implicit-def: $vgpr9
	v_cndmask_b32_e32 v2, v4, v6, vcc_lo
	v_cndmask_b32_e32 v1, v3, v5, vcc_lo
                                        ; implicit-def: $vgpr5_vgpr6
                                        ; implicit-def: $vgpr3_vgpr4
.LBB54_263:
	s_or_saveexec_b32 s1, s1
	v_mov_b32_e32 v7, 1
	s_xor_b32 exec_lo, exec_lo, s1
	s_cbranch_execz .LBB54_265
; %bb.264:
	v_and_b32_e32 v1, 1, v8
	v_cmp_eq_u32_e32 vcc_lo, 1, v1
	s_waitcnt lgkmcnt(0)
	v_cndmask_b32_e32 v2, v6, v4, vcc_lo
	v_cndmask_b32_e32 v1, v5, v3, vcc_lo
	v_cndmask_b32_e64 v7, v9, 1, vcc_lo
.LBB54_265:
	s_or_b32 exec_lo, exec_lo, s1
.LBB54_266:
	s_or_b32 exec_lo, exec_lo, s0
	s_branch .LBB54_327
.LBB54_267:
                                        ; implicit-def: $vgpr3_vgpr4
                                        ; implicit-def: $vgpr5
                                        ; implicit-def: $vgpr1_vgpr2
	s_cbranch_execnz .LBB54_332
	s_branch .LBB54_356
.LBB54_268:
                                        ; implicit-def: $vgpr3_vgpr4
                                        ; implicit-def: $vgpr5
                                        ; implicit-def: $vgpr1_vgpr2
	s_branch .LBB54_356
.LBB54_269:
                                        ; implicit-def: $vgpr1_vgpr2
                                        ; implicit-def: $vgpr7
	s_cbranch_execz .LBB54_327
; %bb.270:
	s_waitcnt lgkmcnt(0)
	v_mov_b32_e32 v3, 0
	v_mov_b32_e32 v1, 0
	;; [unrolled: 1-line block ×6, first 2 shown]
	s_sub_i32 s10, s14, s10
	s_mov_b32 s0, exec_lo
	v_cmpx_gt_u32_e64 s10, v0
	s_cbranch_execz .LBB54_272
; %bb.271:
	v_lshlrev_b32_e32 v1, 3, v0
	s_clause 0x1
	global_load_dwordx2 v[6:7], v1, s[2:3]
	global_load_dwordx2 v[8:9], v1, s[8:9]
	v_add_co_u32 v1, s1, s11, v0
	v_add_co_ci_u32_e64 v2, null, s22, 0, s1
	s_waitcnt vmcnt(0)
	v_cmp_neq_f64_e32 vcc_lo, v[6:7], v[8:9]
	v_cndmask_b32_e64 v6, 0, 1, vcc_lo
.LBB54_272:
	s_or_b32 exec_lo, exec_lo, s0
	v_or_b32_e32 v7, 0x100, v0
	v_cmp_gt_u32_e32 vcc_lo, s10, v7
	s_and_saveexec_b32 s1, vcc_lo
	s_cbranch_execz .LBB54_274
; %bb.273:
	v_lshlrev_b32_e32 v3, 3, v7
	s_clause 0x1
	global_load_dwordx2 v[8:9], v3, s[2:3]
	global_load_dwordx2 v[10:11], v3, s[8:9]
	v_add_co_u32 v3, s0, s11, v7
	v_add_co_ci_u32_e64 v4, null, s22, 0, s0
	s_waitcnt vmcnt(0)
	v_cmp_neq_f64_e64 s0, v[8:9], v[10:11]
	v_cndmask_b32_e64 v5, 0, 1, s0
.LBB54_274:
	s_or_b32 exec_lo, exec_lo, s1
	v_and_b32_e32 v7, 1, v5
	v_cmp_lt_i64_e64 s0, v[3:4], v[1:2]
	v_and_b32_e32 v8, 0xffff, v5
	v_mbcnt_lo_u32_b32 v5, -1, 0
	v_cmp_eq_u32_e64 s1, 1, v7
	v_and_b32_e32 v7, 0xffff, v6
	v_and_b32_e32 v6, 1, v6
	s_and_b32 s0, s1, s0
	v_cmp_ne_u32_e64 s1, 31, v5
	v_cndmask_b32_e64 v9, v2, v4, s0
	v_cndmask_b32_e64 v10, v1, v3, s0
	v_cmp_eq_u32_e64 s0, 1, v6
	v_cndmask_b32_e64 v6, v8, 1, s0
	v_add_co_ci_u32_e64 v8, null, 0, v5, s1
	v_cndmask_b32_e64 v3, v3, v10, s0
	v_cndmask_b32_e64 v4, v4, v9, s0
	v_cndmask_b32_e32 v7, v7, v6, vcc_lo
	v_lshlrev_b32_e32 v6, 2, v8
	s_min_u32 s0, s10, 0x100
	v_cndmask_b32_e32 v1, v1, v3, vcc_lo
	v_cndmask_b32_e32 v2, v2, v4, vcc_lo
	v_add_nc_u32_e32 v9, 1, v5
	ds_bpermute_b32 v8, v6, v7
	s_mov_b32 s1, exec_lo
	ds_bpermute_b32 v3, v6, v1
	ds_bpermute_b32 v4, v6, v2
	v_and_b32_e32 v6, 0xe0, v0
	v_sub_nc_u32_e64 v6, s0, v6 clamp
	v_cmpx_lt_u32_e64 v9, v6
	s_cbranch_execz .LBB54_280
; %bb.275:
	s_waitcnt lgkmcnt(2)
	v_and_b32_e32 v9, v7, v8
	s_mov_b32 s2, exec_lo
	v_cmpx_ne_u32_e32 0, v9
	s_xor_b32 s2, exec_lo, s2
	s_cbranch_execz .LBB54_277
; %bb.276:
	s_waitcnt lgkmcnt(0)
	v_cmp_lt_i64_e32 vcc_lo, v[3:4], v[1:2]
                                        ; implicit-def: $vgpr7
                                        ; implicit-def: $vgpr8
	v_cndmask_b32_e32 v2, v2, v4, vcc_lo
	v_cndmask_b32_e32 v1, v1, v3, vcc_lo
                                        ; implicit-def: $vgpr3_vgpr4
.LBB54_277:
	s_or_saveexec_b32 s2, s2
	v_mov_b32_e32 v9, 1
	s_xor_b32 exec_lo, exec_lo, s2
	s_cbranch_execz .LBB54_279
; %bb.278:
	v_and_b32_e32 v7, 1, v7
	v_cmp_eq_u32_e32 vcc_lo, 1, v7
	v_and_b32_e32 v7, 0xff, v8
	s_waitcnt lgkmcnt(0)
	v_cndmask_b32_e32 v2, v4, v2, vcc_lo
	v_cndmask_b32_e32 v1, v3, v1, vcc_lo
	v_cndmask_b32_e64 v9, v7, 1, vcc_lo
.LBB54_279:
	s_or_b32 exec_lo, exec_lo, s2
	v_mov_b32_e32 v7, v9
.LBB54_280:
	s_or_b32 exec_lo, exec_lo, s1
	v_cmp_gt_u32_e32 vcc_lo, 30, v5
	v_add_nc_u32_e32 v9, 2, v5
	s_mov_b32 s1, exec_lo
	s_waitcnt lgkmcnt(1)
	v_cndmask_b32_e64 v3, 0, 2, vcc_lo
	s_waitcnt lgkmcnt(0)
	v_add_lshl_u32 v4, v3, v5, 2
	ds_bpermute_b32 v8, v4, v7
	ds_bpermute_b32 v3, v4, v1
	ds_bpermute_b32 v4, v4, v2
	v_cmpx_lt_u32_e64 v9, v6
	s_cbranch_execz .LBB54_286
; %bb.281:
	s_waitcnt lgkmcnt(2)
	v_and_b32_e32 v9, v7, v8
	s_mov_b32 s2, exec_lo
	v_and_b32_e32 v9, 1, v9
	v_cmpx_eq_u32_e32 1, v9
	s_xor_b32 s2, exec_lo, s2
	s_cbranch_execz .LBB54_283
; %bb.282:
	s_waitcnt lgkmcnt(0)
	v_cmp_lt_i64_e32 vcc_lo, v[3:4], v[1:2]
                                        ; implicit-def: $vgpr7
                                        ; implicit-def: $vgpr8
	v_cndmask_b32_e32 v2, v2, v4, vcc_lo
	v_cndmask_b32_e32 v1, v1, v3, vcc_lo
                                        ; implicit-def: $vgpr3_vgpr4
.LBB54_283:
	s_or_saveexec_b32 s2, s2
	v_mov_b32_e32 v9, 1
	s_xor_b32 exec_lo, exec_lo, s2
	s_cbranch_execz .LBB54_285
; %bb.284:
	v_and_b32_e32 v7, 1, v7
	v_cmp_eq_u32_e32 vcc_lo, 1, v7
	v_and_b32_e32 v7, 0xff, v8
	s_waitcnt lgkmcnt(0)
	v_cndmask_b32_e32 v2, v4, v2, vcc_lo
	v_cndmask_b32_e32 v1, v3, v1, vcc_lo
	v_cndmask_b32_e64 v9, v7, 1, vcc_lo
.LBB54_285:
	s_or_b32 exec_lo, exec_lo, s2
	v_mov_b32_e32 v7, v9
.LBB54_286:
	s_or_b32 exec_lo, exec_lo, s1
	v_cmp_gt_u32_e32 vcc_lo, 28, v5
	v_add_nc_u32_e32 v9, 4, v5
	s_mov_b32 s1, exec_lo
	s_waitcnt lgkmcnt(1)
	v_cndmask_b32_e64 v3, 0, 4, vcc_lo
	s_waitcnt lgkmcnt(0)
	v_add_lshl_u32 v4, v3, v5, 2
	ds_bpermute_b32 v8, v4, v7
	ds_bpermute_b32 v3, v4, v1
	ds_bpermute_b32 v4, v4, v2
	v_cmpx_lt_u32_e64 v9, v6
	s_cbranch_execz .LBB54_292
; %bb.287:
	s_waitcnt lgkmcnt(2)
	v_and_b32_e32 v9, v7, v8
	s_mov_b32 s2, exec_lo
	v_and_b32_e32 v9, 1, v9
	v_cmpx_eq_u32_e32 1, v9
	s_xor_b32 s2, exec_lo, s2
	s_cbranch_execz .LBB54_289
; %bb.288:
	s_waitcnt lgkmcnt(0)
	v_cmp_lt_i64_e32 vcc_lo, v[3:4], v[1:2]
                                        ; implicit-def: $vgpr7
                                        ; implicit-def: $vgpr8
	v_cndmask_b32_e32 v2, v2, v4, vcc_lo
	v_cndmask_b32_e32 v1, v1, v3, vcc_lo
                                        ; implicit-def: $vgpr3_vgpr4
.LBB54_289:
	s_or_saveexec_b32 s2, s2
	v_mov_b32_e32 v9, 1
	s_xor_b32 exec_lo, exec_lo, s2
	s_cbranch_execz .LBB54_291
; %bb.290:
	v_and_b32_e32 v7, 1, v7
	v_cmp_eq_u32_e32 vcc_lo, 1, v7
	v_and_b32_e32 v7, 0xff, v8
	s_waitcnt lgkmcnt(0)
	v_cndmask_b32_e32 v2, v4, v2, vcc_lo
	v_cndmask_b32_e32 v1, v3, v1, vcc_lo
	v_cndmask_b32_e64 v9, v7, 1, vcc_lo
.LBB54_291:
	s_or_b32 exec_lo, exec_lo, s2
	v_mov_b32_e32 v7, v9
.LBB54_292:
	;; [unrolled: 46-line block ×3, first 2 shown]
	s_or_b32 exec_lo, exec_lo, s1
	s_waitcnt lgkmcnt(2)
	v_lshlrev_b32_e32 v8, 2, v5
	v_add_nc_u32_e32 v10, 16, v5
	s_waitcnt lgkmcnt(0)
	v_or_b32_e32 v4, 64, v8
	v_cmp_lt_u32_e32 vcc_lo, v10, v6
	v_mov_b32_e32 v6, v7
	ds_bpermute_b32 v9, v4, v7
	ds_bpermute_b32 v3, v4, v1
	;; [unrolled: 1-line block ×3, first 2 shown]
	s_and_saveexec_b32 s1, vcc_lo
	s_cbranch_execz .LBB54_304
; %bb.299:
	s_waitcnt lgkmcnt(2)
	v_and_b32_e32 v6, v7, v9
	s_mov_b32 s2, exec_lo
	v_and_b32_e32 v6, 1, v6
	v_cmpx_eq_u32_e32 1, v6
	s_xor_b32 s2, exec_lo, s2
	s_cbranch_execz .LBB54_301
; %bb.300:
	s_waitcnt lgkmcnt(0)
	v_cmp_lt_i64_e32 vcc_lo, v[3:4], v[1:2]
                                        ; implicit-def: $vgpr7
                                        ; implicit-def: $vgpr9
	v_cndmask_b32_e32 v2, v2, v4, vcc_lo
	v_cndmask_b32_e32 v1, v1, v3, vcc_lo
                                        ; implicit-def: $vgpr3_vgpr4
.LBB54_301:
	s_or_saveexec_b32 s2, s2
	v_mov_b32_e32 v6, 1
	s_xor_b32 exec_lo, exec_lo, s2
	s_cbranch_execz .LBB54_303
; %bb.302:
	v_and_b32_e32 v6, 1, v7
	v_cmp_eq_u32_e32 vcc_lo, 1, v6
	v_cndmask_b32_e64 v6, v9, 1, vcc_lo
	s_waitcnt lgkmcnt(0)
	v_cndmask_b32_e32 v2, v4, v2, vcc_lo
	v_cndmask_b32_e32 v1, v3, v1, vcc_lo
.LBB54_303:
	s_or_b32 exec_lo, exec_lo, s2
	v_and_b32_e32 v7, 0xff, v6
.LBB54_304:
	s_or_b32 exec_lo, exec_lo, s1
	s_mov_b32 s1, exec_lo
	v_cmpx_eq_u32_e32 0, v5
	s_cbranch_execz .LBB54_306
; %bb.305:
	s_waitcnt lgkmcnt(1)
	v_lshrrev_b32_e32 v3, 1, v0
	v_and_b32_e32 v3, 0x70, v3
	ds_write_b8 v3, v6 offset:512
	ds_write_b64 v3, v[1:2] offset:520
.LBB54_306:
	s_or_b32 exec_lo, exec_lo, s1
	s_mov_b32 s1, exec_lo
	s_waitcnt lgkmcnt(0)
	s_barrier
	buffer_gl0_inv
	v_cmpx_gt_u32_e32 8, v0
	s_cbranch_execz .LBB54_326
; %bb.307:
	v_lshlrev_b32_e32 v1, 4, v5
	v_and_b32_e32 v6, 7, v5
	s_add_i32 s0, s0, 31
	s_mov_b32 s2, exec_lo
	s_lshr_b32 s0, s0, 5
	ds_read_u8 v9, v1 offset:512
	ds_read_b64 v[1:2], v1 offset:520
	v_cmp_ne_u32_e32 vcc_lo, 7, v6
	v_add_nc_u32_e32 v11, 1, v6
	v_add_co_ci_u32_e64 v3, null, 0, v5, vcc_lo
	v_lshlrev_b32_e32 v4, 2, v3
	s_waitcnt lgkmcnt(1)
	v_and_b32_e32 v7, 0xff, v9
	s_waitcnt lgkmcnt(0)
	ds_bpermute_b32 v3, v4, v1
	ds_bpermute_b32 v10, v4, v7
	;; [unrolled: 1-line block ×3, first 2 shown]
	v_cmpx_gt_u32_e64 s0, v11
	s_cbranch_execz .LBB54_313
; %bb.308:
	s_waitcnt lgkmcnt(1)
	v_and_b32_e32 v7, v7, v10
	s_mov_b32 s3, exec_lo
	v_and_b32_e32 v7, 1, v7
	v_cmpx_eq_u32_e32 1, v7
	s_xor_b32 s3, exec_lo, s3
	s_cbranch_execz .LBB54_310
; %bb.309:
	s_waitcnt lgkmcnt(0)
	v_cmp_lt_i64_e32 vcc_lo, v[3:4], v[1:2]
                                        ; implicit-def: $vgpr9
                                        ; implicit-def: $vgpr10
	v_cndmask_b32_e32 v2, v2, v4, vcc_lo
	v_cndmask_b32_e32 v1, v1, v3, vcc_lo
                                        ; implicit-def: $vgpr3_vgpr4
.LBB54_310:
	s_or_saveexec_b32 s3, s3
	v_mov_b32_e32 v7, 1
	s_xor_b32 exec_lo, exec_lo, s3
	s_cbranch_execz .LBB54_312
; %bb.311:
	v_and_b32_e32 v7, 1, v9
	v_cmp_eq_u32_e32 vcc_lo, 1, v7
	v_and_b32_e32 v7, 0xff, v10
	s_waitcnt lgkmcnt(0)
	v_cndmask_b32_e32 v2, v4, v2, vcc_lo
	v_cndmask_b32_e32 v1, v3, v1, vcc_lo
	v_cndmask_b32_e64 v7, v7, 1, vcc_lo
.LBB54_312:
	s_or_b32 exec_lo, exec_lo, s3
.LBB54_313:
	s_or_b32 exec_lo, exec_lo, s2
	v_cmp_gt_u32_e32 vcc_lo, 6, v6
	v_add_nc_u32_e32 v9, 2, v6
	s_mov_b32 s2, exec_lo
	s_waitcnt lgkmcnt(2)
	v_cndmask_b32_e64 v3, 0, 2, vcc_lo
	s_waitcnt lgkmcnt(0)
	v_add_lshl_u32 v4, v3, v5, 2
	ds_bpermute_b32 v5, v4, v7
	ds_bpermute_b32 v3, v4, v1
	;; [unrolled: 1-line block ×3, first 2 shown]
	v_cmpx_gt_u32_e64 s0, v9
	s_cbranch_execz .LBB54_319
; %bb.314:
	s_waitcnt lgkmcnt(2)
	v_and_b32_e32 v9, v7, v5
	s_mov_b32 s3, exec_lo
	v_and_b32_e32 v9, 1, v9
	v_cmpx_eq_u32_e32 1, v9
	s_xor_b32 s3, exec_lo, s3
	s_cbranch_execz .LBB54_316
; %bb.315:
	s_waitcnt lgkmcnt(0)
	v_cmp_lt_i64_e32 vcc_lo, v[3:4], v[1:2]
                                        ; implicit-def: $vgpr7
                                        ; implicit-def: $vgpr5
	v_cndmask_b32_e32 v2, v2, v4, vcc_lo
	v_cndmask_b32_e32 v1, v1, v3, vcc_lo
                                        ; implicit-def: $vgpr3_vgpr4
.LBB54_316:
	s_or_saveexec_b32 s3, s3
	v_mov_b32_e32 v9, 1
	s_xor_b32 exec_lo, exec_lo, s3
	s_cbranch_execz .LBB54_318
; %bb.317:
	v_and_b32_e32 v7, 1, v7
	v_and_b32_e32 v5, 0xff, v5
	v_cmp_eq_u32_e32 vcc_lo, 1, v7
	s_waitcnt lgkmcnt(0)
	v_cndmask_b32_e32 v2, v4, v2, vcc_lo
	v_cndmask_b32_e32 v1, v3, v1, vcc_lo
	v_cndmask_b32_e64 v9, v5, 1, vcc_lo
.LBB54_318:
	s_or_b32 exec_lo, exec_lo, s3
	v_mov_b32_e32 v7, v9
.LBB54_319:
	s_or_b32 exec_lo, exec_lo, s2
	s_waitcnt lgkmcnt(0)
	v_or_b32_e32 v4, 16, v8
	v_add_nc_u32_e32 v6, 4, v6
	ds_bpermute_b32 v5, v4, v7
	ds_bpermute_b32 v3, v4, v1
	;; [unrolled: 1-line block ×3, first 2 shown]
	v_cmp_gt_u32_e32 vcc_lo, s0, v6
	s_and_saveexec_b32 s0, vcc_lo
	s_cbranch_execz .LBB54_325
; %bb.320:
	s_waitcnt lgkmcnt(2)
	v_and_b32_e32 v6, v7, v5
	s_mov_b32 s2, exec_lo
	v_and_b32_e32 v6, 1, v6
	v_cmpx_eq_u32_e32 1, v6
	s_xor_b32 s2, exec_lo, s2
	s_cbranch_execz .LBB54_322
; %bb.321:
	s_waitcnt lgkmcnt(0)
	v_cmp_lt_i64_e32 vcc_lo, v[3:4], v[1:2]
                                        ; implicit-def: $vgpr7
                                        ; implicit-def: $vgpr5
	v_cndmask_b32_e32 v2, v2, v4, vcc_lo
	v_cndmask_b32_e32 v1, v1, v3, vcc_lo
                                        ; implicit-def: $vgpr3_vgpr4
.LBB54_322:
	s_or_saveexec_b32 s2, s2
	v_mov_b32_e32 v6, 1
	s_xor_b32 exec_lo, exec_lo, s2
	s_cbranch_execz .LBB54_324
; %bb.323:
	v_and_b32_e32 v6, 1, v7
	v_cmp_eq_u32_e32 vcc_lo, 1, v6
	s_waitcnt lgkmcnt(0)
	v_cndmask_b32_e32 v2, v4, v2, vcc_lo
	v_cndmask_b32_e32 v1, v3, v1, vcc_lo
	v_cndmask_b32_e64 v6, v5, 1, vcc_lo
.LBB54_324:
	s_or_b32 exec_lo, exec_lo, s2
	v_mov_b32_e32 v7, v6
.LBB54_325:
	s_or_b32 exec_lo, exec_lo, s0
.LBB54_326:
	s_or_b32 exec_lo, exec_lo, s1
.LBB54_327:
                                        ; implicit-def: $vgpr3_vgpr4
                                        ; implicit-def: $vgpr5
	s_mov_b32 s0, exec_lo
	v_cmpx_eq_u32_e32 0, v0
	s_xor_b32 s2, exec_lo, s0
	s_cbranch_execz .LBB54_331
; %bb.328:
	s_waitcnt lgkmcnt(0)
	v_mov_b32_e32 v3, s20
	v_mov_b32_e32 v4, s21
	;; [unrolled: 1-line block ×3, first 2 shown]
	s_cmp_eq_u64 s[14:15], 0
	s_cbranch_scc1 .LBB54_330
; %bb.329:
	v_and_b32_e32 v3, 1, v7
	v_cmp_gt_i64_e32 vcc_lo, s[20:21], v[1:2]
	s_bitcmp1_b32 s28, 0
	s_cselect_b32 s1, -1, 0
	v_cmp_eq_u32_e64 s0, 1, v3
	v_cndmask_b32_e64 v5, v7, 1, s1
	s_and_b32 vcc_lo, s0, vcc_lo
	v_cndmask_b32_e32 v3, s20, v1, vcc_lo
	v_cndmask_b32_e32 v4, s21, v2, vcc_lo
	v_cndmask_b32_e64 v3, v1, v3, s1
	v_cndmask_b32_e64 v4, v2, v4, s1
.LBB54_330:
	s_or_b32 s24, s24, exec_lo
.LBB54_331:
	s_or_b32 exec_lo, exec_lo, s2
	v_mov_b32_e32 v1, s6
	v_mov_b32_e32 v2, s7
	s_branch .LBB54_356
.LBB54_332:
	s_cmp_eq_u32 s29, 1
	s_cbranch_scc0 .LBB54_355
; %bb.333:
	s_mov_b32 s3, 0
	s_lshr_b64 s[0:1], s[14:15], 8
	s_mov_b32 s7, s3
	s_lshl_b32 s2, s6, 8
	s_cmp_lg_u64 s[0:1], s[6:7]
	s_cbranch_scc0 .LBB54_359
; %bb.334:
	s_lshl_b64 s[0:1], s[2:3], 3
	s_waitcnt lgkmcnt(1)
	v_lshlrev_b32_e32 v3, 3, v0
	s_add_u32 s8, s16, s0
	s_addc_u32 s9, s17, s1
	s_add_u32 s0, s18, s0
	s_addc_u32 s1, s19, s1
	global_load_dwordx2 v[1:2], v3, s[8:9]
	s_waitcnt lgkmcnt(0)
	global_load_dwordx2 v[3:4], v3, s[0:1]
	s_add_u32 s0, s12, s2
	s_addc_u32 s1, s13, 0
                                        ; implicit-def: $vgpr7
	s_waitcnt vmcnt(0)
	v_cmp_neq_f64_e32 vcc_lo, v[1:2], v[3:4]
	v_add_co_u32 v1, s0, s0, v0
	v_add_co_ci_u32_e64 v2, null, s1, 0, s0
	v_mov_b32_dpp v3, v1 quad_perm:[1,0,3,2] row_mask:0xf bank_mask:0xf
	v_mov_b32_dpp v4, v2 quad_perm:[1,0,3,2] row_mask:0xf bank_mask:0xf
	v_cmp_lt_i64_e64 s0, v[1:2], v[3:4]
	v_cndmask_b32_e64 v5, 0, 1, vcc_lo
	s_and_b32 s0, vcc_lo, s0
	v_cndmask_b32_e64 v3, v3, v1, s0
	v_cndmask_b32_e64 v4, v4, v2, s0
	v_mov_b32_dpp v5, v5 quad_perm:[1,0,3,2] row_mask:0xf bank_mask:0xf
	v_and_b32_e32 v5, 1, v5
	v_cmp_eq_u32_e64 s0, 1, v5
	s_or_b32 s1, s0, vcc_lo
	v_cndmask_b32_e64 v4, v2, v4, s0
	v_cndmask_b32_e64 v2, 0, 1, s1
	;; [unrolled: 1-line block ×3, first 2 shown]
	v_mov_b32_dpp v6, v4 quad_perm:[2,3,0,1] row_mask:0xf bank_mask:0xf
	v_mov_b32_dpp v2, v2 quad_perm:[2,3,0,1] row_mask:0xf bank_mask:0xf
	;; [unrolled: 1-line block ×3, first 2 shown]
	v_and_b32_e32 v2, 1, v2
	v_cmp_eq_u32_e32 vcc_lo, 1, v2
                                        ; implicit-def: $vgpr1_vgpr2
	s_and_b32 s0, vcc_lo, s1
	s_xor_b32 s0, s0, -1
	s_and_saveexec_b32 s8, s0
	s_xor_b32 s0, exec_lo, s8
; %bb.335:
	s_or_b32 s1, vcc_lo, s1
	v_cndmask_b32_e32 v2, v4, v6, vcc_lo
	v_cndmask_b32_e32 v1, v3, v5, vcc_lo
	v_cndmask_b32_e64 v7, 0, 1, s1
                                        ; implicit-def: $vgpr3_vgpr4
                                        ; implicit-def: $vgpr5_vgpr6
; %bb.336:
	s_andn2_saveexec_b32 s0, s0
; %bb.337:
	v_cmp_lt_i64_e32 vcc_lo, v[3:4], v[5:6]
	v_mov_b32_e32 v7, 1
	v_cndmask_b32_e32 v2, v6, v4, vcc_lo
	v_cndmask_b32_e32 v1, v5, v3, vcc_lo
; %bb.338:
	s_or_b32 exec_lo, exec_lo, s0
	v_mov_b32_dpp v3, v1 row_ror:4 row_mask:0xf bank_mask:0xf
	v_mov_b32_dpp v4, v2 row_ror:4 row_mask:0xf bank_mask:0xf
	v_and_b32_e32 v6, 1, v7
	v_mov_b32_dpp v5, v7 row_ror:4 row_mask:0xf bank_mask:0xf
	v_mbcnt_lo_u32_b32 v8, -1, 0
	v_cmp_lt_i64_e32 vcc_lo, v[1:2], v[3:4]
	v_cmp_eq_u32_e64 s0, 1, v6
	v_and_b32_e32 v5, 1, v5
	s_and_b32 vcc_lo, s0, vcc_lo
	v_cmp_eq_u32_e64 s1, 1, v5
	v_cndmask_b32_e32 v3, v3, v1, vcc_lo
	v_cndmask_b32_e32 v4, v4, v2, vcc_lo
	v_cndmask_b32_e64 v5, v7, 1, s1
	v_cndmask_b32_e64 v1, v1, v3, s1
	;; [unrolled: 1-line block ×3, first 2 shown]
	v_and_b32_e32 v7, 1, v5
	v_mov_b32_dpp v3, v1 row_ror:8 row_mask:0xf bank_mask:0xf
	v_mov_b32_dpp v4, v2 row_ror:8 row_mask:0xf bank_mask:0xf
	v_mov_b32_dpp v6, v5 row_ror:8 row_mask:0xf bank_mask:0xf
	v_cmp_eq_u32_e64 s0, 1, v7
	v_cmp_lt_i64_e32 vcc_lo, v[1:2], v[3:4]
	v_and_b32_e32 v6, 1, v6
	v_cmp_eq_u32_e64 s1, 1, v6
	s_and_b32 vcc_lo, s0, vcc_lo
	v_cndmask_b32_e32 v3, v3, v1, vcc_lo
	v_cndmask_b32_e32 v4, v4, v2, vcc_lo
	v_cndmask_b32_e64 v5, v5, 1, s1
	v_cndmask_b32_e64 v1, v1, v3, s1
	;; [unrolled: 1-line block ×3, first 2 shown]
	ds_swizzle_b32 v6, v5 offset:swizzle(BROADCAST,32,15)
	v_and_b32_e32 v7, 1, v5
	ds_swizzle_b32 v3, v1 offset:swizzle(BROADCAST,32,15)
	ds_swizzle_b32 v4, v2 offset:swizzle(BROADCAST,32,15)
	v_cmp_eq_u32_e64 s0, 1, v7
	s_waitcnt lgkmcnt(2)
	v_and_b32_e32 v6, 1, v6
	s_waitcnt lgkmcnt(0)
	v_cmp_lt_i64_e32 vcc_lo, v[1:2], v[3:4]
	v_cmp_eq_u32_e64 s1, 1, v6
	v_mov_b32_e32 v6, 0
	s_and_b32 vcc_lo, s0, vcc_lo
	v_cndmask_b32_e64 v5, v5, 1, s1
	v_cndmask_b32_e32 v3, v3, v1, vcc_lo
	v_cndmask_b32_e32 v4, v4, v2, vcc_lo
	s_mov_b32 s0, exec_lo
	ds_bpermute_b32 v7, v6, v5 offset:124
	v_cndmask_b32_e64 v1, v1, v3, s1
	v_cndmask_b32_e64 v2, v2, v4, s1
	ds_bpermute_b32 v1, v6, v1 offset:124
	ds_bpermute_b32 v2, v6, v2 offset:124
	v_cmpx_eq_u32_e32 0, v8
	s_cbranch_execz .LBB54_340
; %bb.339:
	v_lshrrev_b32_e32 v3, 1, v0
	v_and_b32_e32 v3, 0x70, v3
	s_waitcnt lgkmcnt(2)
	ds_write_b8 v3, v7
	s_waitcnt lgkmcnt(1)
	ds_write_b64 v3, v[1:2] offset:8
.LBB54_340:
	s_or_b32 exec_lo, exec_lo, s0
	s_mov_b32 s0, exec_lo
	s_waitcnt lgkmcnt(0)
	s_barrier
	buffer_gl0_inv
	v_cmpx_gt_u32_e32 32, v0
	s_cbranch_execz .LBB54_354
; %bb.341:
	v_and_b32_e32 v7, 7, v8
	v_lshlrev_b32_e32 v1, 4, v7
	v_cmp_ne_u32_e32 vcc_lo, 7, v7
	ds_read_u8 v10, v1
	ds_read_b64 v[3:4], v1 offset:8
	v_add_co_ci_u32_e64 v2, null, 0, v8, vcc_lo
	v_lshlrev_b32_e32 v2, 2, v2
	s_waitcnt lgkmcnt(1)
	v_and_b32_e32 v1, 0xff, v10
	s_waitcnt lgkmcnt(0)
	ds_bpermute_b32 v5, v2, v3
	ds_bpermute_b32 v6, v2, v4
	ds_bpermute_b32 v11, v2, v1
	s_waitcnt lgkmcnt(0)
	v_and_b32_e32 v1, v10, v11
	v_and_b32_e32 v1, 1, v1
	v_cmp_eq_u32_e32 vcc_lo, 1, v1
                                        ; implicit-def: $vgpr1_vgpr2
	s_and_saveexec_b32 s1, vcc_lo
	s_xor_b32 s1, exec_lo, s1
; %bb.342:
	v_cmp_lt_i64_e32 vcc_lo, v[5:6], v[3:4]
                                        ; implicit-def: $vgpr10
                                        ; implicit-def: $vgpr11
	v_cndmask_b32_e32 v2, v4, v6, vcc_lo
	v_cndmask_b32_e32 v1, v3, v5, vcc_lo
                                        ; implicit-def: $vgpr5_vgpr6
                                        ; implicit-def: $vgpr3_vgpr4
; %bb.343:
	s_or_saveexec_b32 s1, s1
	v_mov_b32_e32 v9, 1
	s_xor_b32 exec_lo, exec_lo, s1
; %bb.344:
	v_and_b32_e32 v1, 1, v10
	v_and_b32_e32 v9, 0xff, v11
	v_cmp_eq_u32_e32 vcc_lo, 1, v1
	v_cndmask_b32_e32 v2, v6, v4, vcc_lo
	v_cndmask_b32_e32 v1, v5, v3, vcc_lo
	v_cndmask_b32_e64 v9, v9, 1, vcc_lo
; %bb.345:
	s_or_b32 exec_lo, exec_lo, s1
	v_cmp_gt_u32_e32 vcc_lo, 6, v7
	v_cndmask_b32_e64 v3, 0, 2, vcc_lo
	v_add_lshl_u32 v3, v3, v8, 2
	ds_bpermute_b32 v7, v3, v9
	ds_bpermute_b32 v5, v3, v1
	;; [unrolled: 1-line block ×3, first 2 shown]
	s_waitcnt lgkmcnt(2)
	v_and_b32_e32 v3, v9, v7
	v_and_b32_e32 v3, 1, v3
	v_cmp_eq_u32_e32 vcc_lo, 1, v3
                                        ; implicit-def: $vgpr3_vgpr4
	s_and_saveexec_b32 s1, vcc_lo
	s_xor_b32 s1, exec_lo, s1
	s_cbranch_execz .LBB54_347
; %bb.346:
	s_waitcnt lgkmcnt(0)
	v_cmp_lt_i64_e32 vcc_lo, v[5:6], v[1:2]
                                        ; implicit-def: $vgpr9
                                        ; implicit-def: $vgpr7
	v_cndmask_b32_e32 v4, v2, v6, vcc_lo
	v_cndmask_b32_e32 v3, v1, v5, vcc_lo
                                        ; implicit-def: $vgpr5_vgpr6
                                        ; implicit-def: $vgpr1_vgpr2
.LBB54_347:
	s_or_saveexec_b32 s1, s1
	v_lshlrev_b32_e32 v10, 2, v8
	v_mov_b32_e32 v8, 1
	s_xor_b32 exec_lo, exec_lo, s1
	s_cbranch_execz .LBB54_349
; %bb.348:
	v_and_b32_e32 v3, 1, v9
	v_and_b32_e32 v7, 0xff, v7
	v_cmp_eq_u32_e32 vcc_lo, 1, v3
	s_waitcnt lgkmcnt(0)
	v_cndmask_b32_e32 v4, v6, v2, vcc_lo
	v_cndmask_b32_e32 v3, v5, v1, vcc_lo
	v_cndmask_b32_e64 v8, v7, 1, vcc_lo
.LBB54_349:
	s_or_b32 exec_lo, exec_lo, s1
	v_or_b32_e32 v1, 16, v10
	ds_bpermute_b32 v9, v1, v8
	s_waitcnt lgkmcnt(2)
	ds_bpermute_b32 v5, v1, v3
	s_waitcnt lgkmcnt(2)
	ds_bpermute_b32 v6, v1, v4
	s_waitcnt lgkmcnt(2)
	v_and_b32_e32 v1, v8, v9
	v_and_b32_e32 v1, 1, v1
	v_cmp_eq_u32_e32 vcc_lo, 1, v1
                                        ; implicit-def: $vgpr1_vgpr2
	s_and_saveexec_b32 s1, vcc_lo
	s_xor_b32 s1, exec_lo, s1
	s_cbranch_execz .LBB54_351
; %bb.350:
	s_waitcnt lgkmcnt(0)
	v_cmp_lt_i64_e32 vcc_lo, v[5:6], v[3:4]
                                        ; implicit-def: $vgpr8
                                        ; implicit-def: $vgpr9
	v_cndmask_b32_e32 v2, v4, v6, vcc_lo
	v_cndmask_b32_e32 v1, v3, v5, vcc_lo
                                        ; implicit-def: $vgpr5_vgpr6
                                        ; implicit-def: $vgpr3_vgpr4
.LBB54_351:
	s_or_saveexec_b32 s1, s1
	v_mov_b32_e32 v7, 1
	s_xor_b32 exec_lo, exec_lo, s1
	s_cbranch_execz .LBB54_353
; %bb.352:
	v_and_b32_e32 v1, 1, v8
	v_cmp_eq_u32_e32 vcc_lo, 1, v1
	s_waitcnt lgkmcnt(0)
	v_cndmask_b32_e32 v2, v6, v4, vcc_lo
	v_cndmask_b32_e32 v1, v5, v3, vcc_lo
	v_cndmask_b32_e64 v7, v9, 1, vcc_lo
.LBB54_353:
	s_or_b32 exec_lo, exec_lo, s1
.LBB54_354:
	s_or_b32 exec_lo, exec_lo, s0
	s_branch .LBB54_415
.LBB54_355:
                                        ; implicit-def: $vgpr3_vgpr4
                                        ; implicit-def: $vgpr5
                                        ; implicit-def: $vgpr1_vgpr2
.LBB54_356:
	s_and_saveexec_b32 s0, s24
	s_cbranch_execz .LBB54_358
.LBB54_357:
	s_load_dwordx2 s[0:1], s[4:5], 0x38
	v_lshlrev_b64 v[0:1], 4, v[1:2]
	s_waitcnt lgkmcnt(0)
	v_add_co_u32 v0, vcc_lo, s0, v0
	v_add_co_ci_u32_e64 v1, null, s1, v1, vcc_lo
	global_store_byte v[0:1], v5, off
	global_store_dwordx2 v[0:1], v[3:4], off offset:8
.LBB54_358:
	s_endpgm
.LBB54_359:
                                        ; implicit-def: $vgpr1_vgpr2
                                        ; implicit-def: $vgpr7
	s_cbranch_execz .LBB54_415
; %bb.360:
	v_mov_b32_e32 v1, 0
	v_mov_b32_e32 v2, 0
	;; [unrolled: 1-line block ×3, first 2 shown]
	s_sub_i32 s0, s14, s2
	s_mov_b32 s1, exec_lo
	v_cmpx_gt_u32_e64 s0, v0
	s_cbranch_execz .LBB54_362
; %bb.361:
	s_lshl_b64 s[8:9], s[2:3], 3
	v_lshlrev_b32_e32 v1, 3, v0
	s_add_u32 s10, s18, s8
	s_addc_u32 s11, s19, s9
	s_add_u32 s8, s16, s8
	s_addc_u32 s9, s17, s9
	s_add_u32 s2, s12, s2
	s_waitcnt lgkmcnt(0)
	s_clause 0x1
	global_load_dwordx2 v[3:4], v1, s[8:9]
	global_load_dwordx2 v[5:6], v1, s[10:11]
	s_addc_u32 s3, s13, 0
	v_add_co_u32 v1, s2, s2, v0
	v_add_co_ci_u32_e64 v2, null, s3, 0, s2
	s_waitcnt vmcnt(0)
	v_cmp_neq_f64_e32 vcc_lo, v[3:4], v[5:6]
	v_cndmask_b32_e64 v8, 0, 1, vcc_lo
.LBB54_362:
	s_or_b32 exec_lo, exec_lo, s1
	s_waitcnt lgkmcnt(1)
	v_mbcnt_lo_u32_b32 v5, -1, 0
	v_and_b32_e32 v7, 0xffff, v8
	s_waitcnt lgkmcnt(0)
	v_and_b32_e32 v6, 0xe0, v0
	s_min_u32 s0, s0, 0x100
	s_mov_b32 s1, exec_lo
	v_cmp_ne_u32_e32 vcc_lo, 31, v5
	v_add_nc_u32_e32 v10, 1, v5
	v_sub_nc_u32_e64 v6, s0, v6 clamp
	v_add_co_ci_u32_e64 v3, null, 0, v5, vcc_lo
	v_lshlrev_b32_e32 v4, 2, v3
	ds_bpermute_b32 v9, v4, v7
	ds_bpermute_b32 v3, v4, v1
	;; [unrolled: 1-line block ×3, first 2 shown]
	v_cmpx_lt_u32_e64 v10, v6
	s_cbranch_execz .LBB54_368
; %bb.363:
	s_waitcnt lgkmcnt(2)
	v_and_b32_e32 v7, v9, v7
	s_mov_b32 s2, exec_lo
	v_and_b32_e32 v7, 1, v7
	v_cmpx_eq_u32_e32 1, v7
	s_xor_b32 s2, exec_lo, s2
	s_cbranch_execz .LBB54_365
; %bb.364:
	s_waitcnt lgkmcnt(0)
	v_cmp_lt_i64_e32 vcc_lo, v[3:4], v[1:2]
                                        ; implicit-def: $vgpr8
                                        ; implicit-def: $vgpr9
	v_cndmask_b32_e32 v2, v2, v4, vcc_lo
	v_cndmask_b32_e32 v1, v1, v3, vcc_lo
                                        ; implicit-def: $vgpr3_vgpr4
.LBB54_365:
	s_or_saveexec_b32 s2, s2
	v_mov_b32_e32 v7, 1
	s_xor_b32 exec_lo, exec_lo, s2
	s_cbranch_execz .LBB54_367
; %bb.366:
	v_and_b32_e32 v7, 1, v8
	v_cmp_eq_u32_e32 vcc_lo, 1, v7
	v_and_b32_e32 v7, 0xff, v9
	s_waitcnt lgkmcnt(0)
	v_cndmask_b32_e32 v2, v4, v2, vcc_lo
	v_cndmask_b32_e32 v1, v3, v1, vcc_lo
	v_cndmask_b32_e64 v7, v7, 1, vcc_lo
.LBB54_367:
	s_or_b32 exec_lo, exec_lo, s2
.LBB54_368:
	s_or_b32 exec_lo, exec_lo, s1
	v_cmp_gt_u32_e32 vcc_lo, 30, v5
	s_waitcnt lgkmcnt(2)
	v_add_nc_u32_e32 v9, 2, v5
	s_mov_b32 s1, exec_lo
	s_waitcnt lgkmcnt(1)
	v_cndmask_b32_e64 v3, 0, 2, vcc_lo
	s_waitcnt lgkmcnt(0)
	v_add_lshl_u32 v4, v3, v5, 2
	ds_bpermute_b32 v8, v4, v7
	ds_bpermute_b32 v3, v4, v1
	;; [unrolled: 1-line block ×3, first 2 shown]
	v_cmpx_lt_u32_e64 v9, v6
	s_cbranch_execz .LBB54_374
; %bb.369:
	s_waitcnt lgkmcnt(2)
	v_and_b32_e32 v9, v7, v8
	s_mov_b32 s2, exec_lo
	v_and_b32_e32 v9, 1, v9
	v_cmpx_eq_u32_e32 1, v9
	s_xor_b32 s2, exec_lo, s2
	s_cbranch_execz .LBB54_371
; %bb.370:
	s_waitcnt lgkmcnt(0)
	v_cmp_lt_i64_e32 vcc_lo, v[3:4], v[1:2]
                                        ; implicit-def: $vgpr7
                                        ; implicit-def: $vgpr8
	v_cndmask_b32_e32 v2, v2, v4, vcc_lo
	v_cndmask_b32_e32 v1, v1, v3, vcc_lo
                                        ; implicit-def: $vgpr3_vgpr4
.LBB54_371:
	s_or_saveexec_b32 s2, s2
	v_mov_b32_e32 v9, 1
	s_xor_b32 exec_lo, exec_lo, s2
	s_cbranch_execz .LBB54_373
; %bb.372:
	v_and_b32_e32 v7, 1, v7
	v_cmp_eq_u32_e32 vcc_lo, 1, v7
	v_and_b32_e32 v7, 0xff, v8
	s_waitcnt lgkmcnt(0)
	v_cndmask_b32_e32 v2, v4, v2, vcc_lo
	v_cndmask_b32_e32 v1, v3, v1, vcc_lo
	v_cndmask_b32_e64 v9, v7, 1, vcc_lo
.LBB54_373:
	s_or_b32 exec_lo, exec_lo, s2
	v_mov_b32_e32 v7, v9
.LBB54_374:
	s_or_b32 exec_lo, exec_lo, s1
	v_cmp_gt_u32_e32 vcc_lo, 28, v5
	v_add_nc_u32_e32 v9, 4, v5
	s_mov_b32 s1, exec_lo
	s_waitcnt lgkmcnt(1)
	v_cndmask_b32_e64 v3, 0, 4, vcc_lo
	s_waitcnt lgkmcnt(0)
	v_add_lshl_u32 v4, v3, v5, 2
	ds_bpermute_b32 v8, v4, v7
	ds_bpermute_b32 v3, v4, v1
	;; [unrolled: 1-line block ×3, first 2 shown]
	v_cmpx_lt_u32_e64 v9, v6
	s_cbranch_execz .LBB54_380
; %bb.375:
	s_waitcnt lgkmcnt(2)
	v_and_b32_e32 v9, v7, v8
	s_mov_b32 s2, exec_lo
	v_and_b32_e32 v9, 1, v9
	v_cmpx_eq_u32_e32 1, v9
	s_xor_b32 s2, exec_lo, s2
	s_cbranch_execz .LBB54_377
; %bb.376:
	s_waitcnt lgkmcnt(0)
	v_cmp_lt_i64_e32 vcc_lo, v[3:4], v[1:2]
                                        ; implicit-def: $vgpr7
                                        ; implicit-def: $vgpr8
	v_cndmask_b32_e32 v2, v2, v4, vcc_lo
	v_cndmask_b32_e32 v1, v1, v3, vcc_lo
                                        ; implicit-def: $vgpr3_vgpr4
.LBB54_377:
	s_or_saveexec_b32 s2, s2
	v_mov_b32_e32 v9, 1
	s_xor_b32 exec_lo, exec_lo, s2
	s_cbranch_execz .LBB54_379
; %bb.378:
	v_and_b32_e32 v7, 1, v7
	v_cmp_eq_u32_e32 vcc_lo, 1, v7
	v_and_b32_e32 v7, 0xff, v8
	s_waitcnt lgkmcnt(0)
	v_cndmask_b32_e32 v2, v4, v2, vcc_lo
	v_cndmask_b32_e32 v1, v3, v1, vcc_lo
	v_cndmask_b32_e64 v9, v7, 1, vcc_lo
.LBB54_379:
	s_or_b32 exec_lo, exec_lo, s2
	v_mov_b32_e32 v7, v9
.LBB54_380:
	s_or_b32 exec_lo, exec_lo, s1
	v_cmp_gt_u32_e32 vcc_lo, 24, v5
	v_add_nc_u32_e32 v9, 8, v5
	s_mov_b32 s1, exec_lo
	s_waitcnt lgkmcnt(1)
	v_cndmask_b32_e64 v3, 0, 8, vcc_lo
	s_waitcnt lgkmcnt(0)
	v_add_lshl_u32 v4, v3, v5, 2
	ds_bpermute_b32 v8, v4, v7
	ds_bpermute_b32 v3, v4, v1
	;; [unrolled: 1-line block ×3, first 2 shown]
	v_cmpx_lt_u32_e64 v9, v6
	s_cbranch_execz .LBB54_386
; %bb.381:
	s_waitcnt lgkmcnt(2)
	v_and_b32_e32 v9, v7, v8
	s_mov_b32 s2, exec_lo
	v_and_b32_e32 v9, 1, v9
	v_cmpx_eq_u32_e32 1, v9
	s_xor_b32 s2, exec_lo, s2
	s_cbranch_execz .LBB54_383
; %bb.382:
	s_waitcnt lgkmcnt(0)
	v_cmp_lt_i64_e32 vcc_lo, v[3:4], v[1:2]
                                        ; implicit-def: $vgpr7
                                        ; implicit-def: $vgpr8
	v_cndmask_b32_e32 v2, v2, v4, vcc_lo
	v_cndmask_b32_e32 v1, v1, v3, vcc_lo
                                        ; implicit-def: $vgpr3_vgpr4
.LBB54_383:
	s_or_saveexec_b32 s2, s2
	v_mov_b32_e32 v9, 1
	s_xor_b32 exec_lo, exec_lo, s2
	s_cbranch_execz .LBB54_385
; %bb.384:
	v_and_b32_e32 v7, 1, v7
	v_cmp_eq_u32_e32 vcc_lo, 1, v7
	v_and_b32_e32 v7, 0xff, v8
	s_waitcnt lgkmcnt(0)
	v_cndmask_b32_e32 v2, v4, v2, vcc_lo
	v_cndmask_b32_e32 v1, v3, v1, vcc_lo
	v_cndmask_b32_e64 v9, v7, 1, vcc_lo
.LBB54_385:
	s_or_b32 exec_lo, exec_lo, s2
	v_mov_b32_e32 v7, v9
.LBB54_386:
	s_or_b32 exec_lo, exec_lo, s1
	s_waitcnt lgkmcnt(2)
	v_lshlrev_b32_e32 v8, 2, v5
	v_add_nc_u32_e32 v10, 16, v5
	s_waitcnt lgkmcnt(0)
	v_or_b32_e32 v4, 64, v8
	v_cmp_lt_u32_e32 vcc_lo, v10, v6
	v_mov_b32_e32 v6, v7
	ds_bpermute_b32 v9, v4, v7
	ds_bpermute_b32 v3, v4, v1
	;; [unrolled: 1-line block ×3, first 2 shown]
	s_and_saveexec_b32 s1, vcc_lo
	s_cbranch_execz .LBB54_392
; %bb.387:
	s_waitcnt lgkmcnt(2)
	v_and_b32_e32 v6, v7, v9
	s_mov_b32 s2, exec_lo
	v_and_b32_e32 v6, 1, v6
	v_cmpx_eq_u32_e32 1, v6
	s_xor_b32 s2, exec_lo, s2
	s_cbranch_execz .LBB54_389
; %bb.388:
	s_waitcnt lgkmcnt(0)
	v_cmp_lt_i64_e32 vcc_lo, v[3:4], v[1:2]
                                        ; implicit-def: $vgpr7
                                        ; implicit-def: $vgpr9
	v_cndmask_b32_e32 v2, v2, v4, vcc_lo
	v_cndmask_b32_e32 v1, v1, v3, vcc_lo
                                        ; implicit-def: $vgpr3_vgpr4
.LBB54_389:
	s_or_saveexec_b32 s2, s2
	v_mov_b32_e32 v6, 1
	s_xor_b32 exec_lo, exec_lo, s2
	s_cbranch_execz .LBB54_391
; %bb.390:
	v_and_b32_e32 v6, 1, v7
	v_cmp_eq_u32_e32 vcc_lo, 1, v6
	v_cndmask_b32_e64 v6, v9, 1, vcc_lo
	s_waitcnt lgkmcnt(0)
	v_cndmask_b32_e32 v2, v4, v2, vcc_lo
	v_cndmask_b32_e32 v1, v3, v1, vcc_lo
.LBB54_391:
	s_or_b32 exec_lo, exec_lo, s2
	v_and_b32_e32 v7, 0xff, v6
.LBB54_392:
	s_or_b32 exec_lo, exec_lo, s1
	s_mov_b32 s1, exec_lo
	v_cmpx_eq_u32_e32 0, v5
	s_cbranch_execz .LBB54_394
; %bb.393:
	s_waitcnt lgkmcnt(1)
	v_lshrrev_b32_e32 v3, 1, v0
	v_and_b32_e32 v3, 0x70, v3
	ds_write_b8 v3, v6 offset:512
	ds_write_b64 v3, v[1:2] offset:520
.LBB54_394:
	s_or_b32 exec_lo, exec_lo, s1
	s_mov_b32 s1, exec_lo
	s_waitcnt lgkmcnt(0)
	s_barrier
	buffer_gl0_inv
	v_cmpx_gt_u32_e32 8, v0
	s_cbranch_execz .LBB54_414
; %bb.395:
	v_lshlrev_b32_e32 v1, 4, v5
	v_and_b32_e32 v6, 7, v5
	s_add_i32 s0, s0, 31
	s_mov_b32 s2, exec_lo
	s_lshr_b32 s0, s0, 5
	ds_read_u8 v9, v1 offset:512
	ds_read_b64 v[1:2], v1 offset:520
	v_cmp_ne_u32_e32 vcc_lo, 7, v6
	v_add_nc_u32_e32 v11, 1, v6
	v_add_co_ci_u32_e64 v3, null, 0, v5, vcc_lo
	v_lshlrev_b32_e32 v4, 2, v3
	s_waitcnt lgkmcnt(1)
	v_and_b32_e32 v7, 0xff, v9
	s_waitcnt lgkmcnt(0)
	ds_bpermute_b32 v3, v4, v1
	ds_bpermute_b32 v10, v4, v7
	;; [unrolled: 1-line block ×3, first 2 shown]
	v_cmpx_gt_u32_e64 s0, v11
	s_cbranch_execz .LBB54_401
; %bb.396:
	s_waitcnt lgkmcnt(1)
	v_and_b32_e32 v7, v7, v10
	s_mov_b32 s3, exec_lo
	v_and_b32_e32 v7, 1, v7
	v_cmpx_eq_u32_e32 1, v7
	s_xor_b32 s3, exec_lo, s3
	s_cbranch_execz .LBB54_398
; %bb.397:
	s_waitcnt lgkmcnt(0)
	v_cmp_lt_i64_e32 vcc_lo, v[3:4], v[1:2]
                                        ; implicit-def: $vgpr9
                                        ; implicit-def: $vgpr10
	v_cndmask_b32_e32 v2, v2, v4, vcc_lo
	v_cndmask_b32_e32 v1, v1, v3, vcc_lo
                                        ; implicit-def: $vgpr3_vgpr4
.LBB54_398:
	s_or_saveexec_b32 s3, s3
	v_mov_b32_e32 v7, 1
	s_xor_b32 exec_lo, exec_lo, s3
	s_cbranch_execz .LBB54_400
; %bb.399:
	v_and_b32_e32 v7, 1, v9
	v_cmp_eq_u32_e32 vcc_lo, 1, v7
	v_and_b32_e32 v7, 0xff, v10
	s_waitcnt lgkmcnt(0)
	v_cndmask_b32_e32 v2, v4, v2, vcc_lo
	v_cndmask_b32_e32 v1, v3, v1, vcc_lo
	v_cndmask_b32_e64 v7, v7, 1, vcc_lo
.LBB54_400:
	s_or_b32 exec_lo, exec_lo, s3
.LBB54_401:
	s_or_b32 exec_lo, exec_lo, s2
	v_cmp_gt_u32_e32 vcc_lo, 6, v6
	v_add_nc_u32_e32 v9, 2, v6
	s_mov_b32 s2, exec_lo
	s_waitcnt lgkmcnt(2)
	v_cndmask_b32_e64 v3, 0, 2, vcc_lo
	s_waitcnt lgkmcnt(0)
	v_add_lshl_u32 v4, v3, v5, 2
	ds_bpermute_b32 v5, v4, v7
	ds_bpermute_b32 v3, v4, v1
	;; [unrolled: 1-line block ×3, first 2 shown]
	v_cmpx_gt_u32_e64 s0, v9
	s_cbranch_execz .LBB54_407
; %bb.402:
	s_waitcnt lgkmcnt(2)
	v_and_b32_e32 v9, v7, v5
	s_mov_b32 s3, exec_lo
	v_and_b32_e32 v9, 1, v9
	v_cmpx_eq_u32_e32 1, v9
	s_xor_b32 s3, exec_lo, s3
	s_cbranch_execz .LBB54_404
; %bb.403:
	s_waitcnt lgkmcnt(0)
	v_cmp_lt_i64_e32 vcc_lo, v[3:4], v[1:2]
                                        ; implicit-def: $vgpr7
                                        ; implicit-def: $vgpr5
	v_cndmask_b32_e32 v2, v2, v4, vcc_lo
	v_cndmask_b32_e32 v1, v1, v3, vcc_lo
                                        ; implicit-def: $vgpr3_vgpr4
.LBB54_404:
	s_or_saveexec_b32 s3, s3
	v_mov_b32_e32 v9, 1
	s_xor_b32 exec_lo, exec_lo, s3
	s_cbranch_execz .LBB54_406
; %bb.405:
	v_and_b32_e32 v7, 1, v7
	v_and_b32_e32 v5, 0xff, v5
	v_cmp_eq_u32_e32 vcc_lo, 1, v7
	s_waitcnt lgkmcnt(0)
	v_cndmask_b32_e32 v2, v4, v2, vcc_lo
	v_cndmask_b32_e32 v1, v3, v1, vcc_lo
	v_cndmask_b32_e64 v9, v5, 1, vcc_lo
.LBB54_406:
	s_or_b32 exec_lo, exec_lo, s3
	v_mov_b32_e32 v7, v9
.LBB54_407:
	s_or_b32 exec_lo, exec_lo, s2
	s_waitcnt lgkmcnt(0)
	v_or_b32_e32 v4, 16, v8
	v_add_nc_u32_e32 v6, 4, v6
	ds_bpermute_b32 v5, v4, v7
	ds_bpermute_b32 v3, v4, v1
	ds_bpermute_b32 v4, v4, v2
	v_cmp_gt_u32_e32 vcc_lo, s0, v6
	s_and_saveexec_b32 s0, vcc_lo
	s_cbranch_execz .LBB54_413
; %bb.408:
	s_waitcnt lgkmcnt(2)
	v_and_b32_e32 v6, v7, v5
	s_mov_b32 s2, exec_lo
	v_and_b32_e32 v6, 1, v6
	v_cmpx_eq_u32_e32 1, v6
	s_xor_b32 s2, exec_lo, s2
	s_cbranch_execz .LBB54_410
; %bb.409:
	s_waitcnt lgkmcnt(0)
	v_cmp_lt_i64_e32 vcc_lo, v[3:4], v[1:2]
                                        ; implicit-def: $vgpr7
                                        ; implicit-def: $vgpr5
	v_cndmask_b32_e32 v2, v2, v4, vcc_lo
	v_cndmask_b32_e32 v1, v1, v3, vcc_lo
                                        ; implicit-def: $vgpr3_vgpr4
.LBB54_410:
	s_or_saveexec_b32 s2, s2
	v_mov_b32_e32 v6, 1
	s_xor_b32 exec_lo, exec_lo, s2
	s_cbranch_execz .LBB54_412
; %bb.411:
	v_and_b32_e32 v6, 1, v7
	v_cmp_eq_u32_e32 vcc_lo, 1, v6
	s_waitcnt lgkmcnt(0)
	v_cndmask_b32_e32 v2, v4, v2, vcc_lo
	v_cndmask_b32_e32 v1, v3, v1, vcc_lo
	v_cndmask_b32_e64 v6, v5, 1, vcc_lo
.LBB54_412:
	s_or_b32 exec_lo, exec_lo, s2
	v_mov_b32_e32 v7, v6
.LBB54_413:
	s_or_b32 exec_lo, exec_lo, s0
.LBB54_414:
	s_or_b32 exec_lo, exec_lo, s1
.LBB54_415:
	s_mov_b32 s2, exec_lo
                                        ; implicit-def: $vgpr3_vgpr4
                                        ; implicit-def: $vgpr5
	v_cmpx_eq_u32_e32 0, v0
	s_cbranch_execz .LBB54_419
; %bb.416:
	s_waitcnt lgkmcnt(0)
	v_mov_b32_e32 v3, s20
	v_mov_b32_e32 v4, s21
	;; [unrolled: 1-line block ×3, first 2 shown]
	s_cmp_eq_u64 s[14:15], 0
	s_cbranch_scc1 .LBB54_418
; %bb.417:
	v_and_b32_e32 v0, 1, v7
	v_cmp_gt_i64_e32 vcc_lo, s[20:21], v[1:2]
	s_bitcmp1_b32 s28, 0
	s_cselect_b32 s1, -1, 0
	v_cmp_eq_u32_e64 s0, 1, v0
	v_cndmask_b32_e64 v5, v7, 1, s1
	s_and_b32 vcc_lo, s0, vcc_lo
	v_cndmask_b32_e32 v0, s20, v1, vcc_lo
	v_cndmask_b32_e32 v3, s21, v2, vcc_lo
	v_cndmask_b32_e64 v4, v2, v3, s1
	v_cndmask_b32_e64 v3, v1, v0, s1
.LBB54_418:
	s_or_b32 s24, s24, exec_lo
.LBB54_419:
	s_or_b32 exec_lo, exec_lo, s2
	v_mov_b32_e32 v1, s6
	v_mov_b32_e32 v2, s7
	s_and_saveexec_b32 s0, s24
	s_cbranch_execnz .LBB54_357
	s_branch .LBB54_358
	.section	.rodata,"a",@progbits
	.p2align	6, 0x0
	.amdhsa_kernel _ZN7rocprim17ROCPRIM_400000_NS6detail17trampoline_kernelINS0_14default_configENS1_22reduce_config_selectorIN6thrust23THRUST_200600_302600_NS5tupleIblNS6_9null_typeES8_S8_S8_S8_S8_S8_S8_EEEEZNS1_11reduce_implILb1ES3_NS6_12zip_iteratorINS7_INS6_11hip_rocprim26transform_input_iterator_tIbNSD_35transform_pair_of_input_iterators_tIbNS6_6detail15normal_iteratorINS6_10device_ptrIKdEEEESL_NS6_8equal_toIdEEEENSG_9not_fun_tINSD_8identityEEEEENSD_19counting_iterator_tIlEES8_S8_S8_S8_S8_S8_S8_S8_EEEEPS9_S9_NSD_9__find_if7functorIS9_EEEE10hipError_tPvRmT1_T2_T3_mT4_P12ihipStream_tbEUlT_E1_NS1_11comp_targetILNS1_3genE8ELNS1_11target_archE1030ELNS1_3gpuE2ELNS1_3repE0EEENS1_30default_config_static_selectorELNS0_4arch9wavefront6targetE0EEEvS14_
		.amdhsa_group_segment_fixed_size 640
		.amdhsa_private_segment_fixed_size 0
		.amdhsa_kernarg_size 88
		.amdhsa_user_sgpr_count 6
		.amdhsa_user_sgpr_private_segment_buffer 1
		.amdhsa_user_sgpr_dispatch_ptr 0
		.amdhsa_user_sgpr_queue_ptr 0
		.amdhsa_user_sgpr_kernarg_segment_ptr 1
		.amdhsa_user_sgpr_dispatch_id 0
		.amdhsa_user_sgpr_flat_scratch_init 0
		.amdhsa_user_sgpr_private_segment_size 0
		.amdhsa_wavefront_size32 1
		.amdhsa_uses_dynamic_stack 0
		.amdhsa_system_sgpr_private_segment_wavefront_offset 0
		.amdhsa_system_sgpr_workgroup_id_x 1
		.amdhsa_system_sgpr_workgroup_id_y 0
		.amdhsa_system_sgpr_workgroup_id_z 0
		.amdhsa_system_sgpr_workgroup_info 0
		.amdhsa_system_vgpr_workitem_id 0
		.amdhsa_next_free_vgpr 34
		.amdhsa_next_free_sgpr 32
		.amdhsa_reserve_vcc 1
		.amdhsa_reserve_flat_scratch 0
		.amdhsa_float_round_mode_32 0
		.amdhsa_float_round_mode_16_64 0
		.amdhsa_float_denorm_mode_32 3
		.amdhsa_float_denorm_mode_16_64 3
		.amdhsa_dx10_clamp 1
		.amdhsa_ieee_mode 1
		.amdhsa_fp16_overflow 0
		.amdhsa_workgroup_processor_mode 1
		.amdhsa_memory_ordered 1
		.amdhsa_forward_progress 1
		.amdhsa_shared_vgpr_count 0
		.amdhsa_exception_fp_ieee_invalid_op 0
		.amdhsa_exception_fp_denorm_src 0
		.amdhsa_exception_fp_ieee_div_zero 0
		.amdhsa_exception_fp_ieee_overflow 0
		.amdhsa_exception_fp_ieee_underflow 0
		.amdhsa_exception_fp_ieee_inexact 0
		.amdhsa_exception_int_div_zero 0
	.end_amdhsa_kernel
	.section	.text._ZN7rocprim17ROCPRIM_400000_NS6detail17trampoline_kernelINS0_14default_configENS1_22reduce_config_selectorIN6thrust23THRUST_200600_302600_NS5tupleIblNS6_9null_typeES8_S8_S8_S8_S8_S8_S8_EEEEZNS1_11reduce_implILb1ES3_NS6_12zip_iteratorINS7_INS6_11hip_rocprim26transform_input_iterator_tIbNSD_35transform_pair_of_input_iterators_tIbNS6_6detail15normal_iteratorINS6_10device_ptrIKdEEEESL_NS6_8equal_toIdEEEENSG_9not_fun_tINSD_8identityEEEEENSD_19counting_iterator_tIlEES8_S8_S8_S8_S8_S8_S8_S8_EEEEPS9_S9_NSD_9__find_if7functorIS9_EEEE10hipError_tPvRmT1_T2_T3_mT4_P12ihipStream_tbEUlT_E1_NS1_11comp_targetILNS1_3genE8ELNS1_11target_archE1030ELNS1_3gpuE2ELNS1_3repE0EEENS1_30default_config_static_selectorELNS0_4arch9wavefront6targetE0EEEvS14_,"axG",@progbits,_ZN7rocprim17ROCPRIM_400000_NS6detail17trampoline_kernelINS0_14default_configENS1_22reduce_config_selectorIN6thrust23THRUST_200600_302600_NS5tupleIblNS6_9null_typeES8_S8_S8_S8_S8_S8_S8_EEEEZNS1_11reduce_implILb1ES3_NS6_12zip_iteratorINS7_INS6_11hip_rocprim26transform_input_iterator_tIbNSD_35transform_pair_of_input_iterators_tIbNS6_6detail15normal_iteratorINS6_10device_ptrIKdEEEESL_NS6_8equal_toIdEEEENSG_9not_fun_tINSD_8identityEEEEENSD_19counting_iterator_tIlEES8_S8_S8_S8_S8_S8_S8_S8_EEEEPS9_S9_NSD_9__find_if7functorIS9_EEEE10hipError_tPvRmT1_T2_T3_mT4_P12ihipStream_tbEUlT_E1_NS1_11comp_targetILNS1_3genE8ELNS1_11target_archE1030ELNS1_3gpuE2ELNS1_3repE0EEENS1_30default_config_static_selectorELNS0_4arch9wavefront6targetE0EEEvS14_,comdat
.Lfunc_end54:
	.size	_ZN7rocprim17ROCPRIM_400000_NS6detail17trampoline_kernelINS0_14default_configENS1_22reduce_config_selectorIN6thrust23THRUST_200600_302600_NS5tupleIblNS6_9null_typeES8_S8_S8_S8_S8_S8_S8_EEEEZNS1_11reduce_implILb1ES3_NS6_12zip_iteratorINS7_INS6_11hip_rocprim26transform_input_iterator_tIbNSD_35transform_pair_of_input_iterators_tIbNS6_6detail15normal_iteratorINS6_10device_ptrIKdEEEESL_NS6_8equal_toIdEEEENSG_9not_fun_tINSD_8identityEEEEENSD_19counting_iterator_tIlEES8_S8_S8_S8_S8_S8_S8_S8_EEEEPS9_S9_NSD_9__find_if7functorIS9_EEEE10hipError_tPvRmT1_T2_T3_mT4_P12ihipStream_tbEUlT_E1_NS1_11comp_targetILNS1_3genE8ELNS1_11target_archE1030ELNS1_3gpuE2ELNS1_3repE0EEENS1_30default_config_static_selectorELNS0_4arch9wavefront6targetE0EEEvS14_, .Lfunc_end54-_ZN7rocprim17ROCPRIM_400000_NS6detail17trampoline_kernelINS0_14default_configENS1_22reduce_config_selectorIN6thrust23THRUST_200600_302600_NS5tupleIblNS6_9null_typeES8_S8_S8_S8_S8_S8_S8_EEEEZNS1_11reduce_implILb1ES3_NS6_12zip_iteratorINS7_INS6_11hip_rocprim26transform_input_iterator_tIbNSD_35transform_pair_of_input_iterators_tIbNS6_6detail15normal_iteratorINS6_10device_ptrIKdEEEESL_NS6_8equal_toIdEEEENSG_9not_fun_tINSD_8identityEEEEENSD_19counting_iterator_tIlEES8_S8_S8_S8_S8_S8_S8_S8_EEEEPS9_S9_NSD_9__find_if7functorIS9_EEEE10hipError_tPvRmT1_T2_T3_mT4_P12ihipStream_tbEUlT_E1_NS1_11comp_targetILNS1_3genE8ELNS1_11target_archE1030ELNS1_3gpuE2ELNS1_3repE0EEENS1_30default_config_static_selectorELNS0_4arch9wavefront6targetE0EEEvS14_
                                        ; -- End function
	.set _ZN7rocprim17ROCPRIM_400000_NS6detail17trampoline_kernelINS0_14default_configENS1_22reduce_config_selectorIN6thrust23THRUST_200600_302600_NS5tupleIblNS6_9null_typeES8_S8_S8_S8_S8_S8_S8_EEEEZNS1_11reduce_implILb1ES3_NS6_12zip_iteratorINS7_INS6_11hip_rocprim26transform_input_iterator_tIbNSD_35transform_pair_of_input_iterators_tIbNS6_6detail15normal_iteratorINS6_10device_ptrIKdEEEESL_NS6_8equal_toIdEEEENSG_9not_fun_tINSD_8identityEEEEENSD_19counting_iterator_tIlEES8_S8_S8_S8_S8_S8_S8_S8_EEEEPS9_S9_NSD_9__find_if7functorIS9_EEEE10hipError_tPvRmT1_T2_T3_mT4_P12ihipStream_tbEUlT_E1_NS1_11comp_targetILNS1_3genE8ELNS1_11target_archE1030ELNS1_3gpuE2ELNS1_3repE0EEENS1_30default_config_static_selectorELNS0_4arch9wavefront6targetE0EEEvS14_.num_vgpr, 34
	.set _ZN7rocprim17ROCPRIM_400000_NS6detail17trampoline_kernelINS0_14default_configENS1_22reduce_config_selectorIN6thrust23THRUST_200600_302600_NS5tupleIblNS6_9null_typeES8_S8_S8_S8_S8_S8_S8_EEEEZNS1_11reduce_implILb1ES3_NS6_12zip_iteratorINS7_INS6_11hip_rocprim26transform_input_iterator_tIbNSD_35transform_pair_of_input_iterators_tIbNS6_6detail15normal_iteratorINS6_10device_ptrIKdEEEESL_NS6_8equal_toIdEEEENSG_9not_fun_tINSD_8identityEEEEENSD_19counting_iterator_tIlEES8_S8_S8_S8_S8_S8_S8_S8_EEEEPS9_S9_NSD_9__find_if7functorIS9_EEEE10hipError_tPvRmT1_T2_T3_mT4_P12ihipStream_tbEUlT_E1_NS1_11comp_targetILNS1_3genE8ELNS1_11target_archE1030ELNS1_3gpuE2ELNS1_3repE0EEENS1_30default_config_static_selectorELNS0_4arch9wavefront6targetE0EEEvS14_.num_agpr, 0
	.set _ZN7rocprim17ROCPRIM_400000_NS6detail17trampoline_kernelINS0_14default_configENS1_22reduce_config_selectorIN6thrust23THRUST_200600_302600_NS5tupleIblNS6_9null_typeES8_S8_S8_S8_S8_S8_S8_EEEEZNS1_11reduce_implILb1ES3_NS6_12zip_iteratorINS7_INS6_11hip_rocprim26transform_input_iterator_tIbNSD_35transform_pair_of_input_iterators_tIbNS6_6detail15normal_iteratorINS6_10device_ptrIKdEEEESL_NS6_8equal_toIdEEEENSG_9not_fun_tINSD_8identityEEEEENSD_19counting_iterator_tIlEES8_S8_S8_S8_S8_S8_S8_S8_EEEEPS9_S9_NSD_9__find_if7functorIS9_EEEE10hipError_tPvRmT1_T2_T3_mT4_P12ihipStream_tbEUlT_E1_NS1_11comp_targetILNS1_3genE8ELNS1_11target_archE1030ELNS1_3gpuE2ELNS1_3repE0EEENS1_30default_config_static_selectorELNS0_4arch9wavefront6targetE0EEEvS14_.numbered_sgpr, 32
	.set _ZN7rocprim17ROCPRIM_400000_NS6detail17trampoline_kernelINS0_14default_configENS1_22reduce_config_selectorIN6thrust23THRUST_200600_302600_NS5tupleIblNS6_9null_typeES8_S8_S8_S8_S8_S8_S8_EEEEZNS1_11reduce_implILb1ES3_NS6_12zip_iteratorINS7_INS6_11hip_rocprim26transform_input_iterator_tIbNSD_35transform_pair_of_input_iterators_tIbNS6_6detail15normal_iteratorINS6_10device_ptrIKdEEEESL_NS6_8equal_toIdEEEENSG_9not_fun_tINSD_8identityEEEEENSD_19counting_iterator_tIlEES8_S8_S8_S8_S8_S8_S8_S8_EEEEPS9_S9_NSD_9__find_if7functorIS9_EEEE10hipError_tPvRmT1_T2_T3_mT4_P12ihipStream_tbEUlT_E1_NS1_11comp_targetILNS1_3genE8ELNS1_11target_archE1030ELNS1_3gpuE2ELNS1_3repE0EEENS1_30default_config_static_selectorELNS0_4arch9wavefront6targetE0EEEvS14_.num_named_barrier, 0
	.set _ZN7rocprim17ROCPRIM_400000_NS6detail17trampoline_kernelINS0_14default_configENS1_22reduce_config_selectorIN6thrust23THRUST_200600_302600_NS5tupleIblNS6_9null_typeES8_S8_S8_S8_S8_S8_S8_EEEEZNS1_11reduce_implILb1ES3_NS6_12zip_iteratorINS7_INS6_11hip_rocprim26transform_input_iterator_tIbNSD_35transform_pair_of_input_iterators_tIbNS6_6detail15normal_iteratorINS6_10device_ptrIKdEEEESL_NS6_8equal_toIdEEEENSG_9not_fun_tINSD_8identityEEEEENSD_19counting_iterator_tIlEES8_S8_S8_S8_S8_S8_S8_S8_EEEEPS9_S9_NSD_9__find_if7functorIS9_EEEE10hipError_tPvRmT1_T2_T3_mT4_P12ihipStream_tbEUlT_E1_NS1_11comp_targetILNS1_3genE8ELNS1_11target_archE1030ELNS1_3gpuE2ELNS1_3repE0EEENS1_30default_config_static_selectorELNS0_4arch9wavefront6targetE0EEEvS14_.private_seg_size, 0
	.set _ZN7rocprim17ROCPRIM_400000_NS6detail17trampoline_kernelINS0_14default_configENS1_22reduce_config_selectorIN6thrust23THRUST_200600_302600_NS5tupleIblNS6_9null_typeES8_S8_S8_S8_S8_S8_S8_EEEEZNS1_11reduce_implILb1ES3_NS6_12zip_iteratorINS7_INS6_11hip_rocprim26transform_input_iterator_tIbNSD_35transform_pair_of_input_iterators_tIbNS6_6detail15normal_iteratorINS6_10device_ptrIKdEEEESL_NS6_8equal_toIdEEEENSG_9not_fun_tINSD_8identityEEEEENSD_19counting_iterator_tIlEES8_S8_S8_S8_S8_S8_S8_S8_EEEEPS9_S9_NSD_9__find_if7functorIS9_EEEE10hipError_tPvRmT1_T2_T3_mT4_P12ihipStream_tbEUlT_E1_NS1_11comp_targetILNS1_3genE8ELNS1_11target_archE1030ELNS1_3gpuE2ELNS1_3repE0EEENS1_30default_config_static_selectorELNS0_4arch9wavefront6targetE0EEEvS14_.uses_vcc, 1
	.set _ZN7rocprim17ROCPRIM_400000_NS6detail17trampoline_kernelINS0_14default_configENS1_22reduce_config_selectorIN6thrust23THRUST_200600_302600_NS5tupleIblNS6_9null_typeES8_S8_S8_S8_S8_S8_S8_EEEEZNS1_11reduce_implILb1ES3_NS6_12zip_iteratorINS7_INS6_11hip_rocprim26transform_input_iterator_tIbNSD_35transform_pair_of_input_iterators_tIbNS6_6detail15normal_iteratorINS6_10device_ptrIKdEEEESL_NS6_8equal_toIdEEEENSG_9not_fun_tINSD_8identityEEEEENSD_19counting_iterator_tIlEES8_S8_S8_S8_S8_S8_S8_S8_EEEEPS9_S9_NSD_9__find_if7functorIS9_EEEE10hipError_tPvRmT1_T2_T3_mT4_P12ihipStream_tbEUlT_E1_NS1_11comp_targetILNS1_3genE8ELNS1_11target_archE1030ELNS1_3gpuE2ELNS1_3repE0EEENS1_30default_config_static_selectorELNS0_4arch9wavefront6targetE0EEEvS14_.uses_flat_scratch, 0
	.set _ZN7rocprim17ROCPRIM_400000_NS6detail17trampoline_kernelINS0_14default_configENS1_22reduce_config_selectorIN6thrust23THRUST_200600_302600_NS5tupleIblNS6_9null_typeES8_S8_S8_S8_S8_S8_S8_EEEEZNS1_11reduce_implILb1ES3_NS6_12zip_iteratorINS7_INS6_11hip_rocprim26transform_input_iterator_tIbNSD_35transform_pair_of_input_iterators_tIbNS6_6detail15normal_iteratorINS6_10device_ptrIKdEEEESL_NS6_8equal_toIdEEEENSG_9not_fun_tINSD_8identityEEEEENSD_19counting_iterator_tIlEES8_S8_S8_S8_S8_S8_S8_S8_EEEEPS9_S9_NSD_9__find_if7functorIS9_EEEE10hipError_tPvRmT1_T2_T3_mT4_P12ihipStream_tbEUlT_E1_NS1_11comp_targetILNS1_3genE8ELNS1_11target_archE1030ELNS1_3gpuE2ELNS1_3repE0EEENS1_30default_config_static_selectorELNS0_4arch9wavefront6targetE0EEEvS14_.has_dyn_sized_stack, 0
	.set _ZN7rocprim17ROCPRIM_400000_NS6detail17trampoline_kernelINS0_14default_configENS1_22reduce_config_selectorIN6thrust23THRUST_200600_302600_NS5tupleIblNS6_9null_typeES8_S8_S8_S8_S8_S8_S8_EEEEZNS1_11reduce_implILb1ES3_NS6_12zip_iteratorINS7_INS6_11hip_rocprim26transform_input_iterator_tIbNSD_35transform_pair_of_input_iterators_tIbNS6_6detail15normal_iteratorINS6_10device_ptrIKdEEEESL_NS6_8equal_toIdEEEENSG_9not_fun_tINSD_8identityEEEEENSD_19counting_iterator_tIlEES8_S8_S8_S8_S8_S8_S8_S8_EEEEPS9_S9_NSD_9__find_if7functorIS9_EEEE10hipError_tPvRmT1_T2_T3_mT4_P12ihipStream_tbEUlT_E1_NS1_11comp_targetILNS1_3genE8ELNS1_11target_archE1030ELNS1_3gpuE2ELNS1_3repE0EEENS1_30default_config_static_selectorELNS0_4arch9wavefront6targetE0EEEvS14_.has_recursion, 0
	.set _ZN7rocprim17ROCPRIM_400000_NS6detail17trampoline_kernelINS0_14default_configENS1_22reduce_config_selectorIN6thrust23THRUST_200600_302600_NS5tupleIblNS6_9null_typeES8_S8_S8_S8_S8_S8_S8_EEEEZNS1_11reduce_implILb1ES3_NS6_12zip_iteratorINS7_INS6_11hip_rocprim26transform_input_iterator_tIbNSD_35transform_pair_of_input_iterators_tIbNS6_6detail15normal_iteratorINS6_10device_ptrIKdEEEESL_NS6_8equal_toIdEEEENSG_9not_fun_tINSD_8identityEEEEENSD_19counting_iterator_tIlEES8_S8_S8_S8_S8_S8_S8_S8_EEEEPS9_S9_NSD_9__find_if7functorIS9_EEEE10hipError_tPvRmT1_T2_T3_mT4_P12ihipStream_tbEUlT_E1_NS1_11comp_targetILNS1_3genE8ELNS1_11target_archE1030ELNS1_3gpuE2ELNS1_3repE0EEENS1_30default_config_static_selectorELNS0_4arch9wavefront6targetE0EEEvS14_.has_indirect_call, 0
	.section	.AMDGPU.csdata,"",@progbits
; Kernel info:
; codeLenInByte = 15084
; TotalNumSgprs: 34
; NumVgprs: 34
; ScratchSize: 0
; MemoryBound: 0
; FloatMode: 240
; IeeeMode: 1
; LDSByteSize: 640 bytes/workgroup (compile time only)
; SGPRBlocks: 0
; VGPRBlocks: 4
; NumSGPRsForWavesPerEU: 34
; NumVGPRsForWavesPerEU: 34
; Occupancy: 16
; WaveLimiterHint : 0
; COMPUTE_PGM_RSRC2:SCRATCH_EN: 0
; COMPUTE_PGM_RSRC2:USER_SGPR: 6
; COMPUTE_PGM_RSRC2:TRAP_HANDLER: 0
; COMPUTE_PGM_RSRC2:TGID_X_EN: 1
; COMPUTE_PGM_RSRC2:TGID_Y_EN: 0
; COMPUTE_PGM_RSRC2:TGID_Z_EN: 0
; COMPUTE_PGM_RSRC2:TIDIG_COMP_CNT: 0
	.section	.text._ZN6thrust23THRUST_200600_302600_NS11hip_rocprim14__parallel_for6kernelILj256ENS1_10for_each_fINS0_7pointerINS0_5tupleIblNS0_9null_typeES7_S7_S7_S7_S7_S7_S7_EENS1_3tagENS0_11use_defaultESA_EENS0_6detail16wrapped_functionINSC_23allocator_traits_detail24construct1_via_allocatorINSC_18no_throw_allocatorINSC_19temporary_allocatorIS8_S9_EEEEEEvEEEEmLj1EEEvT0_T1_SO_,"axG",@progbits,_ZN6thrust23THRUST_200600_302600_NS11hip_rocprim14__parallel_for6kernelILj256ENS1_10for_each_fINS0_7pointerINS0_5tupleIblNS0_9null_typeES7_S7_S7_S7_S7_S7_S7_EENS1_3tagENS0_11use_defaultESA_EENS0_6detail16wrapped_functionINSC_23allocator_traits_detail24construct1_via_allocatorINSC_18no_throw_allocatorINSC_19temporary_allocatorIS8_S9_EEEEEEvEEEEmLj1EEEvT0_T1_SO_,comdat
	.protected	_ZN6thrust23THRUST_200600_302600_NS11hip_rocprim14__parallel_for6kernelILj256ENS1_10for_each_fINS0_7pointerINS0_5tupleIblNS0_9null_typeES7_S7_S7_S7_S7_S7_S7_EENS1_3tagENS0_11use_defaultESA_EENS0_6detail16wrapped_functionINSC_23allocator_traits_detail24construct1_via_allocatorINSC_18no_throw_allocatorINSC_19temporary_allocatorIS8_S9_EEEEEEvEEEEmLj1EEEvT0_T1_SO_ ; -- Begin function _ZN6thrust23THRUST_200600_302600_NS11hip_rocprim14__parallel_for6kernelILj256ENS1_10for_each_fINS0_7pointerINS0_5tupleIblNS0_9null_typeES7_S7_S7_S7_S7_S7_S7_EENS1_3tagENS0_11use_defaultESA_EENS0_6detail16wrapped_functionINSC_23allocator_traits_detail24construct1_via_allocatorINSC_18no_throw_allocatorINSC_19temporary_allocatorIS8_S9_EEEEEEvEEEEmLj1EEEvT0_T1_SO_
	.globl	_ZN6thrust23THRUST_200600_302600_NS11hip_rocprim14__parallel_for6kernelILj256ENS1_10for_each_fINS0_7pointerINS0_5tupleIblNS0_9null_typeES7_S7_S7_S7_S7_S7_S7_EENS1_3tagENS0_11use_defaultESA_EENS0_6detail16wrapped_functionINSC_23allocator_traits_detail24construct1_via_allocatorINSC_18no_throw_allocatorINSC_19temporary_allocatorIS8_S9_EEEEEEvEEEEmLj1EEEvT0_T1_SO_
	.p2align	8
	.type	_ZN6thrust23THRUST_200600_302600_NS11hip_rocprim14__parallel_for6kernelILj256ENS1_10for_each_fINS0_7pointerINS0_5tupleIblNS0_9null_typeES7_S7_S7_S7_S7_S7_S7_EENS1_3tagENS0_11use_defaultESA_EENS0_6detail16wrapped_functionINSC_23allocator_traits_detail24construct1_via_allocatorINSC_18no_throw_allocatorINSC_19temporary_allocatorIS8_S9_EEEEEEvEEEEmLj1EEEvT0_T1_SO_,@function
_ZN6thrust23THRUST_200600_302600_NS11hip_rocprim14__parallel_for6kernelILj256ENS1_10for_each_fINS0_7pointerINS0_5tupleIblNS0_9null_typeES7_S7_S7_S7_S7_S7_S7_EENS1_3tagENS0_11use_defaultESA_EENS0_6detail16wrapped_functionINSC_23allocator_traits_detail24construct1_via_allocatorINSC_18no_throw_allocatorINSC_19temporary_allocatorIS8_S9_EEEEEEvEEEEmLj1EEEvT0_T1_SO_: ; @_ZN6thrust23THRUST_200600_302600_NS11hip_rocprim14__parallel_for6kernelILj256ENS1_10for_each_fINS0_7pointerINS0_5tupleIblNS0_9null_typeES7_S7_S7_S7_S7_S7_S7_EENS1_3tagENS0_11use_defaultESA_EENS0_6detail16wrapped_functionINSC_23allocator_traits_detail24construct1_via_allocatorINSC_18no_throw_allocatorINSC_19temporary_allocatorIS8_S9_EEEEEEvEEEEmLj1EEEvT0_T1_SO_
; %bb.0:
	s_clause 0x1
	s_load_dwordx4 s[8:11], s[4:5], 0x10
	s_load_dwordx2 s[0:1], s[4:5], 0x0
	s_lshl_b32 s2, s6, 8
	s_waitcnt lgkmcnt(0)
	s_add_u32 s2, s10, s2
	s_addc_u32 s3, s11, 0
	s_sub_u32 s4, s8, s2
	s_subb_u32 s5, s9, s3
	v_cmp_lt_u64_e64 s5, 0xff, s[4:5]
	s_and_b32 vcc_lo, exec_lo, s5
	s_mov_b32 s5, -1
	s_cbranch_vccz .LBB55_3
; %bb.1:
	s_andn2_b32 vcc_lo, exec_lo, s5
	s_cbranch_vccz .LBB55_6
.LBB55_2:
	s_endpgm
.LBB55_3:
	v_cmp_gt_u32_e32 vcc_lo, s4, v0
	s_and_saveexec_b32 s4, vcc_lo
	s_cbranch_execz .LBB55_5
; %bb.4:
	v_lshlrev_b32_e32 v2, 4, v0
	s_lshl_b64 s[6:7], s[2:3], 4
	v_mov_b32_e32 v1, 0
	s_add_u32 s5, s0, s6
	s_addc_u32 s6, s1, s7
	v_add_co_u32 v3, s5, s5, v2
	v_add_co_ci_u32_e64 v4, null, s6, 0, s5
	v_mov_b32_e32 v2, v1
	flat_store_byte v[3:4], v1
	flat_store_dwordx2 v[3:4], v[1:2] offset:8
.LBB55_5:
	s_or_b32 exec_lo, exec_lo, s4
	s_cbranch_execnz .LBB55_2
.LBB55_6:
	v_lshlrev_b32_e32 v1, 4, v0
	s_lshl_b64 s[2:3], s[2:3], 4
	v_mov_b32_e32 v0, 0
	s_add_u32 s0, s0, s2
	s_addc_u32 s1, s1, s3
	v_add_co_u32 v2, s0, s0, v1
	v_add_co_ci_u32_e64 v3, null, s1, 0, s0
	v_mov_b32_e32 v1, v0
	flat_store_byte v[2:3], v0
	flat_store_dwordx2 v[2:3], v[0:1] offset:8
	s_endpgm
	.section	.rodata,"a",@progbits
	.p2align	6, 0x0
	.amdhsa_kernel _ZN6thrust23THRUST_200600_302600_NS11hip_rocprim14__parallel_for6kernelILj256ENS1_10for_each_fINS0_7pointerINS0_5tupleIblNS0_9null_typeES7_S7_S7_S7_S7_S7_S7_EENS1_3tagENS0_11use_defaultESA_EENS0_6detail16wrapped_functionINSC_23allocator_traits_detail24construct1_via_allocatorINSC_18no_throw_allocatorINSC_19temporary_allocatorIS8_S9_EEEEEEvEEEEmLj1EEEvT0_T1_SO_
		.amdhsa_group_segment_fixed_size 0
		.amdhsa_private_segment_fixed_size 0
		.amdhsa_kernarg_size 32
		.amdhsa_user_sgpr_count 6
		.amdhsa_user_sgpr_private_segment_buffer 1
		.amdhsa_user_sgpr_dispatch_ptr 0
		.amdhsa_user_sgpr_queue_ptr 0
		.amdhsa_user_sgpr_kernarg_segment_ptr 1
		.amdhsa_user_sgpr_dispatch_id 0
		.amdhsa_user_sgpr_flat_scratch_init 0
		.amdhsa_user_sgpr_private_segment_size 0
		.amdhsa_wavefront_size32 1
		.amdhsa_uses_dynamic_stack 0
		.amdhsa_system_sgpr_private_segment_wavefront_offset 0
		.amdhsa_system_sgpr_workgroup_id_x 1
		.amdhsa_system_sgpr_workgroup_id_y 0
		.amdhsa_system_sgpr_workgroup_id_z 0
		.amdhsa_system_sgpr_workgroup_info 0
		.amdhsa_system_vgpr_workitem_id 0
		.amdhsa_next_free_vgpr 5
		.amdhsa_next_free_sgpr 12
		.amdhsa_reserve_vcc 1
		.amdhsa_reserve_flat_scratch 0
		.amdhsa_float_round_mode_32 0
		.amdhsa_float_round_mode_16_64 0
		.amdhsa_float_denorm_mode_32 3
		.amdhsa_float_denorm_mode_16_64 3
		.amdhsa_dx10_clamp 1
		.amdhsa_ieee_mode 1
		.amdhsa_fp16_overflow 0
		.amdhsa_workgroup_processor_mode 1
		.amdhsa_memory_ordered 1
		.amdhsa_forward_progress 1
		.amdhsa_shared_vgpr_count 0
		.amdhsa_exception_fp_ieee_invalid_op 0
		.amdhsa_exception_fp_denorm_src 0
		.amdhsa_exception_fp_ieee_div_zero 0
		.amdhsa_exception_fp_ieee_overflow 0
		.amdhsa_exception_fp_ieee_underflow 0
		.amdhsa_exception_fp_ieee_inexact 0
		.amdhsa_exception_int_div_zero 0
	.end_amdhsa_kernel
	.section	.text._ZN6thrust23THRUST_200600_302600_NS11hip_rocprim14__parallel_for6kernelILj256ENS1_10for_each_fINS0_7pointerINS0_5tupleIblNS0_9null_typeES7_S7_S7_S7_S7_S7_S7_EENS1_3tagENS0_11use_defaultESA_EENS0_6detail16wrapped_functionINSC_23allocator_traits_detail24construct1_via_allocatorINSC_18no_throw_allocatorINSC_19temporary_allocatorIS8_S9_EEEEEEvEEEEmLj1EEEvT0_T1_SO_,"axG",@progbits,_ZN6thrust23THRUST_200600_302600_NS11hip_rocprim14__parallel_for6kernelILj256ENS1_10for_each_fINS0_7pointerINS0_5tupleIblNS0_9null_typeES7_S7_S7_S7_S7_S7_S7_EENS1_3tagENS0_11use_defaultESA_EENS0_6detail16wrapped_functionINSC_23allocator_traits_detail24construct1_via_allocatorINSC_18no_throw_allocatorINSC_19temporary_allocatorIS8_S9_EEEEEEvEEEEmLj1EEEvT0_T1_SO_,comdat
.Lfunc_end55:
	.size	_ZN6thrust23THRUST_200600_302600_NS11hip_rocprim14__parallel_for6kernelILj256ENS1_10for_each_fINS0_7pointerINS0_5tupleIblNS0_9null_typeES7_S7_S7_S7_S7_S7_S7_EENS1_3tagENS0_11use_defaultESA_EENS0_6detail16wrapped_functionINSC_23allocator_traits_detail24construct1_via_allocatorINSC_18no_throw_allocatorINSC_19temporary_allocatorIS8_S9_EEEEEEvEEEEmLj1EEEvT0_T1_SO_, .Lfunc_end55-_ZN6thrust23THRUST_200600_302600_NS11hip_rocprim14__parallel_for6kernelILj256ENS1_10for_each_fINS0_7pointerINS0_5tupleIblNS0_9null_typeES7_S7_S7_S7_S7_S7_S7_EENS1_3tagENS0_11use_defaultESA_EENS0_6detail16wrapped_functionINSC_23allocator_traits_detail24construct1_via_allocatorINSC_18no_throw_allocatorINSC_19temporary_allocatorIS8_S9_EEEEEEvEEEEmLj1EEEvT0_T1_SO_
                                        ; -- End function
	.set _ZN6thrust23THRUST_200600_302600_NS11hip_rocprim14__parallel_for6kernelILj256ENS1_10for_each_fINS0_7pointerINS0_5tupleIblNS0_9null_typeES7_S7_S7_S7_S7_S7_S7_EENS1_3tagENS0_11use_defaultESA_EENS0_6detail16wrapped_functionINSC_23allocator_traits_detail24construct1_via_allocatorINSC_18no_throw_allocatorINSC_19temporary_allocatorIS8_S9_EEEEEEvEEEEmLj1EEEvT0_T1_SO_.num_vgpr, 5
	.set _ZN6thrust23THRUST_200600_302600_NS11hip_rocprim14__parallel_for6kernelILj256ENS1_10for_each_fINS0_7pointerINS0_5tupleIblNS0_9null_typeES7_S7_S7_S7_S7_S7_S7_EENS1_3tagENS0_11use_defaultESA_EENS0_6detail16wrapped_functionINSC_23allocator_traits_detail24construct1_via_allocatorINSC_18no_throw_allocatorINSC_19temporary_allocatorIS8_S9_EEEEEEvEEEEmLj1EEEvT0_T1_SO_.num_agpr, 0
	.set _ZN6thrust23THRUST_200600_302600_NS11hip_rocprim14__parallel_for6kernelILj256ENS1_10for_each_fINS0_7pointerINS0_5tupleIblNS0_9null_typeES7_S7_S7_S7_S7_S7_S7_EENS1_3tagENS0_11use_defaultESA_EENS0_6detail16wrapped_functionINSC_23allocator_traits_detail24construct1_via_allocatorINSC_18no_throw_allocatorINSC_19temporary_allocatorIS8_S9_EEEEEEvEEEEmLj1EEEvT0_T1_SO_.numbered_sgpr, 12
	.set _ZN6thrust23THRUST_200600_302600_NS11hip_rocprim14__parallel_for6kernelILj256ENS1_10for_each_fINS0_7pointerINS0_5tupleIblNS0_9null_typeES7_S7_S7_S7_S7_S7_S7_EENS1_3tagENS0_11use_defaultESA_EENS0_6detail16wrapped_functionINSC_23allocator_traits_detail24construct1_via_allocatorINSC_18no_throw_allocatorINSC_19temporary_allocatorIS8_S9_EEEEEEvEEEEmLj1EEEvT0_T1_SO_.num_named_barrier, 0
	.set _ZN6thrust23THRUST_200600_302600_NS11hip_rocprim14__parallel_for6kernelILj256ENS1_10for_each_fINS0_7pointerINS0_5tupleIblNS0_9null_typeES7_S7_S7_S7_S7_S7_S7_EENS1_3tagENS0_11use_defaultESA_EENS0_6detail16wrapped_functionINSC_23allocator_traits_detail24construct1_via_allocatorINSC_18no_throw_allocatorINSC_19temporary_allocatorIS8_S9_EEEEEEvEEEEmLj1EEEvT0_T1_SO_.private_seg_size, 0
	.set _ZN6thrust23THRUST_200600_302600_NS11hip_rocprim14__parallel_for6kernelILj256ENS1_10for_each_fINS0_7pointerINS0_5tupleIblNS0_9null_typeES7_S7_S7_S7_S7_S7_S7_EENS1_3tagENS0_11use_defaultESA_EENS0_6detail16wrapped_functionINSC_23allocator_traits_detail24construct1_via_allocatorINSC_18no_throw_allocatorINSC_19temporary_allocatorIS8_S9_EEEEEEvEEEEmLj1EEEvT0_T1_SO_.uses_vcc, 1
	.set _ZN6thrust23THRUST_200600_302600_NS11hip_rocprim14__parallel_for6kernelILj256ENS1_10for_each_fINS0_7pointerINS0_5tupleIblNS0_9null_typeES7_S7_S7_S7_S7_S7_S7_EENS1_3tagENS0_11use_defaultESA_EENS0_6detail16wrapped_functionINSC_23allocator_traits_detail24construct1_via_allocatorINSC_18no_throw_allocatorINSC_19temporary_allocatorIS8_S9_EEEEEEvEEEEmLj1EEEvT0_T1_SO_.uses_flat_scratch, 0
	.set _ZN6thrust23THRUST_200600_302600_NS11hip_rocprim14__parallel_for6kernelILj256ENS1_10for_each_fINS0_7pointerINS0_5tupleIblNS0_9null_typeES7_S7_S7_S7_S7_S7_S7_EENS1_3tagENS0_11use_defaultESA_EENS0_6detail16wrapped_functionINSC_23allocator_traits_detail24construct1_via_allocatorINSC_18no_throw_allocatorINSC_19temporary_allocatorIS8_S9_EEEEEEvEEEEmLj1EEEvT0_T1_SO_.has_dyn_sized_stack, 0
	.set _ZN6thrust23THRUST_200600_302600_NS11hip_rocprim14__parallel_for6kernelILj256ENS1_10for_each_fINS0_7pointerINS0_5tupleIblNS0_9null_typeES7_S7_S7_S7_S7_S7_S7_EENS1_3tagENS0_11use_defaultESA_EENS0_6detail16wrapped_functionINSC_23allocator_traits_detail24construct1_via_allocatorINSC_18no_throw_allocatorINSC_19temporary_allocatorIS8_S9_EEEEEEvEEEEmLj1EEEvT0_T1_SO_.has_recursion, 0
	.set _ZN6thrust23THRUST_200600_302600_NS11hip_rocprim14__parallel_for6kernelILj256ENS1_10for_each_fINS0_7pointerINS0_5tupleIblNS0_9null_typeES7_S7_S7_S7_S7_S7_S7_EENS1_3tagENS0_11use_defaultESA_EENS0_6detail16wrapped_functionINSC_23allocator_traits_detail24construct1_via_allocatorINSC_18no_throw_allocatorINSC_19temporary_allocatorIS8_S9_EEEEEEvEEEEmLj1EEEvT0_T1_SO_.has_indirect_call, 0
	.section	.AMDGPU.csdata,"",@progbits
; Kernel info:
; codeLenInByte = 216
; TotalNumSgprs: 14
; NumVgprs: 5
; ScratchSize: 0
; MemoryBound: 0
; FloatMode: 240
; IeeeMode: 1
; LDSByteSize: 0 bytes/workgroup (compile time only)
; SGPRBlocks: 0
; VGPRBlocks: 0
; NumSGPRsForWavesPerEU: 14
; NumVGPRsForWavesPerEU: 5
; Occupancy: 16
; WaveLimiterHint : 0
; COMPUTE_PGM_RSRC2:SCRATCH_EN: 0
; COMPUTE_PGM_RSRC2:USER_SGPR: 6
; COMPUTE_PGM_RSRC2:TRAP_HANDLER: 0
; COMPUTE_PGM_RSRC2:TGID_X_EN: 1
; COMPUTE_PGM_RSRC2:TGID_Y_EN: 0
; COMPUTE_PGM_RSRC2:TGID_Z_EN: 0
; COMPUTE_PGM_RSRC2:TIDIG_COMP_CNT: 0
	.section	.text._ZN6thrust23THRUST_200600_302600_NS11hip_rocprim14__parallel_for6kernelILj256ENS1_10for_each_fINS0_7pointerINS0_5tupleIblNS0_9null_typeES7_S7_S7_S7_S7_S7_S7_EENS1_3tagENS0_11use_defaultESA_EENS0_6detail16wrapped_functionINSC_23allocator_traits_detail5gozerEvEEEElLj1EEEvT0_T1_SJ_,"axG",@progbits,_ZN6thrust23THRUST_200600_302600_NS11hip_rocprim14__parallel_for6kernelILj256ENS1_10for_each_fINS0_7pointerINS0_5tupleIblNS0_9null_typeES7_S7_S7_S7_S7_S7_S7_EENS1_3tagENS0_11use_defaultESA_EENS0_6detail16wrapped_functionINSC_23allocator_traits_detail5gozerEvEEEElLj1EEEvT0_T1_SJ_,comdat
	.protected	_ZN6thrust23THRUST_200600_302600_NS11hip_rocprim14__parallel_for6kernelILj256ENS1_10for_each_fINS0_7pointerINS0_5tupleIblNS0_9null_typeES7_S7_S7_S7_S7_S7_S7_EENS1_3tagENS0_11use_defaultESA_EENS0_6detail16wrapped_functionINSC_23allocator_traits_detail5gozerEvEEEElLj1EEEvT0_T1_SJ_ ; -- Begin function _ZN6thrust23THRUST_200600_302600_NS11hip_rocprim14__parallel_for6kernelILj256ENS1_10for_each_fINS0_7pointerINS0_5tupleIblNS0_9null_typeES7_S7_S7_S7_S7_S7_S7_EENS1_3tagENS0_11use_defaultESA_EENS0_6detail16wrapped_functionINSC_23allocator_traits_detail5gozerEvEEEElLj1EEEvT0_T1_SJ_
	.globl	_ZN6thrust23THRUST_200600_302600_NS11hip_rocprim14__parallel_for6kernelILj256ENS1_10for_each_fINS0_7pointerINS0_5tupleIblNS0_9null_typeES7_S7_S7_S7_S7_S7_S7_EENS1_3tagENS0_11use_defaultESA_EENS0_6detail16wrapped_functionINSC_23allocator_traits_detail5gozerEvEEEElLj1EEEvT0_T1_SJ_
	.p2align	8
	.type	_ZN6thrust23THRUST_200600_302600_NS11hip_rocprim14__parallel_for6kernelILj256ENS1_10for_each_fINS0_7pointerINS0_5tupleIblNS0_9null_typeES7_S7_S7_S7_S7_S7_S7_EENS1_3tagENS0_11use_defaultESA_EENS0_6detail16wrapped_functionINSC_23allocator_traits_detail5gozerEvEEEElLj1EEEvT0_T1_SJ_,@function
_ZN6thrust23THRUST_200600_302600_NS11hip_rocprim14__parallel_for6kernelILj256ENS1_10for_each_fINS0_7pointerINS0_5tupleIblNS0_9null_typeES7_S7_S7_S7_S7_S7_S7_EENS1_3tagENS0_11use_defaultESA_EENS0_6detail16wrapped_functionINSC_23allocator_traits_detail5gozerEvEEEElLj1EEEvT0_T1_SJ_: ; @_ZN6thrust23THRUST_200600_302600_NS11hip_rocprim14__parallel_for6kernelILj256ENS1_10for_each_fINS0_7pointerINS0_5tupleIblNS0_9null_typeES7_S7_S7_S7_S7_S7_S7_EENS1_3tagENS0_11use_defaultESA_EENS0_6detail16wrapped_functionINSC_23allocator_traits_detail5gozerEvEEEElLj1EEEvT0_T1_SJ_
; %bb.0:
	s_endpgm
	.section	.rodata,"a",@progbits
	.p2align	6, 0x0
	.amdhsa_kernel _ZN6thrust23THRUST_200600_302600_NS11hip_rocprim14__parallel_for6kernelILj256ENS1_10for_each_fINS0_7pointerINS0_5tupleIblNS0_9null_typeES7_S7_S7_S7_S7_S7_S7_EENS1_3tagENS0_11use_defaultESA_EENS0_6detail16wrapped_functionINSC_23allocator_traits_detail5gozerEvEEEElLj1EEEvT0_T1_SJ_
		.amdhsa_group_segment_fixed_size 0
		.amdhsa_private_segment_fixed_size 0
		.amdhsa_kernarg_size 32
		.amdhsa_user_sgpr_count 6
		.amdhsa_user_sgpr_private_segment_buffer 1
		.amdhsa_user_sgpr_dispatch_ptr 0
		.amdhsa_user_sgpr_queue_ptr 0
		.amdhsa_user_sgpr_kernarg_segment_ptr 1
		.amdhsa_user_sgpr_dispatch_id 0
		.amdhsa_user_sgpr_flat_scratch_init 0
		.amdhsa_user_sgpr_private_segment_size 0
		.amdhsa_wavefront_size32 1
		.amdhsa_uses_dynamic_stack 0
		.amdhsa_system_sgpr_private_segment_wavefront_offset 0
		.amdhsa_system_sgpr_workgroup_id_x 1
		.amdhsa_system_sgpr_workgroup_id_y 0
		.amdhsa_system_sgpr_workgroup_id_z 0
		.amdhsa_system_sgpr_workgroup_info 0
		.amdhsa_system_vgpr_workitem_id 0
		.amdhsa_next_free_vgpr 1
		.amdhsa_next_free_sgpr 1
		.amdhsa_reserve_vcc 0
		.amdhsa_reserve_flat_scratch 0
		.amdhsa_float_round_mode_32 0
		.amdhsa_float_round_mode_16_64 0
		.amdhsa_float_denorm_mode_32 3
		.amdhsa_float_denorm_mode_16_64 3
		.amdhsa_dx10_clamp 1
		.amdhsa_ieee_mode 1
		.amdhsa_fp16_overflow 0
		.amdhsa_workgroup_processor_mode 1
		.amdhsa_memory_ordered 1
		.amdhsa_forward_progress 1
		.amdhsa_shared_vgpr_count 0
		.amdhsa_exception_fp_ieee_invalid_op 0
		.amdhsa_exception_fp_denorm_src 0
		.amdhsa_exception_fp_ieee_div_zero 0
		.amdhsa_exception_fp_ieee_overflow 0
		.amdhsa_exception_fp_ieee_underflow 0
		.amdhsa_exception_fp_ieee_inexact 0
		.amdhsa_exception_int_div_zero 0
	.end_amdhsa_kernel
	.section	.text._ZN6thrust23THRUST_200600_302600_NS11hip_rocprim14__parallel_for6kernelILj256ENS1_10for_each_fINS0_7pointerINS0_5tupleIblNS0_9null_typeES7_S7_S7_S7_S7_S7_S7_EENS1_3tagENS0_11use_defaultESA_EENS0_6detail16wrapped_functionINSC_23allocator_traits_detail5gozerEvEEEElLj1EEEvT0_T1_SJ_,"axG",@progbits,_ZN6thrust23THRUST_200600_302600_NS11hip_rocprim14__parallel_for6kernelILj256ENS1_10for_each_fINS0_7pointerINS0_5tupleIblNS0_9null_typeES7_S7_S7_S7_S7_S7_S7_EENS1_3tagENS0_11use_defaultESA_EENS0_6detail16wrapped_functionINSC_23allocator_traits_detail5gozerEvEEEElLj1EEEvT0_T1_SJ_,comdat
.Lfunc_end56:
	.size	_ZN6thrust23THRUST_200600_302600_NS11hip_rocprim14__parallel_for6kernelILj256ENS1_10for_each_fINS0_7pointerINS0_5tupleIblNS0_9null_typeES7_S7_S7_S7_S7_S7_S7_EENS1_3tagENS0_11use_defaultESA_EENS0_6detail16wrapped_functionINSC_23allocator_traits_detail5gozerEvEEEElLj1EEEvT0_T1_SJ_, .Lfunc_end56-_ZN6thrust23THRUST_200600_302600_NS11hip_rocprim14__parallel_for6kernelILj256ENS1_10for_each_fINS0_7pointerINS0_5tupleIblNS0_9null_typeES7_S7_S7_S7_S7_S7_S7_EENS1_3tagENS0_11use_defaultESA_EENS0_6detail16wrapped_functionINSC_23allocator_traits_detail5gozerEvEEEElLj1EEEvT0_T1_SJ_
                                        ; -- End function
	.set _ZN6thrust23THRUST_200600_302600_NS11hip_rocprim14__parallel_for6kernelILj256ENS1_10for_each_fINS0_7pointerINS0_5tupleIblNS0_9null_typeES7_S7_S7_S7_S7_S7_S7_EENS1_3tagENS0_11use_defaultESA_EENS0_6detail16wrapped_functionINSC_23allocator_traits_detail5gozerEvEEEElLj1EEEvT0_T1_SJ_.num_vgpr, 0
	.set _ZN6thrust23THRUST_200600_302600_NS11hip_rocprim14__parallel_for6kernelILj256ENS1_10for_each_fINS0_7pointerINS0_5tupleIblNS0_9null_typeES7_S7_S7_S7_S7_S7_S7_EENS1_3tagENS0_11use_defaultESA_EENS0_6detail16wrapped_functionINSC_23allocator_traits_detail5gozerEvEEEElLj1EEEvT0_T1_SJ_.num_agpr, 0
	.set _ZN6thrust23THRUST_200600_302600_NS11hip_rocprim14__parallel_for6kernelILj256ENS1_10for_each_fINS0_7pointerINS0_5tupleIblNS0_9null_typeES7_S7_S7_S7_S7_S7_S7_EENS1_3tagENS0_11use_defaultESA_EENS0_6detail16wrapped_functionINSC_23allocator_traits_detail5gozerEvEEEElLj1EEEvT0_T1_SJ_.numbered_sgpr, 0
	.set _ZN6thrust23THRUST_200600_302600_NS11hip_rocprim14__parallel_for6kernelILj256ENS1_10for_each_fINS0_7pointerINS0_5tupleIblNS0_9null_typeES7_S7_S7_S7_S7_S7_S7_EENS1_3tagENS0_11use_defaultESA_EENS0_6detail16wrapped_functionINSC_23allocator_traits_detail5gozerEvEEEElLj1EEEvT0_T1_SJ_.num_named_barrier, 0
	.set _ZN6thrust23THRUST_200600_302600_NS11hip_rocprim14__parallel_for6kernelILj256ENS1_10for_each_fINS0_7pointerINS0_5tupleIblNS0_9null_typeES7_S7_S7_S7_S7_S7_S7_EENS1_3tagENS0_11use_defaultESA_EENS0_6detail16wrapped_functionINSC_23allocator_traits_detail5gozerEvEEEElLj1EEEvT0_T1_SJ_.private_seg_size, 0
	.set _ZN6thrust23THRUST_200600_302600_NS11hip_rocprim14__parallel_for6kernelILj256ENS1_10for_each_fINS0_7pointerINS0_5tupleIblNS0_9null_typeES7_S7_S7_S7_S7_S7_S7_EENS1_3tagENS0_11use_defaultESA_EENS0_6detail16wrapped_functionINSC_23allocator_traits_detail5gozerEvEEEElLj1EEEvT0_T1_SJ_.uses_vcc, 0
	.set _ZN6thrust23THRUST_200600_302600_NS11hip_rocprim14__parallel_for6kernelILj256ENS1_10for_each_fINS0_7pointerINS0_5tupleIblNS0_9null_typeES7_S7_S7_S7_S7_S7_S7_EENS1_3tagENS0_11use_defaultESA_EENS0_6detail16wrapped_functionINSC_23allocator_traits_detail5gozerEvEEEElLj1EEEvT0_T1_SJ_.uses_flat_scratch, 0
	.set _ZN6thrust23THRUST_200600_302600_NS11hip_rocprim14__parallel_for6kernelILj256ENS1_10for_each_fINS0_7pointerINS0_5tupleIblNS0_9null_typeES7_S7_S7_S7_S7_S7_S7_EENS1_3tagENS0_11use_defaultESA_EENS0_6detail16wrapped_functionINSC_23allocator_traits_detail5gozerEvEEEElLj1EEEvT0_T1_SJ_.has_dyn_sized_stack, 0
	.set _ZN6thrust23THRUST_200600_302600_NS11hip_rocprim14__parallel_for6kernelILj256ENS1_10for_each_fINS0_7pointerINS0_5tupleIblNS0_9null_typeES7_S7_S7_S7_S7_S7_S7_EENS1_3tagENS0_11use_defaultESA_EENS0_6detail16wrapped_functionINSC_23allocator_traits_detail5gozerEvEEEElLj1EEEvT0_T1_SJ_.has_recursion, 0
	.set _ZN6thrust23THRUST_200600_302600_NS11hip_rocprim14__parallel_for6kernelILj256ENS1_10for_each_fINS0_7pointerINS0_5tupleIblNS0_9null_typeES7_S7_S7_S7_S7_S7_S7_EENS1_3tagENS0_11use_defaultESA_EENS0_6detail16wrapped_functionINSC_23allocator_traits_detail5gozerEvEEEElLj1EEEvT0_T1_SJ_.has_indirect_call, 0
	.section	.AMDGPU.csdata,"",@progbits
; Kernel info:
; codeLenInByte = 4
; TotalNumSgprs: 0
; NumVgprs: 0
; ScratchSize: 0
; MemoryBound: 0
; FloatMode: 240
; IeeeMode: 1
; LDSByteSize: 0 bytes/workgroup (compile time only)
; SGPRBlocks: 0
; VGPRBlocks: 0
; NumSGPRsForWavesPerEU: 1
; NumVGPRsForWavesPerEU: 1
; Occupancy: 16
; WaveLimiterHint : 0
; COMPUTE_PGM_RSRC2:SCRATCH_EN: 0
; COMPUTE_PGM_RSRC2:USER_SGPR: 6
; COMPUTE_PGM_RSRC2:TRAP_HANDLER: 0
; COMPUTE_PGM_RSRC2:TGID_X_EN: 1
; COMPUTE_PGM_RSRC2:TGID_Y_EN: 0
; COMPUTE_PGM_RSRC2:TGID_Z_EN: 0
; COMPUTE_PGM_RSRC2:TIDIG_COMP_CNT: 0
	.section	.text._ZN6thrust23THRUST_200600_302600_NS11hip_rocprim14__parallel_for6kernelILj256ENS1_20__uninitialized_copy7functorIPNS0_5tupleIblNS0_9null_typeES7_S7_S7_S7_S7_S7_S7_EENS0_7pointerIS8_NS1_3tagENS0_11use_defaultESC_EEEEmLj1EEEvT0_T1_SG_,"axG",@progbits,_ZN6thrust23THRUST_200600_302600_NS11hip_rocprim14__parallel_for6kernelILj256ENS1_20__uninitialized_copy7functorIPNS0_5tupleIblNS0_9null_typeES7_S7_S7_S7_S7_S7_S7_EENS0_7pointerIS8_NS1_3tagENS0_11use_defaultESC_EEEEmLj1EEEvT0_T1_SG_,comdat
	.protected	_ZN6thrust23THRUST_200600_302600_NS11hip_rocprim14__parallel_for6kernelILj256ENS1_20__uninitialized_copy7functorIPNS0_5tupleIblNS0_9null_typeES7_S7_S7_S7_S7_S7_S7_EENS0_7pointerIS8_NS1_3tagENS0_11use_defaultESC_EEEEmLj1EEEvT0_T1_SG_ ; -- Begin function _ZN6thrust23THRUST_200600_302600_NS11hip_rocprim14__parallel_for6kernelILj256ENS1_20__uninitialized_copy7functorIPNS0_5tupleIblNS0_9null_typeES7_S7_S7_S7_S7_S7_S7_EENS0_7pointerIS8_NS1_3tagENS0_11use_defaultESC_EEEEmLj1EEEvT0_T1_SG_
	.globl	_ZN6thrust23THRUST_200600_302600_NS11hip_rocprim14__parallel_for6kernelILj256ENS1_20__uninitialized_copy7functorIPNS0_5tupleIblNS0_9null_typeES7_S7_S7_S7_S7_S7_S7_EENS0_7pointerIS8_NS1_3tagENS0_11use_defaultESC_EEEEmLj1EEEvT0_T1_SG_
	.p2align	8
	.type	_ZN6thrust23THRUST_200600_302600_NS11hip_rocprim14__parallel_for6kernelILj256ENS1_20__uninitialized_copy7functorIPNS0_5tupleIblNS0_9null_typeES7_S7_S7_S7_S7_S7_S7_EENS0_7pointerIS8_NS1_3tagENS0_11use_defaultESC_EEEEmLj1EEEvT0_T1_SG_,@function
_ZN6thrust23THRUST_200600_302600_NS11hip_rocprim14__parallel_for6kernelILj256ENS1_20__uninitialized_copy7functorIPNS0_5tupleIblNS0_9null_typeES7_S7_S7_S7_S7_S7_S7_EENS0_7pointerIS8_NS1_3tagENS0_11use_defaultESC_EEEEmLj1EEEvT0_T1_SG_: ; @_ZN6thrust23THRUST_200600_302600_NS11hip_rocprim14__parallel_for6kernelILj256ENS1_20__uninitialized_copy7functorIPNS0_5tupleIblNS0_9null_typeES7_S7_S7_S7_S7_S7_S7_EENS0_7pointerIS8_NS1_3tagENS0_11use_defaultESC_EEEEmLj1EEEvT0_T1_SG_
; %bb.0:
	s_load_dwordx8 s[8:15], s[4:5], 0x0
	s_lshl_b32 s0, s6, 8
	s_waitcnt lgkmcnt(0)
	s_add_u32 s2, s14, s0
	s_addc_u32 s3, s15, 0
	s_sub_u32 s0, s12, s2
	s_subb_u32 s1, s13, s3
	v_cmp_lt_u64_e64 s4, 0xff, s[0:1]
	s_mov_b32 s1, 0
	s_and_b32 vcc_lo, exec_lo, s4
	s_mov_b32 s4, -1
	s_cbranch_vccz .LBB57_4
; %bb.1:
	s_andn2_b32 vcc_lo, exec_lo, s4
	s_cbranch_vccz .LBB57_5
.LBB57_2:
	s_and_saveexec_b32 s0, s1
	s_cbranch_execnz .LBB57_6
.LBB57_3:
	s_endpgm
.LBB57_4:
	v_cmp_gt_u32_e32 vcc_lo, s0, v0
	s_and_b32 s1, vcc_lo, exec_lo
	s_cbranch_execnz .LBB57_2
.LBB57_5:
	s_or_b32 s1, s1, exec_lo
	s_and_saveexec_b32 s0, s1
	s_cbranch_execz .LBB57_3
.LBB57_6:
	v_add_co_u32 v0, s0, s2, v0
	v_add_co_ci_u32_e64 v1, null, s3, 0, s0
	v_lshlrev_b64 v[4:5], 4, v[0:1]
	v_add_co_u32 v0, vcc_lo, s8, v4
	v_add_co_ci_u32_e64 v1, null, s9, v5, vcc_lo
	v_add_co_u32 v4, vcc_lo, s10, v4
	v_add_co_ci_u32_e64 v5, null, s11, v5, vcc_lo
	global_load_dwordx4 v[0:3], v[0:1], off
	s_waitcnt vmcnt(0)
	flat_store_dwordx4 v[4:5], v[0:3]
	s_endpgm
	.section	.rodata,"a",@progbits
	.p2align	6, 0x0
	.amdhsa_kernel _ZN6thrust23THRUST_200600_302600_NS11hip_rocprim14__parallel_for6kernelILj256ENS1_20__uninitialized_copy7functorIPNS0_5tupleIblNS0_9null_typeES7_S7_S7_S7_S7_S7_S7_EENS0_7pointerIS8_NS1_3tagENS0_11use_defaultESC_EEEEmLj1EEEvT0_T1_SG_
		.amdhsa_group_segment_fixed_size 0
		.amdhsa_private_segment_fixed_size 0
		.amdhsa_kernarg_size 32
		.amdhsa_user_sgpr_count 6
		.amdhsa_user_sgpr_private_segment_buffer 1
		.amdhsa_user_sgpr_dispatch_ptr 0
		.amdhsa_user_sgpr_queue_ptr 0
		.amdhsa_user_sgpr_kernarg_segment_ptr 1
		.amdhsa_user_sgpr_dispatch_id 0
		.amdhsa_user_sgpr_flat_scratch_init 0
		.amdhsa_user_sgpr_private_segment_size 0
		.amdhsa_wavefront_size32 1
		.amdhsa_uses_dynamic_stack 0
		.amdhsa_system_sgpr_private_segment_wavefront_offset 0
		.amdhsa_system_sgpr_workgroup_id_x 1
		.amdhsa_system_sgpr_workgroup_id_y 0
		.amdhsa_system_sgpr_workgroup_id_z 0
		.amdhsa_system_sgpr_workgroup_info 0
		.amdhsa_system_vgpr_workitem_id 0
		.amdhsa_next_free_vgpr 6
		.amdhsa_next_free_sgpr 16
		.amdhsa_reserve_vcc 1
		.amdhsa_reserve_flat_scratch 0
		.amdhsa_float_round_mode_32 0
		.amdhsa_float_round_mode_16_64 0
		.amdhsa_float_denorm_mode_32 3
		.amdhsa_float_denorm_mode_16_64 3
		.amdhsa_dx10_clamp 1
		.amdhsa_ieee_mode 1
		.amdhsa_fp16_overflow 0
		.amdhsa_workgroup_processor_mode 1
		.amdhsa_memory_ordered 1
		.amdhsa_forward_progress 1
		.amdhsa_shared_vgpr_count 0
		.amdhsa_exception_fp_ieee_invalid_op 0
		.amdhsa_exception_fp_denorm_src 0
		.amdhsa_exception_fp_ieee_div_zero 0
		.amdhsa_exception_fp_ieee_overflow 0
		.amdhsa_exception_fp_ieee_underflow 0
		.amdhsa_exception_fp_ieee_inexact 0
		.amdhsa_exception_int_div_zero 0
	.end_amdhsa_kernel
	.section	.text._ZN6thrust23THRUST_200600_302600_NS11hip_rocprim14__parallel_for6kernelILj256ENS1_20__uninitialized_copy7functorIPNS0_5tupleIblNS0_9null_typeES7_S7_S7_S7_S7_S7_S7_EENS0_7pointerIS8_NS1_3tagENS0_11use_defaultESC_EEEEmLj1EEEvT0_T1_SG_,"axG",@progbits,_ZN6thrust23THRUST_200600_302600_NS11hip_rocprim14__parallel_for6kernelILj256ENS1_20__uninitialized_copy7functorIPNS0_5tupleIblNS0_9null_typeES7_S7_S7_S7_S7_S7_S7_EENS0_7pointerIS8_NS1_3tagENS0_11use_defaultESC_EEEEmLj1EEEvT0_T1_SG_,comdat
.Lfunc_end57:
	.size	_ZN6thrust23THRUST_200600_302600_NS11hip_rocprim14__parallel_for6kernelILj256ENS1_20__uninitialized_copy7functorIPNS0_5tupleIblNS0_9null_typeES7_S7_S7_S7_S7_S7_S7_EENS0_7pointerIS8_NS1_3tagENS0_11use_defaultESC_EEEEmLj1EEEvT0_T1_SG_, .Lfunc_end57-_ZN6thrust23THRUST_200600_302600_NS11hip_rocprim14__parallel_for6kernelILj256ENS1_20__uninitialized_copy7functorIPNS0_5tupleIblNS0_9null_typeES7_S7_S7_S7_S7_S7_S7_EENS0_7pointerIS8_NS1_3tagENS0_11use_defaultESC_EEEEmLj1EEEvT0_T1_SG_
                                        ; -- End function
	.set _ZN6thrust23THRUST_200600_302600_NS11hip_rocprim14__parallel_for6kernelILj256ENS1_20__uninitialized_copy7functorIPNS0_5tupleIblNS0_9null_typeES7_S7_S7_S7_S7_S7_S7_EENS0_7pointerIS8_NS1_3tagENS0_11use_defaultESC_EEEEmLj1EEEvT0_T1_SG_.num_vgpr, 6
	.set _ZN6thrust23THRUST_200600_302600_NS11hip_rocprim14__parallel_for6kernelILj256ENS1_20__uninitialized_copy7functorIPNS0_5tupleIblNS0_9null_typeES7_S7_S7_S7_S7_S7_S7_EENS0_7pointerIS8_NS1_3tagENS0_11use_defaultESC_EEEEmLj1EEEvT0_T1_SG_.num_agpr, 0
	.set _ZN6thrust23THRUST_200600_302600_NS11hip_rocprim14__parallel_for6kernelILj256ENS1_20__uninitialized_copy7functorIPNS0_5tupleIblNS0_9null_typeES7_S7_S7_S7_S7_S7_S7_EENS0_7pointerIS8_NS1_3tagENS0_11use_defaultESC_EEEEmLj1EEEvT0_T1_SG_.numbered_sgpr, 16
	.set _ZN6thrust23THRUST_200600_302600_NS11hip_rocprim14__parallel_for6kernelILj256ENS1_20__uninitialized_copy7functorIPNS0_5tupleIblNS0_9null_typeES7_S7_S7_S7_S7_S7_S7_EENS0_7pointerIS8_NS1_3tagENS0_11use_defaultESC_EEEEmLj1EEEvT0_T1_SG_.num_named_barrier, 0
	.set _ZN6thrust23THRUST_200600_302600_NS11hip_rocprim14__parallel_for6kernelILj256ENS1_20__uninitialized_copy7functorIPNS0_5tupleIblNS0_9null_typeES7_S7_S7_S7_S7_S7_S7_EENS0_7pointerIS8_NS1_3tagENS0_11use_defaultESC_EEEEmLj1EEEvT0_T1_SG_.private_seg_size, 0
	.set _ZN6thrust23THRUST_200600_302600_NS11hip_rocprim14__parallel_for6kernelILj256ENS1_20__uninitialized_copy7functorIPNS0_5tupleIblNS0_9null_typeES7_S7_S7_S7_S7_S7_S7_EENS0_7pointerIS8_NS1_3tagENS0_11use_defaultESC_EEEEmLj1EEEvT0_T1_SG_.uses_vcc, 1
	.set _ZN6thrust23THRUST_200600_302600_NS11hip_rocprim14__parallel_for6kernelILj256ENS1_20__uninitialized_copy7functorIPNS0_5tupleIblNS0_9null_typeES7_S7_S7_S7_S7_S7_S7_EENS0_7pointerIS8_NS1_3tagENS0_11use_defaultESC_EEEEmLj1EEEvT0_T1_SG_.uses_flat_scratch, 0
	.set _ZN6thrust23THRUST_200600_302600_NS11hip_rocprim14__parallel_for6kernelILj256ENS1_20__uninitialized_copy7functorIPNS0_5tupleIblNS0_9null_typeES7_S7_S7_S7_S7_S7_S7_EENS0_7pointerIS8_NS1_3tagENS0_11use_defaultESC_EEEEmLj1EEEvT0_T1_SG_.has_dyn_sized_stack, 0
	.set _ZN6thrust23THRUST_200600_302600_NS11hip_rocprim14__parallel_for6kernelILj256ENS1_20__uninitialized_copy7functorIPNS0_5tupleIblNS0_9null_typeES7_S7_S7_S7_S7_S7_S7_EENS0_7pointerIS8_NS1_3tagENS0_11use_defaultESC_EEEEmLj1EEEvT0_T1_SG_.has_recursion, 0
	.set _ZN6thrust23THRUST_200600_302600_NS11hip_rocprim14__parallel_for6kernelILj256ENS1_20__uninitialized_copy7functorIPNS0_5tupleIblNS0_9null_typeES7_S7_S7_S7_S7_S7_S7_EENS0_7pointerIS8_NS1_3tagENS0_11use_defaultESC_EEEEmLj1EEEvT0_T1_SG_.has_indirect_call, 0
	.section	.AMDGPU.csdata,"",@progbits
; Kernel info:
; codeLenInByte = 184
; TotalNumSgprs: 18
; NumVgprs: 6
; ScratchSize: 0
; MemoryBound: 0
; FloatMode: 240
; IeeeMode: 1
; LDSByteSize: 0 bytes/workgroup (compile time only)
; SGPRBlocks: 0
; VGPRBlocks: 0
; NumSGPRsForWavesPerEU: 18
; NumVGPRsForWavesPerEU: 6
; Occupancy: 16
; WaveLimiterHint : 0
; COMPUTE_PGM_RSRC2:SCRATCH_EN: 0
; COMPUTE_PGM_RSRC2:USER_SGPR: 6
; COMPUTE_PGM_RSRC2:TRAP_HANDLER: 0
; COMPUTE_PGM_RSRC2:TGID_X_EN: 1
; COMPUTE_PGM_RSRC2:TGID_Y_EN: 0
; COMPUTE_PGM_RSRC2:TGID_Z_EN: 0
; COMPUTE_PGM_RSRC2:TIDIG_COMP_CNT: 0
	.section	.text._ZN6thrust23THRUST_200600_302600_NS11hip_rocprim14__parallel_for6kernelILj256ENS1_20__uninitialized_fill7functorINS0_10device_ptrIfEEfEEmLj1EEEvT0_T1_SA_,"axG",@progbits,_ZN6thrust23THRUST_200600_302600_NS11hip_rocprim14__parallel_for6kernelILj256ENS1_20__uninitialized_fill7functorINS0_10device_ptrIfEEfEEmLj1EEEvT0_T1_SA_,comdat
	.protected	_ZN6thrust23THRUST_200600_302600_NS11hip_rocprim14__parallel_for6kernelILj256ENS1_20__uninitialized_fill7functorINS0_10device_ptrIfEEfEEmLj1EEEvT0_T1_SA_ ; -- Begin function _ZN6thrust23THRUST_200600_302600_NS11hip_rocprim14__parallel_for6kernelILj256ENS1_20__uninitialized_fill7functorINS0_10device_ptrIfEEfEEmLj1EEEvT0_T1_SA_
	.globl	_ZN6thrust23THRUST_200600_302600_NS11hip_rocprim14__parallel_for6kernelILj256ENS1_20__uninitialized_fill7functorINS0_10device_ptrIfEEfEEmLj1EEEvT0_T1_SA_
	.p2align	8
	.type	_ZN6thrust23THRUST_200600_302600_NS11hip_rocprim14__parallel_for6kernelILj256ENS1_20__uninitialized_fill7functorINS0_10device_ptrIfEEfEEmLj1EEEvT0_T1_SA_,@function
_ZN6thrust23THRUST_200600_302600_NS11hip_rocprim14__parallel_for6kernelILj256ENS1_20__uninitialized_fill7functorINS0_10device_ptrIfEEfEEmLj1EEEvT0_T1_SA_: ; @_ZN6thrust23THRUST_200600_302600_NS11hip_rocprim14__parallel_for6kernelILj256ENS1_20__uninitialized_fill7functorINS0_10device_ptrIfEEfEEmLj1EEEvT0_T1_SA_
; %bb.0:
	s_clause 0x2
	s_load_dwordx4 s[8:11], s[4:5], 0x10
	s_load_dwordx2 s[0:1], s[4:5], 0x0
	s_load_dword s7, s[4:5], 0x8
	s_lshl_b32 s2, s6, 8
	s_waitcnt lgkmcnt(0)
	s_add_u32 s2, s10, s2
	s_addc_u32 s3, s11, 0
	s_sub_u32 s4, s8, s2
	s_subb_u32 s5, s9, s3
	v_cmp_lt_u64_e64 s5, 0xff, s[4:5]
	s_and_b32 vcc_lo, exec_lo, s5
	s_mov_b32 s5, -1
	s_cbranch_vccz .LBB58_3
; %bb.1:
	s_andn2_b32 vcc_lo, exec_lo, s5
	s_cbranch_vccz .LBB58_6
.LBB58_2:
	s_endpgm
.LBB58_3:
	v_cmp_gt_u32_e32 vcc_lo, s4, v0
	s_and_saveexec_b32 s4, vcc_lo
	s_cbranch_execz .LBB58_5
; %bb.4:
	v_lshlrev_b32_e32 v1, 2, v0
	s_lshl_b64 s[8:9], s[2:3], 2
	v_mov_b32_e32 v3, s7
	s_add_u32 s5, s0, s8
	s_addc_u32 s6, s1, s9
	v_add_co_u32 v1, s5, s5, v1
	v_add_co_ci_u32_e64 v2, null, s6, 0, s5
	flat_store_dword v[1:2], v3
.LBB58_5:
	s_or_b32 exec_lo, exec_lo, s4
	s_cbranch_execnz .LBB58_2
.LBB58_6:
	v_lshlrev_b32_e32 v0, 2, v0
	s_lshl_b64 s[2:3], s[2:3], 2
	v_mov_b32_e32 v2, s7
	s_add_u32 s0, s0, s2
	s_addc_u32 s1, s1, s3
	v_add_co_u32 v0, s0, s0, v0
	v_add_co_ci_u32_e64 v1, null, s1, 0, s0
	flat_store_dword v[0:1], v2
	s_endpgm
	.section	.rodata,"a",@progbits
	.p2align	6, 0x0
	.amdhsa_kernel _ZN6thrust23THRUST_200600_302600_NS11hip_rocprim14__parallel_for6kernelILj256ENS1_20__uninitialized_fill7functorINS0_10device_ptrIfEEfEEmLj1EEEvT0_T1_SA_
		.amdhsa_group_segment_fixed_size 0
		.amdhsa_private_segment_fixed_size 0
		.amdhsa_kernarg_size 32
		.amdhsa_user_sgpr_count 6
		.amdhsa_user_sgpr_private_segment_buffer 1
		.amdhsa_user_sgpr_dispatch_ptr 0
		.amdhsa_user_sgpr_queue_ptr 0
		.amdhsa_user_sgpr_kernarg_segment_ptr 1
		.amdhsa_user_sgpr_dispatch_id 0
		.amdhsa_user_sgpr_flat_scratch_init 0
		.amdhsa_user_sgpr_private_segment_size 0
		.amdhsa_wavefront_size32 1
		.amdhsa_uses_dynamic_stack 0
		.amdhsa_system_sgpr_private_segment_wavefront_offset 0
		.amdhsa_system_sgpr_workgroup_id_x 1
		.amdhsa_system_sgpr_workgroup_id_y 0
		.amdhsa_system_sgpr_workgroup_id_z 0
		.amdhsa_system_sgpr_workgroup_info 0
		.amdhsa_system_vgpr_workitem_id 0
		.amdhsa_next_free_vgpr 4
		.amdhsa_next_free_sgpr 12
		.amdhsa_reserve_vcc 1
		.amdhsa_reserve_flat_scratch 0
		.amdhsa_float_round_mode_32 0
		.amdhsa_float_round_mode_16_64 0
		.amdhsa_float_denorm_mode_32 3
		.amdhsa_float_denorm_mode_16_64 3
		.amdhsa_dx10_clamp 1
		.amdhsa_ieee_mode 1
		.amdhsa_fp16_overflow 0
		.amdhsa_workgroup_processor_mode 1
		.amdhsa_memory_ordered 1
		.amdhsa_forward_progress 1
		.amdhsa_shared_vgpr_count 0
		.amdhsa_exception_fp_ieee_invalid_op 0
		.amdhsa_exception_fp_denorm_src 0
		.amdhsa_exception_fp_ieee_div_zero 0
		.amdhsa_exception_fp_ieee_overflow 0
		.amdhsa_exception_fp_ieee_underflow 0
		.amdhsa_exception_fp_ieee_inexact 0
		.amdhsa_exception_int_div_zero 0
	.end_amdhsa_kernel
	.section	.text._ZN6thrust23THRUST_200600_302600_NS11hip_rocprim14__parallel_for6kernelILj256ENS1_20__uninitialized_fill7functorINS0_10device_ptrIfEEfEEmLj1EEEvT0_T1_SA_,"axG",@progbits,_ZN6thrust23THRUST_200600_302600_NS11hip_rocprim14__parallel_for6kernelILj256ENS1_20__uninitialized_fill7functorINS0_10device_ptrIfEEfEEmLj1EEEvT0_T1_SA_,comdat
.Lfunc_end58:
	.size	_ZN6thrust23THRUST_200600_302600_NS11hip_rocprim14__parallel_for6kernelILj256ENS1_20__uninitialized_fill7functorINS0_10device_ptrIfEEfEEmLj1EEEvT0_T1_SA_, .Lfunc_end58-_ZN6thrust23THRUST_200600_302600_NS11hip_rocprim14__parallel_for6kernelILj256ENS1_20__uninitialized_fill7functorINS0_10device_ptrIfEEfEEmLj1EEEvT0_T1_SA_
                                        ; -- End function
	.set _ZN6thrust23THRUST_200600_302600_NS11hip_rocprim14__parallel_for6kernelILj256ENS1_20__uninitialized_fill7functorINS0_10device_ptrIfEEfEEmLj1EEEvT0_T1_SA_.num_vgpr, 4
	.set _ZN6thrust23THRUST_200600_302600_NS11hip_rocprim14__parallel_for6kernelILj256ENS1_20__uninitialized_fill7functorINS0_10device_ptrIfEEfEEmLj1EEEvT0_T1_SA_.num_agpr, 0
	.set _ZN6thrust23THRUST_200600_302600_NS11hip_rocprim14__parallel_for6kernelILj256ENS1_20__uninitialized_fill7functorINS0_10device_ptrIfEEfEEmLj1EEEvT0_T1_SA_.numbered_sgpr, 12
	.set _ZN6thrust23THRUST_200600_302600_NS11hip_rocprim14__parallel_for6kernelILj256ENS1_20__uninitialized_fill7functorINS0_10device_ptrIfEEfEEmLj1EEEvT0_T1_SA_.num_named_barrier, 0
	.set _ZN6thrust23THRUST_200600_302600_NS11hip_rocprim14__parallel_for6kernelILj256ENS1_20__uninitialized_fill7functorINS0_10device_ptrIfEEfEEmLj1EEEvT0_T1_SA_.private_seg_size, 0
	.set _ZN6thrust23THRUST_200600_302600_NS11hip_rocprim14__parallel_for6kernelILj256ENS1_20__uninitialized_fill7functorINS0_10device_ptrIfEEfEEmLj1EEEvT0_T1_SA_.uses_vcc, 1
	.set _ZN6thrust23THRUST_200600_302600_NS11hip_rocprim14__parallel_for6kernelILj256ENS1_20__uninitialized_fill7functorINS0_10device_ptrIfEEfEEmLj1EEEvT0_T1_SA_.uses_flat_scratch, 0
	.set _ZN6thrust23THRUST_200600_302600_NS11hip_rocprim14__parallel_for6kernelILj256ENS1_20__uninitialized_fill7functorINS0_10device_ptrIfEEfEEmLj1EEEvT0_T1_SA_.has_dyn_sized_stack, 0
	.set _ZN6thrust23THRUST_200600_302600_NS11hip_rocprim14__parallel_for6kernelILj256ENS1_20__uninitialized_fill7functorINS0_10device_ptrIfEEfEEmLj1EEEvT0_T1_SA_.has_recursion, 0
	.set _ZN6thrust23THRUST_200600_302600_NS11hip_rocprim14__parallel_for6kernelILj256ENS1_20__uninitialized_fill7functorINS0_10device_ptrIfEEfEEmLj1EEEvT0_T1_SA_.has_indirect_call, 0
	.section	.AMDGPU.csdata,"",@progbits
; Kernel info:
; codeLenInByte = 200
; TotalNumSgprs: 14
; NumVgprs: 4
; ScratchSize: 0
; MemoryBound: 0
; FloatMode: 240
; IeeeMode: 1
; LDSByteSize: 0 bytes/workgroup (compile time only)
; SGPRBlocks: 0
; VGPRBlocks: 0
; NumSGPRsForWavesPerEU: 14
; NumVGPRsForWavesPerEU: 4
; Occupancy: 16
; WaveLimiterHint : 0
; COMPUTE_PGM_RSRC2:SCRATCH_EN: 0
; COMPUTE_PGM_RSRC2:USER_SGPR: 6
; COMPUTE_PGM_RSRC2:TRAP_HANDLER: 0
; COMPUTE_PGM_RSRC2:TGID_X_EN: 1
; COMPUTE_PGM_RSRC2:TGID_Y_EN: 0
; COMPUTE_PGM_RSRC2:TGID_Z_EN: 0
; COMPUTE_PGM_RSRC2:TIDIG_COMP_CNT: 0
	.section	.text._ZN7rocprim17ROCPRIM_400000_NS6detail17trampoline_kernelINS0_14default_configENS1_21merge_config_selectorINS0_5tupleIJffEEENS0_10empty_typeEEEZNS1_10merge_implIS3_NS0_12zip_iteratorINS5_IJN6thrust23THRUST_200600_302600_NS6detail15normal_iteratorINSC_10device_ptrIKfEEEESI_EEEEESK_NSA_INS5_IJNSE_INSF_IfEEEESM_EEEEEPS7_SP_SP_NSC_11hip_rocprim7__merge17predicate_wrapperIffNSC_4lessIfEEEEEE10hipError_tPvRmT0_T1_T2_T3_T4_T5_mmT6_P12ihipStream_tbEUlT_E_NS1_11comp_targetILNS1_3genE0ELNS1_11target_archE4294967295ELNS1_3gpuE0ELNS1_3repE0EEENS1_30default_config_static_selectorELNS0_4arch9wavefront6targetE0EEEvS10_,"axG",@progbits,_ZN7rocprim17ROCPRIM_400000_NS6detail17trampoline_kernelINS0_14default_configENS1_21merge_config_selectorINS0_5tupleIJffEEENS0_10empty_typeEEEZNS1_10merge_implIS3_NS0_12zip_iteratorINS5_IJN6thrust23THRUST_200600_302600_NS6detail15normal_iteratorINSC_10device_ptrIKfEEEESI_EEEEESK_NSA_INS5_IJNSE_INSF_IfEEEESM_EEEEEPS7_SP_SP_NSC_11hip_rocprim7__merge17predicate_wrapperIffNSC_4lessIfEEEEEE10hipError_tPvRmT0_T1_T2_T3_T4_T5_mmT6_P12ihipStream_tbEUlT_E_NS1_11comp_targetILNS1_3genE0ELNS1_11target_archE4294967295ELNS1_3gpuE0ELNS1_3repE0EEENS1_30default_config_static_selectorELNS0_4arch9wavefront6targetE0EEEvS10_,comdat
	.protected	_ZN7rocprim17ROCPRIM_400000_NS6detail17trampoline_kernelINS0_14default_configENS1_21merge_config_selectorINS0_5tupleIJffEEENS0_10empty_typeEEEZNS1_10merge_implIS3_NS0_12zip_iteratorINS5_IJN6thrust23THRUST_200600_302600_NS6detail15normal_iteratorINSC_10device_ptrIKfEEEESI_EEEEESK_NSA_INS5_IJNSE_INSF_IfEEEESM_EEEEEPS7_SP_SP_NSC_11hip_rocprim7__merge17predicate_wrapperIffNSC_4lessIfEEEEEE10hipError_tPvRmT0_T1_T2_T3_T4_T5_mmT6_P12ihipStream_tbEUlT_E_NS1_11comp_targetILNS1_3genE0ELNS1_11target_archE4294967295ELNS1_3gpuE0ELNS1_3repE0EEENS1_30default_config_static_selectorELNS0_4arch9wavefront6targetE0EEEvS10_ ; -- Begin function _ZN7rocprim17ROCPRIM_400000_NS6detail17trampoline_kernelINS0_14default_configENS1_21merge_config_selectorINS0_5tupleIJffEEENS0_10empty_typeEEEZNS1_10merge_implIS3_NS0_12zip_iteratorINS5_IJN6thrust23THRUST_200600_302600_NS6detail15normal_iteratorINSC_10device_ptrIKfEEEESI_EEEEESK_NSA_INS5_IJNSE_INSF_IfEEEESM_EEEEEPS7_SP_SP_NSC_11hip_rocprim7__merge17predicate_wrapperIffNSC_4lessIfEEEEEE10hipError_tPvRmT0_T1_T2_T3_T4_T5_mmT6_P12ihipStream_tbEUlT_E_NS1_11comp_targetILNS1_3genE0ELNS1_11target_archE4294967295ELNS1_3gpuE0ELNS1_3repE0EEENS1_30default_config_static_selectorELNS0_4arch9wavefront6targetE0EEEvS10_
	.globl	_ZN7rocprim17ROCPRIM_400000_NS6detail17trampoline_kernelINS0_14default_configENS1_21merge_config_selectorINS0_5tupleIJffEEENS0_10empty_typeEEEZNS1_10merge_implIS3_NS0_12zip_iteratorINS5_IJN6thrust23THRUST_200600_302600_NS6detail15normal_iteratorINSC_10device_ptrIKfEEEESI_EEEEESK_NSA_INS5_IJNSE_INSF_IfEEEESM_EEEEEPS7_SP_SP_NSC_11hip_rocprim7__merge17predicate_wrapperIffNSC_4lessIfEEEEEE10hipError_tPvRmT0_T1_T2_T3_T4_T5_mmT6_P12ihipStream_tbEUlT_E_NS1_11comp_targetILNS1_3genE0ELNS1_11target_archE4294967295ELNS1_3gpuE0ELNS1_3repE0EEENS1_30default_config_static_selectorELNS0_4arch9wavefront6targetE0EEEvS10_
	.p2align	8
	.type	_ZN7rocprim17ROCPRIM_400000_NS6detail17trampoline_kernelINS0_14default_configENS1_21merge_config_selectorINS0_5tupleIJffEEENS0_10empty_typeEEEZNS1_10merge_implIS3_NS0_12zip_iteratorINS5_IJN6thrust23THRUST_200600_302600_NS6detail15normal_iteratorINSC_10device_ptrIKfEEEESI_EEEEESK_NSA_INS5_IJNSE_INSF_IfEEEESM_EEEEEPS7_SP_SP_NSC_11hip_rocprim7__merge17predicate_wrapperIffNSC_4lessIfEEEEEE10hipError_tPvRmT0_T1_T2_T3_T4_T5_mmT6_P12ihipStream_tbEUlT_E_NS1_11comp_targetILNS1_3genE0ELNS1_11target_archE4294967295ELNS1_3gpuE0ELNS1_3repE0EEENS1_30default_config_static_selectorELNS0_4arch9wavefront6targetE0EEEvS10_,@function
_ZN7rocprim17ROCPRIM_400000_NS6detail17trampoline_kernelINS0_14default_configENS1_21merge_config_selectorINS0_5tupleIJffEEENS0_10empty_typeEEEZNS1_10merge_implIS3_NS0_12zip_iteratorINS5_IJN6thrust23THRUST_200600_302600_NS6detail15normal_iteratorINSC_10device_ptrIKfEEEESI_EEEEESK_NSA_INS5_IJNSE_INSF_IfEEEESM_EEEEEPS7_SP_SP_NSC_11hip_rocprim7__merge17predicate_wrapperIffNSC_4lessIfEEEEEE10hipError_tPvRmT0_T1_T2_T3_T4_T5_mmT6_P12ihipStream_tbEUlT_E_NS1_11comp_targetILNS1_3genE0ELNS1_11target_archE4294967295ELNS1_3gpuE0ELNS1_3repE0EEENS1_30default_config_static_selectorELNS0_4arch9wavefront6targetE0EEEvS10_: ; @_ZN7rocprim17ROCPRIM_400000_NS6detail17trampoline_kernelINS0_14default_configENS1_21merge_config_selectorINS0_5tupleIJffEEENS0_10empty_typeEEEZNS1_10merge_implIS3_NS0_12zip_iteratorINS5_IJN6thrust23THRUST_200600_302600_NS6detail15normal_iteratorINSC_10device_ptrIKfEEEESI_EEEEESK_NSA_INS5_IJNSE_INSF_IfEEEESM_EEEEEPS7_SP_SP_NSC_11hip_rocprim7__merge17predicate_wrapperIffNSC_4lessIfEEEEEE10hipError_tPvRmT0_T1_T2_T3_T4_T5_mmT6_P12ihipStream_tbEUlT_E_NS1_11comp_targetILNS1_3genE0ELNS1_11target_archE4294967295ELNS1_3gpuE0ELNS1_3repE0EEENS1_30default_config_static_selectorELNS0_4arch9wavefront6targetE0EEEvS10_
; %bb.0:
	.section	.rodata,"a",@progbits
	.p2align	6, 0x0
	.amdhsa_kernel _ZN7rocprim17ROCPRIM_400000_NS6detail17trampoline_kernelINS0_14default_configENS1_21merge_config_selectorINS0_5tupleIJffEEENS0_10empty_typeEEEZNS1_10merge_implIS3_NS0_12zip_iteratorINS5_IJN6thrust23THRUST_200600_302600_NS6detail15normal_iteratorINSC_10device_ptrIKfEEEESI_EEEEESK_NSA_INS5_IJNSE_INSF_IfEEEESM_EEEEEPS7_SP_SP_NSC_11hip_rocprim7__merge17predicate_wrapperIffNSC_4lessIfEEEEEE10hipError_tPvRmT0_T1_T2_T3_T4_T5_mmT6_P12ihipStream_tbEUlT_E_NS1_11comp_targetILNS1_3genE0ELNS1_11target_archE4294967295ELNS1_3gpuE0ELNS1_3repE0EEENS1_30default_config_static_selectorELNS0_4arch9wavefront6targetE0EEEvS10_
		.amdhsa_group_segment_fixed_size 0
		.amdhsa_private_segment_fixed_size 0
		.amdhsa_kernarg_size 64
		.amdhsa_user_sgpr_count 6
		.amdhsa_user_sgpr_private_segment_buffer 1
		.amdhsa_user_sgpr_dispatch_ptr 0
		.amdhsa_user_sgpr_queue_ptr 0
		.amdhsa_user_sgpr_kernarg_segment_ptr 1
		.amdhsa_user_sgpr_dispatch_id 0
		.amdhsa_user_sgpr_flat_scratch_init 0
		.amdhsa_user_sgpr_private_segment_size 0
		.amdhsa_wavefront_size32 1
		.amdhsa_uses_dynamic_stack 0
		.amdhsa_system_sgpr_private_segment_wavefront_offset 0
		.amdhsa_system_sgpr_workgroup_id_x 1
		.amdhsa_system_sgpr_workgroup_id_y 0
		.amdhsa_system_sgpr_workgroup_id_z 0
		.amdhsa_system_sgpr_workgroup_info 0
		.amdhsa_system_vgpr_workitem_id 0
		.amdhsa_next_free_vgpr 1
		.amdhsa_next_free_sgpr 1
		.amdhsa_reserve_vcc 0
		.amdhsa_reserve_flat_scratch 0
		.amdhsa_float_round_mode_32 0
		.amdhsa_float_round_mode_16_64 0
		.amdhsa_float_denorm_mode_32 3
		.amdhsa_float_denorm_mode_16_64 3
		.amdhsa_dx10_clamp 1
		.amdhsa_ieee_mode 1
		.amdhsa_fp16_overflow 0
		.amdhsa_workgroup_processor_mode 1
		.amdhsa_memory_ordered 1
		.amdhsa_forward_progress 1
		.amdhsa_shared_vgpr_count 0
		.amdhsa_exception_fp_ieee_invalid_op 0
		.amdhsa_exception_fp_denorm_src 0
		.amdhsa_exception_fp_ieee_div_zero 0
		.amdhsa_exception_fp_ieee_overflow 0
		.amdhsa_exception_fp_ieee_underflow 0
		.amdhsa_exception_fp_ieee_inexact 0
		.amdhsa_exception_int_div_zero 0
	.end_amdhsa_kernel
	.section	.text._ZN7rocprim17ROCPRIM_400000_NS6detail17trampoline_kernelINS0_14default_configENS1_21merge_config_selectorINS0_5tupleIJffEEENS0_10empty_typeEEEZNS1_10merge_implIS3_NS0_12zip_iteratorINS5_IJN6thrust23THRUST_200600_302600_NS6detail15normal_iteratorINSC_10device_ptrIKfEEEESI_EEEEESK_NSA_INS5_IJNSE_INSF_IfEEEESM_EEEEEPS7_SP_SP_NSC_11hip_rocprim7__merge17predicate_wrapperIffNSC_4lessIfEEEEEE10hipError_tPvRmT0_T1_T2_T3_T4_T5_mmT6_P12ihipStream_tbEUlT_E_NS1_11comp_targetILNS1_3genE0ELNS1_11target_archE4294967295ELNS1_3gpuE0ELNS1_3repE0EEENS1_30default_config_static_selectorELNS0_4arch9wavefront6targetE0EEEvS10_,"axG",@progbits,_ZN7rocprim17ROCPRIM_400000_NS6detail17trampoline_kernelINS0_14default_configENS1_21merge_config_selectorINS0_5tupleIJffEEENS0_10empty_typeEEEZNS1_10merge_implIS3_NS0_12zip_iteratorINS5_IJN6thrust23THRUST_200600_302600_NS6detail15normal_iteratorINSC_10device_ptrIKfEEEESI_EEEEESK_NSA_INS5_IJNSE_INSF_IfEEEESM_EEEEEPS7_SP_SP_NSC_11hip_rocprim7__merge17predicate_wrapperIffNSC_4lessIfEEEEEE10hipError_tPvRmT0_T1_T2_T3_T4_T5_mmT6_P12ihipStream_tbEUlT_E_NS1_11comp_targetILNS1_3genE0ELNS1_11target_archE4294967295ELNS1_3gpuE0ELNS1_3repE0EEENS1_30default_config_static_selectorELNS0_4arch9wavefront6targetE0EEEvS10_,comdat
.Lfunc_end59:
	.size	_ZN7rocprim17ROCPRIM_400000_NS6detail17trampoline_kernelINS0_14default_configENS1_21merge_config_selectorINS0_5tupleIJffEEENS0_10empty_typeEEEZNS1_10merge_implIS3_NS0_12zip_iteratorINS5_IJN6thrust23THRUST_200600_302600_NS6detail15normal_iteratorINSC_10device_ptrIKfEEEESI_EEEEESK_NSA_INS5_IJNSE_INSF_IfEEEESM_EEEEEPS7_SP_SP_NSC_11hip_rocprim7__merge17predicate_wrapperIffNSC_4lessIfEEEEEE10hipError_tPvRmT0_T1_T2_T3_T4_T5_mmT6_P12ihipStream_tbEUlT_E_NS1_11comp_targetILNS1_3genE0ELNS1_11target_archE4294967295ELNS1_3gpuE0ELNS1_3repE0EEENS1_30default_config_static_selectorELNS0_4arch9wavefront6targetE0EEEvS10_, .Lfunc_end59-_ZN7rocprim17ROCPRIM_400000_NS6detail17trampoline_kernelINS0_14default_configENS1_21merge_config_selectorINS0_5tupleIJffEEENS0_10empty_typeEEEZNS1_10merge_implIS3_NS0_12zip_iteratorINS5_IJN6thrust23THRUST_200600_302600_NS6detail15normal_iteratorINSC_10device_ptrIKfEEEESI_EEEEESK_NSA_INS5_IJNSE_INSF_IfEEEESM_EEEEEPS7_SP_SP_NSC_11hip_rocprim7__merge17predicate_wrapperIffNSC_4lessIfEEEEEE10hipError_tPvRmT0_T1_T2_T3_T4_T5_mmT6_P12ihipStream_tbEUlT_E_NS1_11comp_targetILNS1_3genE0ELNS1_11target_archE4294967295ELNS1_3gpuE0ELNS1_3repE0EEENS1_30default_config_static_selectorELNS0_4arch9wavefront6targetE0EEEvS10_
                                        ; -- End function
	.set _ZN7rocprim17ROCPRIM_400000_NS6detail17trampoline_kernelINS0_14default_configENS1_21merge_config_selectorINS0_5tupleIJffEEENS0_10empty_typeEEEZNS1_10merge_implIS3_NS0_12zip_iteratorINS5_IJN6thrust23THRUST_200600_302600_NS6detail15normal_iteratorINSC_10device_ptrIKfEEEESI_EEEEESK_NSA_INS5_IJNSE_INSF_IfEEEESM_EEEEEPS7_SP_SP_NSC_11hip_rocprim7__merge17predicate_wrapperIffNSC_4lessIfEEEEEE10hipError_tPvRmT0_T1_T2_T3_T4_T5_mmT6_P12ihipStream_tbEUlT_E_NS1_11comp_targetILNS1_3genE0ELNS1_11target_archE4294967295ELNS1_3gpuE0ELNS1_3repE0EEENS1_30default_config_static_selectorELNS0_4arch9wavefront6targetE0EEEvS10_.num_vgpr, 0
	.set _ZN7rocprim17ROCPRIM_400000_NS6detail17trampoline_kernelINS0_14default_configENS1_21merge_config_selectorINS0_5tupleIJffEEENS0_10empty_typeEEEZNS1_10merge_implIS3_NS0_12zip_iteratorINS5_IJN6thrust23THRUST_200600_302600_NS6detail15normal_iteratorINSC_10device_ptrIKfEEEESI_EEEEESK_NSA_INS5_IJNSE_INSF_IfEEEESM_EEEEEPS7_SP_SP_NSC_11hip_rocprim7__merge17predicate_wrapperIffNSC_4lessIfEEEEEE10hipError_tPvRmT0_T1_T2_T3_T4_T5_mmT6_P12ihipStream_tbEUlT_E_NS1_11comp_targetILNS1_3genE0ELNS1_11target_archE4294967295ELNS1_3gpuE0ELNS1_3repE0EEENS1_30default_config_static_selectorELNS0_4arch9wavefront6targetE0EEEvS10_.num_agpr, 0
	.set _ZN7rocprim17ROCPRIM_400000_NS6detail17trampoline_kernelINS0_14default_configENS1_21merge_config_selectorINS0_5tupleIJffEEENS0_10empty_typeEEEZNS1_10merge_implIS3_NS0_12zip_iteratorINS5_IJN6thrust23THRUST_200600_302600_NS6detail15normal_iteratorINSC_10device_ptrIKfEEEESI_EEEEESK_NSA_INS5_IJNSE_INSF_IfEEEESM_EEEEEPS7_SP_SP_NSC_11hip_rocprim7__merge17predicate_wrapperIffNSC_4lessIfEEEEEE10hipError_tPvRmT0_T1_T2_T3_T4_T5_mmT6_P12ihipStream_tbEUlT_E_NS1_11comp_targetILNS1_3genE0ELNS1_11target_archE4294967295ELNS1_3gpuE0ELNS1_3repE0EEENS1_30default_config_static_selectorELNS0_4arch9wavefront6targetE0EEEvS10_.numbered_sgpr, 0
	.set _ZN7rocprim17ROCPRIM_400000_NS6detail17trampoline_kernelINS0_14default_configENS1_21merge_config_selectorINS0_5tupleIJffEEENS0_10empty_typeEEEZNS1_10merge_implIS3_NS0_12zip_iteratorINS5_IJN6thrust23THRUST_200600_302600_NS6detail15normal_iteratorINSC_10device_ptrIKfEEEESI_EEEEESK_NSA_INS5_IJNSE_INSF_IfEEEESM_EEEEEPS7_SP_SP_NSC_11hip_rocprim7__merge17predicate_wrapperIffNSC_4lessIfEEEEEE10hipError_tPvRmT0_T1_T2_T3_T4_T5_mmT6_P12ihipStream_tbEUlT_E_NS1_11comp_targetILNS1_3genE0ELNS1_11target_archE4294967295ELNS1_3gpuE0ELNS1_3repE0EEENS1_30default_config_static_selectorELNS0_4arch9wavefront6targetE0EEEvS10_.num_named_barrier, 0
	.set _ZN7rocprim17ROCPRIM_400000_NS6detail17trampoline_kernelINS0_14default_configENS1_21merge_config_selectorINS0_5tupleIJffEEENS0_10empty_typeEEEZNS1_10merge_implIS3_NS0_12zip_iteratorINS5_IJN6thrust23THRUST_200600_302600_NS6detail15normal_iteratorINSC_10device_ptrIKfEEEESI_EEEEESK_NSA_INS5_IJNSE_INSF_IfEEEESM_EEEEEPS7_SP_SP_NSC_11hip_rocprim7__merge17predicate_wrapperIffNSC_4lessIfEEEEEE10hipError_tPvRmT0_T1_T2_T3_T4_T5_mmT6_P12ihipStream_tbEUlT_E_NS1_11comp_targetILNS1_3genE0ELNS1_11target_archE4294967295ELNS1_3gpuE0ELNS1_3repE0EEENS1_30default_config_static_selectorELNS0_4arch9wavefront6targetE0EEEvS10_.private_seg_size, 0
	.set _ZN7rocprim17ROCPRIM_400000_NS6detail17trampoline_kernelINS0_14default_configENS1_21merge_config_selectorINS0_5tupleIJffEEENS0_10empty_typeEEEZNS1_10merge_implIS3_NS0_12zip_iteratorINS5_IJN6thrust23THRUST_200600_302600_NS6detail15normal_iteratorINSC_10device_ptrIKfEEEESI_EEEEESK_NSA_INS5_IJNSE_INSF_IfEEEESM_EEEEEPS7_SP_SP_NSC_11hip_rocprim7__merge17predicate_wrapperIffNSC_4lessIfEEEEEE10hipError_tPvRmT0_T1_T2_T3_T4_T5_mmT6_P12ihipStream_tbEUlT_E_NS1_11comp_targetILNS1_3genE0ELNS1_11target_archE4294967295ELNS1_3gpuE0ELNS1_3repE0EEENS1_30default_config_static_selectorELNS0_4arch9wavefront6targetE0EEEvS10_.uses_vcc, 0
	.set _ZN7rocprim17ROCPRIM_400000_NS6detail17trampoline_kernelINS0_14default_configENS1_21merge_config_selectorINS0_5tupleIJffEEENS0_10empty_typeEEEZNS1_10merge_implIS3_NS0_12zip_iteratorINS5_IJN6thrust23THRUST_200600_302600_NS6detail15normal_iteratorINSC_10device_ptrIKfEEEESI_EEEEESK_NSA_INS5_IJNSE_INSF_IfEEEESM_EEEEEPS7_SP_SP_NSC_11hip_rocprim7__merge17predicate_wrapperIffNSC_4lessIfEEEEEE10hipError_tPvRmT0_T1_T2_T3_T4_T5_mmT6_P12ihipStream_tbEUlT_E_NS1_11comp_targetILNS1_3genE0ELNS1_11target_archE4294967295ELNS1_3gpuE0ELNS1_3repE0EEENS1_30default_config_static_selectorELNS0_4arch9wavefront6targetE0EEEvS10_.uses_flat_scratch, 0
	.set _ZN7rocprim17ROCPRIM_400000_NS6detail17trampoline_kernelINS0_14default_configENS1_21merge_config_selectorINS0_5tupleIJffEEENS0_10empty_typeEEEZNS1_10merge_implIS3_NS0_12zip_iteratorINS5_IJN6thrust23THRUST_200600_302600_NS6detail15normal_iteratorINSC_10device_ptrIKfEEEESI_EEEEESK_NSA_INS5_IJNSE_INSF_IfEEEESM_EEEEEPS7_SP_SP_NSC_11hip_rocprim7__merge17predicate_wrapperIffNSC_4lessIfEEEEEE10hipError_tPvRmT0_T1_T2_T3_T4_T5_mmT6_P12ihipStream_tbEUlT_E_NS1_11comp_targetILNS1_3genE0ELNS1_11target_archE4294967295ELNS1_3gpuE0ELNS1_3repE0EEENS1_30default_config_static_selectorELNS0_4arch9wavefront6targetE0EEEvS10_.has_dyn_sized_stack, 0
	.set _ZN7rocprim17ROCPRIM_400000_NS6detail17trampoline_kernelINS0_14default_configENS1_21merge_config_selectorINS0_5tupleIJffEEENS0_10empty_typeEEEZNS1_10merge_implIS3_NS0_12zip_iteratorINS5_IJN6thrust23THRUST_200600_302600_NS6detail15normal_iteratorINSC_10device_ptrIKfEEEESI_EEEEESK_NSA_INS5_IJNSE_INSF_IfEEEESM_EEEEEPS7_SP_SP_NSC_11hip_rocprim7__merge17predicate_wrapperIffNSC_4lessIfEEEEEE10hipError_tPvRmT0_T1_T2_T3_T4_T5_mmT6_P12ihipStream_tbEUlT_E_NS1_11comp_targetILNS1_3genE0ELNS1_11target_archE4294967295ELNS1_3gpuE0ELNS1_3repE0EEENS1_30default_config_static_selectorELNS0_4arch9wavefront6targetE0EEEvS10_.has_recursion, 0
	.set _ZN7rocprim17ROCPRIM_400000_NS6detail17trampoline_kernelINS0_14default_configENS1_21merge_config_selectorINS0_5tupleIJffEEENS0_10empty_typeEEEZNS1_10merge_implIS3_NS0_12zip_iteratorINS5_IJN6thrust23THRUST_200600_302600_NS6detail15normal_iteratorINSC_10device_ptrIKfEEEESI_EEEEESK_NSA_INS5_IJNSE_INSF_IfEEEESM_EEEEEPS7_SP_SP_NSC_11hip_rocprim7__merge17predicate_wrapperIffNSC_4lessIfEEEEEE10hipError_tPvRmT0_T1_T2_T3_T4_T5_mmT6_P12ihipStream_tbEUlT_E_NS1_11comp_targetILNS1_3genE0ELNS1_11target_archE4294967295ELNS1_3gpuE0ELNS1_3repE0EEENS1_30default_config_static_selectorELNS0_4arch9wavefront6targetE0EEEvS10_.has_indirect_call, 0
	.section	.AMDGPU.csdata,"",@progbits
; Kernel info:
; codeLenInByte = 0
; TotalNumSgprs: 0
; NumVgprs: 0
; ScratchSize: 0
; MemoryBound: 0
; FloatMode: 240
; IeeeMode: 1
; LDSByteSize: 0 bytes/workgroup (compile time only)
; SGPRBlocks: 0
; VGPRBlocks: 0
; NumSGPRsForWavesPerEU: 1
; NumVGPRsForWavesPerEU: 1
; Occupancy: 16
; WaveLimiterHint : 0
; COMPUTE_PGM_RSRC2:SCRATCH_EN: 0
; COMPUTE_PGM_RSRC2:USER_SGPR: 6
; COMPUTE_PGM_RSRC2:TRAP_HANDLER: 0
; COMPUTE_PGM_RSRC2:TGID_X_EN: 1
; COMPUTE_PGM_RSRC2:TGID_Y_EN: 0
; COMPUTE_PGM_RSRC2:TGID_Z_EN: 0
; COMPUTE_PGM_RSRC2:TIDIG_COMP_CNT: 0
	.section	.text._ZN7rocprim17ROCPRIM_400000_NS6detail17trampoline_kernelINS0_14default_configENS1_21merge_config_selectorINS0_5tupleIJffEEENS0_10empty_typeEEEZNS1_10merge_implIS3_NS0_12zip_iteratorINS5_IJN6thrust23THRUST_200600_302600_NS6detail15normal_iteratorINSC_10device_ptrIKfEEEESI_EEEEESK_NSA_INS5_IJNSE_INSF_IfEEEESM_EEEEEPS7_SP_SP_NSC_11hip_rocprim7__merge17predicate_wrapperIffNSC_4lessIfEEEEEE10hipError_tPvRmT0_T1_T2_T3_T4_T5_mmT6_P12ihipStream_tbEUlT_E_NS1_11comp_targetILNS1_3genE5ELNS1_11target_archE942ELNS1_3gpuE9ELNS1_3repE0EEENS1_30default_config_static_selectorELNS0_4arch9wavefront6targetE0EEEvS10_,"axG",@progbits,_ZN7rocprim17ROCPRIM_400000_NS6detail17trampoline_kernelINS0_14default_configENS1_21merge_config_selectorINS0_5tupleIJffEEENS0_10empty_typeEEEZNS1_10merge_implIS3_NS0_12zip_iteratorINS5_IJN6thrust23THRUST_200600_302600_NS6detail15normal_iteratorINSC_10device_ptrIKfEEEESI_EEEEESK_NSA_INS5_IJNSE_INSF_IfEEEESM_EEEEEPS7_SP_SP_NSC_11hip_rocprim7__merge17predicate_wrapperIffNSC_4lessIfEEEEEE10hipError_tPvRmT0_T1_T2_T3_T4_T5_mmT6_P12ihipStream_tbEUlT_E_NS1_11comp_targetILNS1_3genE5ELNS1_11target_archE942ELNS1_3gpuE9ELNS1_3repE0EEENS1_30default_config_static_selectorELNS0_4arch9wavefront6targetE0EEEvS10_,comdat
	.protected	_ZN7rocprim17ROCPRIM_400000_NS6detail17trampoline_kernelINS0_14default_configENS1_21merge_config_selectorINS0_5tupleIJffEEENS0_10empty_typeEEEZNS1_10merge_implIS3_NS0_12zip_iteratorINS5_IJN6thrust23THRUST_200600_302600_NS6detail15normal_iteratorINSC_10device_ptrIKfEEEESI_EEEEESK_NSA_INS5_IJNSE_INSF_IfEEEESM_EEEEEPS7_SP_SP_NSC_11hip_rocprim7__merge17predicate_wrapperIffNSC_4lessIfEEEEEE10hipError_tPvRmT0_T1_T2_T3_T4_T5_mmT6_P12ihipStream_tbEUlT_E_NS1_11comp_targetILNS1_3genE5ELNS1_11target_archE942ELNS1_3gpuE9ELNS1_3repE0EEENS1_30default_config_static_selectorELNS0_4arch9wavefront6targetE0EEEvS10_ ; -- Begin function _ZN7rocprim17ROCPRIM_400000_NS6detail17trampoline_kernelINS0_14default_configENS1_21merge_config_selectorINS0_5tupleIJffEEENS0_10empty_typeEEEZNS1_10merge_implIS3_NS0_12zip_iteratorINS5_IJN6thrust23THRUST_200600_302600_NS6detail15normal_iteratorINSC_10device_ptrIKfEEEESI_EEEEESK_NSA_INS5_IJNSE_INSF_IfEEEESM_EEEEEPS7_SP_SP_NSC_11hip_rocprim7__merge17predicate_wrapperIffNSC_4lessIfEEEEEE10hipError_tPvRmT0_T1_T2_T3_T4_T5_mmT6_P12ihipStream_tbEUlT_E_NS1_11comp_targetILNS1_3genE5ELNS1_11target_archE942ELNS1_3gpuE9ELNS1_3repE0EEENS1_30default_config_static_selectorELNS0_4arch9wavefront6targetE0EEEvS10_
	.globl	_ZN7rocprim17ROCPRIM_400000_NS6detail17trampoline_kernelINS0_14default_configENS1_21merge_config_selectorINS0_5tupleIJffEEENS0_10empty_typeEEEZNS1_10merge_implIS3_NS0_12zip_iteratorINS5_IJN6thrust23THRUST_200600_302600_NS6detail15normal_iteratorINSC_10device_ptrIKfEEEESI_EEEEESK_NSA_INS5_IJNSE_INSF_IfEEEESM_EEEEEPS7_SP_SP_NSC_11hip_rocprim7__merge17predicate_wrapperIffNSC_4lessIfEEEEEE10hipError_tPvRmT0_T1_T2_T3_T4_T5_mmT6_P12ihipStream_tbEUlT_E_NS1_11comp_targetILNS1_3genE5ELNS1_11target_archE942ELNS1_3gpuE9ELNS1_3repE0EEENS1_30default_config_static_selectorELNS0_4arch9wavefront6targetE0EEEvS10_
	.p2align	8
	.type	_ZN7rocprim17ROCPRIM_400000_NS6detail17trampoline_kernelINS0_14default_configENS1_21merge_config_selectorINS0_5tupleIJffEEENS0_10empty_typeEEEZNS1_10merge_implIS3_NS0_12zip_iteratorINS5_IJN6thrust23THRUST_200600_302600_NS6detail15normal_iteratorINSC_10device_ptrIKfEEEESI_EEEEESK_NSA_INS5_IJNSE_INSF_IfEEEESM_EEEEEPS7_SP_SP_NSC_11hip_rocprim7__merge17predicate_wrapperIffNSC_4lessIfEEEEEE10hipError_tPvRmT0_T1_T2_T3_T4_T5_mmT6_P12ihipStream_tbEUlT_E_NS1_11comp_targetILNS1_3genE5ELNS1_11target_archE942ELNS1_3gpuE9ELNS1_3repE0EEENS1_30default_config_static_selectorELNS0_4arch9wavefront6targetE0EEEvS10_,@function
_ZN7rocprim17ROCPRIM_400000_NS6detail17trampoline_kernelINS0_14default_configENS1_21merge_config_selectorINS0_5tupleIJffEEENS0_10empty_typeEEEZNS1_10merge_implIS3_NS0_12zip_iteratorINS5_IJN6thrust23THRUST_200600_302600_NS6detail15normal_iteratorINSC_10device_ptrIKfEEEESI_EEEEESK_NSA_INS5_IJNSE_INSF_IfEEEESM_EEEEEPS7_SP_SP_NSC_11hip_rocprim7__merge17predicate_wrapperIffNSC_4lessIfEEEEEE10hipError_tPvRmT0_T1_T2_T3_T4_T5_mmT6_P12ihipStream_tbEUlT_E_NS1_11comp_targetILNS1_3genE5ELNS1_11target_archE942ELNS1_3gpuE9ELNS1_3repE0EEENS1_30default_config_static_selectorELNS0_4arch9wavefront6targetE0EEEvS10_: ; @_ZN7rocprim17ROCPRIM_400000_NS6detail17trampoline_kernelINS0_14default_configENS1_21merge_config_selectorINS0_5tupleIJffEEENS0_10empty_typeEEEZNS1_10merge_implIS3_NS0_12zip_iteratorINS5_IJN6thrust23THRUST_200600_302600_NS6detail15normal_iteratorINSC_10device_ptrIKfEEEESI_EEEEESK_NSA_INS5_IJNSE_INSF_IfEEEESM_EEEEEPS7_SP_SP_NSC_11hip_rocprim7__merge17predicate_wrapperIffNSC_4lessIfEEEEEE10hipError_tPvRmT0_T1_T2_T3_T4_T5_mmT6_P12ihipStream_tbEUlT_E_NS1_11comp_targetILNS1_3genE5ELNS1_11target_archE942ELNS1_3gpuE9ELNS1_3repE0EEENS1_30default_config_static_selectorELNS0_4arch9wavefront6targetE0EEEvS10_
; %bb.0:
	.section	.rodata,"a",@progbits
	.p2align	6, 0x0
	.amdhsa_kernel _ZN7rocprim17ROCPRIM_400000_NS6detail17trampoline_kernelINS0_14default_configENS1_21merge_config_selectorINS0_5tupleIJffEEENS0_10empty_typeEEEZNS1_10merge_implIS3_NS0_12zip_iteratorINS5_IJN6thrust23THRUST_200600_302600_NS6detail15normal_iteratorINSC_10device_ptrIKfEEEESI_EEEEESK_NSA_INS5_IJNSE_INSF_IfEEEESM_EEEEEPS7_SP_SP_NSC_11hip_rocprim7__merge17predicate_wrapperIffNSC_4lessIfEEEEEE10hipError_tPvRmT0_T1_T2_T3_T4_T5_mmT6_P12ihipStream_tbEUlT_E_NS1_11comp_targetILNS1_3genE5ELNS1_11target_archE942ELNS1_3gpuE9ELNS1_3repE0EEENS1_30default_config_static_selectorELNS0_4arch9wavefront6targetE0EEEvS10_
		.amdhsa_group_segment_fixed_size 0
		.amdhsa_private_segment_fixed_size 0
		.amdhsa_kernarg_size 64
		.amdhsa_user_sgpr_count 6
		.amdhsa_user_sgpr_private_segment_buffer 1
		.amdhsa_user_sgpr_dispatch_ptr 0
		.amdhsa_user_sgpr_queue_ptr 0
		.amdhsa_user_sgpr_kernarg_segment_ptr 1
		.amdhsa_user_sgpr_dispatch_id 0
		.amdhsa_user_sgpr_flat_scratch_init 0
		.amdhsa_user_sgpr_private_segment_size 0
		.amdhsa_wavefront_size32 1
		.amdhsa_uses_dynamic_stack 0
		.amdhsa_system_sgpr_private_segment_wavefront_offset 0
		.amdhsa_system_sgpr_workgroup_id_x 1
		.amdhsa_system_sgpr_workgroup_id_y 0
		.amdhsa_system_sgpr_workgroup_id_z 0
		.amdhsa_system_sgpr_workgroup_info 0
		.amdhsa_system_vgpr_workitem_id 0
		.amdhsa_next_free_vgpr 1
		.amdhsa_next_free_sgpr 1
		.amdhsa_reserve_vcc 0
		.amdhsa_reserve_flat_scratch 0
		.amdhsa_float_round_mode_32 0
		.amdhsa_float_round_mode_16_64 0
		.amdhsa_float_denorm_mode_32 3
		.amdhsa_float_denorm_mode_16_64 3
		.amdhsa_dx10_clamp 1
		.amdhsa_ieee_mode 1
		.amdhsa_fp16_overflow 0
		.amdhsa_workgroup_processor_mode 1
		.amdhsa_memory_ordered 1
		.amdhsa_forward_progress 1
		.amdhsa_shared_vgpr_count 0
		.amdhsa_exception_fp_ieee_invalid_op 0
		.amdhsa_exception_fp_denorm_src 0
		.amdhsa_exception_fp_ieee_div_zero 0
		.amdhsa_exception_fp_ieee_overflow 0
		.amdhsa_exception_fp_ieee_underflow 0
		.amdhsa_exception_fp_ieee_inexact 0
		.amdhsa_exception_int_div_zero 0
	.end_amdhsa_kernel
	.section	.text._ZN7rocprim17ROCPRIM_400000_NS6detail17trampoline_kernelINS0_14default_configENS1_21merge_config_selectorINS0_5tupleIJffEEENS0_10empty_typeEEEZNS1_10merge_implIS3_NS0_12zip_iteratorINS5_IJN6thrust23THRUST_200600_302600_NS6detail15normal_iteratorINSC_10device_ptrIKfEEEESI_EEEEESK_NSA_INS5_IJNSE_INSF_IfEEEESM_EEEEEPS7_SP_SP_NSC_11hip_rocprim7__merge17predicate_wrapperIffNSC_4lessIfEEEEEE10hipError_tPvRmT0_T1_T2_T3_T4_T5_mmT6_P12ihipStream_tbEUlT_E_NS1_11comp_targetILNS1_3genE5ELNS1_11target_archE942ELNS1_3gpuE9ELNS1_3repE0EEENS1_30default_config_static_selectorELNS0_4arch9wavefront6targetE0EEEvS10_,"axG",@progbits,_ZN7rocprim17ROCPRIM_400000_NS6detail17trampoline_kernelINS0_14default_configENS1_21merge_config_selectorINS0_5tupleIJffEEENS0_10empty_typeEEEZNS1_10merge_implIS3_NS0_12zip_iteratorINS5_IJN6thrust23THRUST_200600_302600_NS6detail15normal_iteratorINSC_10device_ptrIKfEEEESI_EEEEESK_NSA_INS5_IJNSE_INSF_IfEEEESM_EEEEEPS7_SP_SP_NSC_11hip_rocprim7__merge17predicate_wrapperIffNSC_4lessIfEEEEEE10hipError_tPvRmT0_T1_T2_T3_T4_T5_mmT6_P12ihipStream_tbEUlT_E_NS1_11comp_targetILNS1_3genE5ELNS1_11target_archE942ELNS1_3gpuE9ELNS1_3repE0EEENS1_30default_config_static_selectorELNS0_4arch9wavefront6targetE0EEEvS10_,comdat
.Lfunc_end60:
	.size	_ZN7rocprim17ROCPRIM_400000_NS6detail17trampoline_kernelINS0_14default_configENS1_21merge_config_selectorINS0_5tupleIJffEEENS0_10empty_typeEEEZNS1_10merge_implIS3_NS0_12zip_iteratorINS5_IJN6thrust23THRUST_200600_302600_NS6detail15normal_iteratorINSC_10device_ptrIKfEEEESI_EEEEESK_NSA_INS5_IJNSE_INSF_IfEEEESM_EEEEEPS7_SP_SP_NSC_11hip_rocprim7__merge17predicate_wrapperIffNSC_4lessIfEEEEEE10hipError_tPvRmT0_T1_T2_T3_T4_T5_mmT6_P12ihipStream_tbEUlT_E_NS1_11comp_targetILNS1_3genE5ELNS1_11target_archE942ELNS1_3gpuE9ELNS1_3repE0EEENS1_30default_config_static_selectorELNS0_4arch9wavefront6targetE0EEEvS10_, .Lfunc_end60-_ZN7rocprim17ROCPRIM_400000_NS6detail17trampoline_kernelINS0_14default_configENS1_21merge_config_selectorINS0_5tupleIJffEEENS0_10empty_typeEEEZNS1_10merge_implIS3_NS0_12zip_iteratorINS5_IJN6thrust23THRUST_200600_302600_NS6detail15normal_iteratorINSC_10device_ptrIKfEEEESI_EEEEESK_NSA_INS5_IJNSE_INSF_IfEEEESM_EEEEEPS7_SP_SP_NSC_11hip_rocprim7__merge17predicate_wrapperIffNSC_4lessIfEEEEEE10hipError_tPvRmT0_T1_T2_T3_T4_T5_mmT6_P12ihipStream_tbEUlT_E_NS1_11comp_targetILNS1_3genE5ELNS1_11target_archE942ELNS1_3gpuE9ELNS1_3repE0EEENS1_30default_config_static_selectorELNS0_4arch9wavefront6targetE0EEEvS10_
                                        ; -- End function
	.set _ZN7rocprim17ROCPRIM_400000_NS6detail17trampoline_kernelINS0_14default_configENS1_21merge_config_selectorINS0_5tupleIJffEEENS0_10empty_typeEEEZNS1_10merge_implIS3_NS0_12zip_iteratorINS5_IJN6thrust23THRUST_200600_302600_NS6detail15normal_iteratorINSC_10device_ptrIKfEEEESI_EEEEESK_NSA_INS5_IJNSE_INSF_IfEEEESM_EEEEEPS7_SP_SP_NSC_11hip_rocprim7__merge17predicate_wrapperIffNSC_4lessIfEEEEEE10hipError_tPvRmT0_T1_T2_T3_T4_T5_mmT6_P12ihipStream_tbEUlT_E_NS1_11comp_targetILNS1_3genE5ELNS1_11target_archE942ELNS1_3gpuE9ELNS1_3repE0EEENS1_30default_config_static_selectorELNS0_4arch9wavefront6targetE0EEEvS10_.num_vgpr, 0
	.set _ZN7rocprim17ROCPRIM_400000_NS6detail17trampoline_kernelINS0_14default_configENS1_21merge_config_selectorINS0_5tupleIJffEEENS0_10empty_typeEEEZNS1_10merge_implIS3_NS0_12zip_iteratorINS5_IJN6thrust23THRUST_200600_302600_NS6detail15normal_iteratorINSC_10device_ptrIKfEEEESI_EEEEESK_NSA_INS5_IJNSE_INSF_IfEEEESM_EEEEEPS7_SP_SP_NSC_11hip_rocprim7__merge17predicate_wrapperIffNSC_4lessIfEEEEEE10hipError_tPvRmT0_T1_T2_T3_T4_T5_mmT6_P12ihipStream_tbEUlT_E_NS1_11comp_targetILNS1_3genE5ELNS1_11target_archE942ELNS1_3gpuE9ELNS1_3repE0EEENS1_30default_config_static_selectorELNS0_4arch9wavefront6targetE0EEEvS10_.num_agpr, 0
	.set _ZN7rocprim17ROCPRIM_400000_NS6detail17trampoline_kernelINS0_14default_configENS1_21merge_config_selectorINS0_5tupleIJffEEENS0_10empty_typeEEEZNS1_10merge_implIS3_NS0_12zip_iteratorINS5_IJN6thrust23THRUST_200600_302600_NS6detail15normal_iteratorINSC_10device_ptrIKfEEEESI_EEEEESK_NSA_INS5_IJNSE_INSF_IfEEEESM_EEEEEPS7_SP_SP_NSC_11hip_rocprim7__merge17predicate_wrapperIffNSC_4lessIfEEEEEE10hipError_tPvRmT0_T1_T2_T3_T4_T5_mmT6_P12ihipStream_tbEUlT_E_NS1_11comp_targetILNS1_3genE5ELNS1_11target_archE942ELNS1_3gpuE9ELNS1_3repE0EEENS1_30default_config_static_selectorELNS0_4arch9wavefront6targetE0EEEvS10_.numbered_sgpr, 0
	.set _ZN7rocprim17ROCPRIM_400000_NS6detail17trampoline_kernelINS0_14default_configENS1_21merge_config_selectorINS0_5tupleIJffEEENS0_10empty_typeEEEZNS1_10merge_implIS3_NS0_12zip_iteratorINS5_IJN6thrust23THRUST_200600_302600_NS6detail15normal_iteratorINSC_10device_ptrIKfEEEESI_EEEEESK_NSA_INS5_IJNSE_INSF_IfEEEESM_EEEEEPS7_SP_SP_NSC_11hip_rocprim7__merge17predicate_wrapperIffNSC_4lessIfEEEEEE10hipError_tPvRmT0_T1_T2_T3_T4_T5_mmT6_P12ihipStream_tbEUlT_E_NS1_11comp_targetILNS1_3genE5ELNS1_11target_archE942ELNS1_3gpuE9ELNS1_3repE0EEENS1_30default_config_static_selectorELNS0_4arch9wavefront6targetE0EEEvS10_.num_named_barrier, 0
	.set _ZN7rocprim17ROCPRIM_400000_NS6detail17trampoline_kernelINS0_14default_configENS1_21merge_config_selectorINS0_5tupleIJffEEENS0_10empty_typeEEEZNS1_10merge_implIS3_NS0_12zip_iteratorINS5_IJN6thrust23THRUST_200600_302600_NS6detail15normal_iteratorINSC_10device_ptrIKfEEEESI_EEEEESK_NSA_INS5_IJNSE_INSF_IfEEEESM_EEEEEPS7_SP_SP_NSC_11hip_rocprim7__merge17predicate_wrapperIffNSC_4lessIfEEEEEE10hipError_tPvRmT0_T1_T2_T3_T4_T5_mmT6_P12ihipStream_tbEUlT_E_NS1_11comp_targetILNS1_3genE5ELNS1_11target_archE942ELNS1_3gpuE9ELNS1_3repE0EEENS1_30default_config_static_selectorELNS0_4arch9wavefront6targetE0EEEvS10_.private_seg_size, 0
	.set _ZN7rocprim17ROCPRIM_400000_NS6detail17trampoline_kernelINS0_14default_configENS1_21merge_config_selectorINS0_5tupleIJffEEENS0_10empty_typeEEEZNS1_10merge_implIS3_NS0_12zip_iteratorINS5_IJN6thrust23THRUST_200600_302600_NS6detail15normal_iteratorINSC_10device_ptrIKfEEEESI_EEEEESK_NSA_INS5_IJNSE_INSF_IfEEEESM_EEEEEPS7_SP_SP_NSC_11hip_rocprim7__merge17predicate_wrapperIffNSC_4lessIfEEEEEE10hipError_tPvRmT0_T1_T2_T3_T4_T5_mmT6_P12ihipStream_tbEUlT_E_NS1_11comp_targetILNS1_3genE5ELNS1_11target_archE942ELNS1_3gpuE9ELNS1_3repE0EEENS1_30default_config_static_selectorELNS0_4arch9wavefront6targetE0EEEvS10_.uses_vcc, 0
	.set _ZN7rocprim17ROCPRIM_400000_NS6detail17trampoline_kernelINS0_14default_configENS1_21merge_config_selectorINS0_5tupleIJffEEENS0_10empty_typeEEEZNS1_10merge_implIS3_NS0_12zip_iteratorINS5_IJN6thrust23THRUST_200600_302600_NS6detail15normal_iteratorINSC_10device_ptrIKfEEEESI_EEEEESK_NSA_INS5_IJNSE_INSF_IfEEEESM_EEEEEPS7_SP_SP_NSC_11hip_rocprim7__merge17predicate_wrapperIffNSC_4lessIfEEEEEE10hipError_tPvRmT0_T1_T2_T3_T4_T5_mmT6_P12ihipStream_tbEUlT_E_NS1_11comp_targetILNS1_3genE5ELNS1_11target_archE942ELNS1_3gpuE9ELNS1_3repE0EEENS1_30default_config_static_selectorELNS0_4arch9wavefront6targetE0EEEvS10_.uses_flat_scratch, 0
	.set _ZN7rocprim17ROCPRIM_400000_NS6detail17trampoline_kernelINS0_14default_configENS1_21merge_config_selectorINS0_5tupleIJffEEENS0_10empty_typeEEEZNS1_10merge_implIS3_NS0_12zip_iteratorINS5_IJN6thrust23THRUST_200600_302600_NS6detail15normal_iteratorINSC_10device_ptrIKfEEEESI_EEEEESK_NSA_INS5_IJNSE_INSF_IfEEEESM_EEEEEPS7_SP_SP_NSC_11hip_rocprim7__merge17predicate_wrapperIffNSC_4lessIfEEEEEE10hipError_tPvRmT0_T1_T2_T3_T4_T5_mmT6_P12ihipStream_tbEUlT_E_NS1_11comp_targetILNS1_3genE5ELNS1_11target_archE942ELNS1_3gpuE9ELNS1_3repE0EEENS1_30default_config_static_selectorELNS0_4arch9wavefront6targetE0EEEvS10_.has_dyn_sized_stack, 0
	.set _ZN7rocprim17ROCPRIM_400000_NS6detail17trampoline_kernelINS0_14default_configENS1_21merge_config_selectorINS0_5tupleIJffEEENS0_10empty_typeEEEZNS1_10merge_implIS3_NS0_12zip_iteratorINS5_IJN6thrust23THRUST_200600_302600_NS6detail15normal_iteratorINSC_10device_ptrIKfEEEESI_EEEEESK_NSA_INS5_IJNSE_INSF_IfEEEESM_EEEEEPS7_SP_SP_NSC_11hip_rocprim7__merge17predicate_wrapperIffNSC_4lessIfEEEEEE10hipError_tPvRmT0_T1_T2_T3_T4_T5_mmT6_P12ihipStream_tbEUlT_E_NS1_11comp_targetILNS1_3genE5ELNS1_11target_archE942ELNS1_3gpuE9ELNS1_3repE0EEENS1_30default_config_static_selectorELNS0_4arch9wavefront6targetE0EEEvS10_.has_recursion, 0
	.set _ZN7rocprim17ROCPRIM_400000_NS6detail17trampoline_kernelINS0_14default_configENS1_21merge_config_selectorINS0_5tupleIJffEEENS0_10empty_typeEEEZNS1_10merge_implIS3_NS0_12zip_iteratorINS5_IJN6thrust23THRUST_200600_302600_NS6detail15normal_iteratorINSC_10device_ptrIKfEEEESI_EEEEESK_NSA_INS5_IJNSE_INSF_IfEEEESM_EEEEEPS7_SP_SP_NSC_11hip_rocprim7__merge17predicate_wrapperIffNSC_4lessIfEEEEEE10hipError_tPvRmT0_T1_T2_T3_T4_T5_mmT6_P12ihipStream_tbEUlT_E_NS1_11comp_targetILNS1_3genE5ELNS1_11target_archE942ELNS1_3gpuE9ELNS1_3repE0EEENS1_30default_config_static_selectorELNS0_4arch9wavefront6targetE0EEEvS10_.has_indirect_call, 0
	.section	.AMDGPU.csdata,"",@progbits
; Kernel info:
; codeLenInByte = 0
; TotalNumSgprs: 0
; NumVgprs: 0
; ScratchSize: 0
; MemoryBound: 0
; FloatMode: 240
; IeeeMode: 1
; LDSByteSize: 0 bytes/workgroup (compile time only)
; SGPRBlocks: 0
; VGPRBlocks: 0
; NumSGPRsForWavesPerEU: 1
; NumVGPRsForWavesPerEU: 1
; Occupancy: 16
; WaveLimiterHint : 0
; COMPUTE_PGM_RSRC2:SCRATCH_EN: 0
; COMPUTE_PGM_RSRC2:USER_SGPR: 6
; COMPUTE_PGM_RSRC2:TRAP_HANDLER: 0
; COMPUTE_PGM_RSRC2:TGID_X_EN: 1
; COMPUTE_PGM_RSRC2:TGID_Y_EN: 0
; COMPUTE_PGM_RSRC2:TGID_Z_EN: 0
; COMPUTE_PGM_RSRC2:TIDIG_COMP_CNT: 0
	.section	.text._ZN7rocprim17ROCPRIM_400000_NS6detail17trampoline_kernelINS0_14default_configENS1_21merge_config_selectorINS0_5tupleIJffEEENS0_10empty_typeEEEZNS1_10merge_implIS3_NS0_12zip_iteratorINS5_IJN6thrust23THRUST_200600_302600_NS6detail15normal_iteratorINSC_10device_ptrIKfEEEESI_EEEEESK_NSA_INS5_IJNSE_INSF_IfEEEESM_EEEEEPS7_SP_SP_NSC_11hip_rocprim7__merge17predicate_wrapperIffNSC_4lessIfEEEEEE10hipError_tPvRmT0_T1_T2_T3_T4_T5_mmT6_P12ihipStream_tbEUlT_E_NS1_11comp_targetILNS1_3genE4ELNS1_11target_archE910ELNS1_3gpuE8ELNS1_3repE0EEENS1_30default_config_static_selectorELNS0_4arch9wavefront6targetE0EEEvS10_,"axG",@progbits,_ZN7rocprim17ROCPRIM_400000_NS6detail17trampoline_kernelINS0_14default_configENS1_21merge_config_selectorINS0_5tupleIJffEEENS0_10empty_typeEEEZNS1_10merge_implIS3_NS0_12zip_iteratorINS5_IJN6thrust23THRUST_200600_302600_NS6detail15normal_iteratorINSC_10device_ptrIKfEEEESI_EEEEESK_NSA_INS5_IJNSE_INSF_IfEEEESM_EEEEEPS7_SP_SP_NSC_11hip_rocprim7__merge17predicate_wrapperIffNSC_4lessIfEEEEEE10hipError_tPvRmT0_T1_T2_T3_T4_T5_mmT6_P12ihipStream_tbEUlT_E_NS1_11comp_targetILNS1_3genE4ELNS1_11target_archE910ELNS1_3gpuE8ELNS1_3repE0EEENS1_30default_config_static_selectorELNS0_4arch9wavefront6targetE0EEEvS10_,comdat
	.protected	_ZN7rocprim17ROCPRIM_400000_NS6detail17trampoline_kernelINS0_14default_configENS1_21merge_config_selectorINS0_5tupleIJffEEENS0_10empty_typeEEEZNS1_10merge_implIS3_NS0_12zip_iteratorINS5_IJN6thrust23THRUST_200600_302600_NS6detail15normal_iteratorINSC_10device_ptrIKfEEEESI_EEEEESK_NSA_INS5_IJNSE_INSF_IfEEEESM_EEEEEPS7_SP_SP_NSC_11hip_rocprim7__merge17predicate_wrapperIffNSC_4lessIfEEEEEE10hipError_tPvRmT0_T1_T2_T3_T4_T5_mmT6_P12ihipStream_tbEUlT_E_NS1_11comp_targetILNS1_3genE4ELNS1_11target_archE910ELNS1_3gpuE8ELNS1_3repE0EEENS1_30default_config_static_selectorELNS0_4arch9wavefront6targetE0EEEvS10_ ; -- Begin function _ZN7rocprim17ROCPRIM_400000_NS6detail17trampoline_kernelINS0_14default_configENS1_21merge_config_selectorINS0_5tupleIJffEEENS0_10empty_typeEEEZNS1_10merge_implIS3_NS0_12zip_iteratorINS5_IJN6thrust23THRUST_200600_302600_NS6detail15normal_iteratorINSC_10device_ptrIKfEEEESI_EEEEESK_NSA_INS5_IJNSE_INSF_IfEEEESM_EEEEEPS7_SP_SP_NSC_11hip_rocprim7__merge17predicate_wrapperIffNSC_4lessIfEEEEEE10hipError_tPvRmT0_T1_T2_T3_T4_T5_mmT6_P12ihipStream_tbEUlT_E_NS1_11comp_targetILNS1_3genE4ELNS1_11target_archE910ELNS1_3gpuE8ELNS1_3repE0EEENS1_30default_config_static_selectorELNS0_4arch9wavefront6targetE0EEEvS10_
	.globl	_ZN7rocprim17ROCPRIM_400000_NS6detail17trampoline_kernelINS0_14default_configENS1_21merge_config_selectorINS0_5tupleIJffEEENS0_10empty_typeEEEZNS1_10merge_implIS3_NS0_12zip_iteratorINS5_IJN6thrust23THRUST_200600_302600_NS6detail15normal_iteratorINSC_10device_ptrIKfEEEESI_EEEEESK_NSA_INS5_IJNSE_INSF_IfEEEESM_EEEEEPS7_SP_SP_NSC_11hip_rocprim7__merge17predicate_wrapperIffNSC_4lessIfEEEEEE10hipError_tPvRmT0_T1_T2_T3_T4_T5_mmT6_P12ihipStream_tbEUlT_E_NS1_11comp_targetILNS1_3genE4ELNS1_11target_archE910ELNS1_3gpuE8ELNS1_3repE0EEENS1_30default_config_static_selectorELNS0_4arch9wavefront6targetE0EEEvS10_
	.p2align	8
	.type	_ZN7rocprim17ROCPRIM_400000_NS6detail17trampoline_kernelINS0_14default_configENS1_21merge_config_selectorINS0_5tupleIJffEEENS0_10empty_typeEEEZNS1_10merge_implIS3_NS0_12zip_iteratorINS5_IJN6thrust23THRUST_200600_302600_NS6detail15normal_iteratorINSC_10device_ptrIKfEEEESI_EEEEESK_NSA_INS5_IJNSE_INSF_IfEEEESM_EEEEEPS7_SP_SP_NSC_11hip_rocprim7__merge17predicate_wrapperIffNSC_4lessIfEEEEEE10hipError_tPvRmT0_T1_T2_T3_T4_T5_mmT6_P12ihipStream_tbEUlT_E_NS1_11comp_targetILNS1_3genE4ELNS1_11target_archE910ELNS1_3gpuE8ELNS1_3repE0EEENS1_30default_config_static_selectorELNS0_4arch9wavefront6targetE0EEEvS10_,@function
_ZN7rocprim17ROCPRIM_400000_NS6detail17trampoline_kernelINS0_14default_configENS1_21merge_config_selectorINS0_5tupleIJffEEENS0_10empty_typeEEEZNS1_10merge_implIS3_NS0_12zip_iteratorINS5_IJN6thrust23THRUST_200600_302600_NS6detail15normal_iteratorINSC_10device_ptrIKfEEEESI_EEEEESK_NSA_INS5_IJNSE_INSF_IfEEEESM_EEEEEPS7_SP_SP_NSC_11hip_rocprim7__merge17predicate_wrapperIffNSC_4lessIfEEEEEE10hipError_tPvRmT0_T1_T2_T3_T4_T5_mmT6_P12ihipStream_tbEUlT_E_NS1_11comp_targetILNS1_3genE4ELNS1_11target_archE910ELNS1_3gpuE8ELNS1_3repE0EEENS1_30default_config_static_selectorELNS0_4arch9wavefront6targetE0EEEvS10_: ; @_ZN7rocprim17ROCPRIM_400000_NS6detail17trampoline_kernelINS0_14default_configENS1_21merge_config_selectorINS0_5tupleIJffEEENS0_10empty_typeEEEZNS1_10merge_implIS3_NS0_12zip_iteratorINS5_IJN6thrust23THRUST_200600_302600_NS6detail15normal_iteratorINSC_10device_ptrIKfEEEESI_EEEEESK_NSA_INS5_IJNSE_INSF_IfEEEESM_EEEEEPS7_SP_SP_NSC_11hip_rocprim7__merge17predicate_wrapperIffNSC_4lessIfEEEEEE10hipError_tPvRmT0_T1_T2_T3_T4_T5_mmT6_P12ihipStream_tbEUlT_E_NS1_11comp_targetILNS1_3genE4ELNS1_11target_archE910ELNS1_3gpuE8ELNS1_3repE0EEENS1_30default_config_static_selectorELNS0_4arch9wavefront6targetE0EEEvS10_
; %bb.0:
	.section	.rodata,"a",@progbits
	.p2align	6, 0x0
	.amdhsa_kernel _ZN7rocprim17ROCPRIM_400000_NS6detail17trampoline_kernelINS0_14default_configENS1_21merge_config_selectorINS0_5tupleIJffEEENS0_10empty_typeEEEZNS1_10merge_implIS3_NS0_12zip_iteratorINS5_IJN6thrust23THRUST_200600_302600_NS6detail15normal_iteratorINSC_10device_ptrIKfEEEESI_EEEEESK_NSA_INS5_IJNSE_INSF_IfEEEESM_EEEEEPS7_SP_SP_NSC_11hip_rocprim7__merge17predicate_wrapperIffNSC_4lessIfEEEEEE10hipError_tPvRmT0_T1_T2_T3_T4_T5_mmT6_P12ihipStream_tbEUlT_E_NS1_11comp_targetILNS1_3genE4ELNS1_11target_archE910ELNS1_3gpuE8ELNS1_3repE0EEENS1_30default_config_static_selectorELNS0_4arch9wavefront6targetE0EEEvS10_
		.amdhsa_group_segment_fixed_size 0
		.amdhsa_private_segment_fixed_size 0
		.amdhsa_kernarg_size 64
		.amdhsa_user_sgpr_count 6
		.amdhsa_user_sgpr_private_segment_buffer 1
		.amdhsa_user_sgpr_dispatch_ptr 0
		.amdhsa_user_sgpr_queue_ptr 0
		.amdhsa_user_sgpr_kernarg_segment_ptr 1
		.amdhsa_user_sgpr_dispatch_id 0
		.amdhsa_user_sgpr_flat_scratch_init 0
		.amdhsa_user_sgpr_private_segment_size 0
		.amdhsa_wavefront_size32 1
		.amdhsa_uses_dynamic_stack 0
		.amdhsa_system_sgpr_private_segment_wavefront_offset 0
		.amdhsa_system_sgpr_workgroup_id_x 1
		.amdhsa_system_sgpr_workgroup_id_y 0
		.amdhsa_system_sgpr_workgroup_id_z 0
		.amdhsa_system_sgpr_workgroup_info 0
		.amdhsa_system_vgpr_workitem_id 0
		.amdhsa_next_free_vgpr 1
		.amdhsa_next_free_sgpr 1
		.amdhsa_reserve_vcc 0
		.amdhsa_reserve_flat_scratch 0
		.amdhsa_float_round_mode_32 0
		.amdhsa_float_round_mode_16_64 0
		.amdhsa_float_denorm_mode_32 3
		.amdhsa_float_denorm_mode_16_64 3
		.amdhsa_dx10_clamp 1
		.amdhsa_ieee_mode 1
		.amdhsa_fp16_overflow 0
		.amdhsa_workgroup_processor_mode 1
		.amdhsa_memory_ordered 1
		.amdhsa_forward_progress 1
		.amdhsa_shared_vgpr_count 0
		.amdhsa_exception_fp_ieee_invalid_op 0
		.amdhsa_exception_fp_denorm_src 0
		.amdhsa_exception_fp_ieee_div_zero 0
		.amdhsa_exception_fp_ieee_overflow 0
		.amdhsa_exception_fp_ieee_underflow 0
		.amdhsa_exception_fp_ieee_inexact 0
		.amdhsa_exception_int_div_zero 0
	.end_amdhsa_kernel
	.section	.text._ZN7rocprim17ROCPRIM_400000_NS6detail17trampoline_kernelINS0_14default_configENS1_21merge_config_selectorINS0_5tupleIJffEEENS0_10empty_typeEEEZNS1_10merge_implIS3_NS0_12zip_iteratorINS5_IJN6thrust23THRUST_200600_302600_NS6detail15normal_iteratorINSC_10device_ptrIKfEEEESI_EEEEESK_NSA_INS5_IJNSE_INSF_IfEEEESM_EEEEEPS7_SP_SP_NSC_11hip_rocprim7__merge17predicate_wrapperIffNSC_4lessIfEEEEEE10hipError_tPvRmT0_T1_T2_T3_T4_T5_mmT6_P12ihipStream_tbEUlT_E_NS1_11comp_targetILNS1_3genE4ELNS1_11target_archE910ELNS1_3gpuE8ELNS1_3repE0EEENS1_30default_config_static_selectorELNS0_4arch9wavefront6targetE0EEEvS10_,"axG",@progbits,_ZN7rocprim17ROCPRIM_400000_NS6detail17trampoline_kernelINS0_14default_configENS1_21merge_config_selectorINS0_5tupleIJffEEENS0_10empty_typeEEEZNS1_10merge_implIS3_NS0_12zip_iteratorINS5_IJN6thrust23THRUST_200600_302600_NS6detail15normal_iteratorINSC_10device_ptrIKfEEEESI_EEEEESK_NSA_INS5_IJNSE_INSF_IfEEEESM_EEEEEPS7_SP_SP_NSC_11hip_rocprim7__merge17predicate_wrapperIffNSC_4lessIfEEEEEE10hipError_tPvRmT0_T1_T2_T3_T4_T5_mmT6_P12ihipStream_tbEUlT_E_NS1_11comp_targetILNS1_3genE4ELNS1_11target_archE910ELNS1_3gpuE8ELNS1_3repE0EEENS1_30default_config_static_selectorELNS0_4arch9wavefront6targetE0EEEvS10_,comdat
.Lfunc_end61:
	.size	_ZN7rocprim17ROCPRIM_400000_NS6detail17trampoline_kernelINS0_14default_configENS1_21merge_config_selectorINS0_5tupleIJffEEENS0_10empty_typeEEEZNS1_10merge_implIS3_NS0_12zip_iteratorINS5_IJN6thrust23THRUST_200600_302600_NS6detail15normal_iteratorINSC_10device_ptrIKfEEEESI_EEEEESK_NSA_INS5_IJNSE_INSF_IfEEEESM_EEEEEPS7_SP_SP_NSC_11hip_rocprim7__merge17predicate_wrapperIffNSC_4lessIfEEEEEE10hipError_tPvRmT0_T1_T2_T3_T4_T5_mmT6_P12ihipStream_tbEUlT_E_NS1_11comp_targetILNS1_3genE4ELNS1_11target_archE910ELNS1_3gpuE8ELNS1_3repE0EEENS1_30default_config_static_selectorELNS0_4arch9wavefront6targetE0EEEvS10_, .Lfunc_end61-_ZN7rocprim17ROCPRIM_400000_NS6detail17trampoline_kernelINS0_14default_configENS1_21merge_config_selectorINS0_5tupleIJffEEENS0_10empty_typeEEEZNS1_10merge_implIS3_NS0_12zip_iteratorINS5_IJN6thrust23THRUST_200600_302600_NS6detail15normal_iteratorINSC_10device_ptrIKfEEEESI_EEEEESK_NSA_INS5_IJNSE_INSF_IfEEEESM_EEEEEPS7_SP_SP_NSC_11hip_rocprim7__merge17predicate_wrapperIffNSC_4lessIfEEEEEE10hipError_tPvRmT0_T1_T2_T3_T4_T5_mmT6_P12ihipStream_tbEUlT_E_NS1_11comp_targetILNS1_3genE4ELNS1_11target_archE910ELNS1_3gpuE8ELNS1_3repE0EEENS1_30default_config_static_selectorELNS0_4arch9wavefront6targetE0EEEvS10_
                                        ; -- End function
	.set _ZN7rocprim17ROCPRIM_400000_NS6detail17trampoline_kernelINS0_14default_configENS1_21merge_config_selectorINS0_5tupleIJffEEENS0_10empty_typeEEEZNS1_10merge_implIS3_NS0_12zip_iteratorINS5_IJN6thrust23THRUST_200600_302600_NS6detail15normal_iteratorINSC_10device_ptrIKfEEEESI_EEEEESK_NSA_INS5_IJNSE_INSF_IfEEEESM_EEEEEPS7_SP_SP_NSC_11hip_rocprim7__merge17predicate_wrapperIffNSC_4lessIfEEEEEE10hipError_tPvRmT0_T1_T2_T3_T4_T5_mmT6_P12ihipStream_tbEUlT_E_NS1_11comp_targetILNS1_3genE4ELNS1_11target_archE910ELNS1_3gpuE8ELNS1_3repE0EEENS1_30default_config_static_selectorELNS0_4arch9wavefront6targetE0EEEvS10_.num_vgpr, 0
	.set _ZN7rocprim17ROCPRIM_400000_NS6detail17trampoline_kernelINS0_14default_configENS1_21merge_config_selectorINS0_5tupleIJffEEENS0_10empty_typeEEEZNS1_10merge_implIS3_NS0_12zip_iteratorINS5_IJN6thrust23THRUST_200600_302600_NS6detail15normal_iteratorINSC_10device_ptrIKfEEEESI_EEEEESK_NSA_INS5_IJNSE_INSF_IfEEEESM_EEEEEPS7_SP_SP_NSC_11hip_rocprim7__merge17predicate_wrapperIffNSC_4lessIfEEEEEE10hipError_tPvRmT0_T1_T2_T3_T4_T5_mmT6_P12ihipStream_tbEUlT_E_NS1_11comp_targetILNS1_3genE4ELNS1_11target_archE910ELNS1_3gpuE8ELNS1_3repE0EEENS1_30default_config_static_selectorELNS0_4arch9wavefront6targetE0EEEvS10_.num_agpr, 0
	.set _ZN7rocprim17ROCPRIM_400000_NS6detail17trampoline_kernelINS0_14default_configENS1_21merge_config_selectorINS0_5tupleIJffEEENS0_10empty_typeEEEZNS1_10merge_implIS3_NS0_12zip_iteratorINS5_IJN6thrust23THRUST_200600_302600_NS6detail15normal_iteratorINSC_10device_ptrIKfEEEESI_EEEEESK_NSA_INS5_IJNSE_INSF_IfEEEESM_EEEEEPS7_SP_SP_NSC_11hip_rocprim7__merge17predicate_wrapperIffNSC_4lessIfEEEEEE10hipError_tPvRmT0_T1_T2_T3_T4_T5_mmT6_P12ihipStream_tbEUlT_E_NS1_11comp_targetILNS1_3genE4ELNS1_11target_archE910ELNS1_3gpuE8ELNS1_3repE0EEENS1_30default_config_static_selectorELNS0_4arch9wavefront6targetE0EEEvS10_.numbered_sgpr, 0
	.set _ZN7rocprim17ROCPRIM_400000_NS6detail17trampoline_kernelINS0_14default_configENS1_21merge_config_selectorINS0_5tupleIJffEEENS0_10empty_typeEEEZNS1_10merge_implIS3_NS0_12zip_iteratorINS5_IJN6thrust23THRUST_200600_302600_NS6detail15normal_iteratorINSC_10device_ptrIKfEEEESI_EEEEESK_NSA_INS5_IJNSE_INSF_IfEEEESM_EEEEEPS7_SP_SP_NSC_11hip_rocprim7__merge17predicate_wrapperIffNSC_4lessIfEEEEEE10hipError_tPvRmT0_T1_T2_T3_T4_T5_mmT6_P12ihipStream_tbEUlT_E_NS1_11comp_targetILNS1_3genE4ELNS1_11target_archE910ELNS1_3gpuE8ELNS1_3repE0EEENS1_30default_config_static_selectorELNS0_4arch9wavefront6targetE0EEEvS10_.num_named_barrier, 0
	.set _ZN7rocprim17ROCPRIM_400000_NS6detail17trampoline_kernelINS0_14default_configENS1_21merge_config_selectorINS0_5tupleIJffEEENS0_10empty_typeEEEZNS1_10merge_implIS3_NS0_12zip_iteratorINS5_IJN6thrust23THRUST_200600_302600_NS6detail15normal_iteratorINSC_10device_ptrIKfEEEESI_EEEEESK_NSA_INS5_IJNSE_INSF_IfEEEESM_EEEEEPS7_SP_SP_NSC_11hip_rocprim7__merge17predicate_wrapperIffNSC_4lessIfEEEEEE10hipError_tPvRmT0_T1_T2_T3_T4_T5_mmT6_P12ihipStream_tbEUlT_E_NS1_11comp_targetILNS1_3genE4ELNS1_11target_archE910ELNS1_3gpuE8ELNS1_3repE0EEENS1_30default_config_static_selectorELNS0_4arch9wavefront6targetE0EEEvS10_.private_seg_size, 0
	.set _ZN7rocprim17ROCPRIM_400000_NS6detail17trampoline_kernelINS0_14default_configENS1_21merge_config_selectorINS0_5tupleIJffEEENS0_10empty_typeEEEZNS1_10merge_implIS3_NS0_12zip_iteratorINS5_IJN6thrust23THRUST_200600_302600_NS6detail15normal_iteratorINSC_10device_ptrIKfEEEESI_EEEEESK_NSA_INS5_IJNSE_INSF_IfEEEESM_EEEEEPS7_SP_SP_NSC_11hip_rocprim7__merge17predicate_wrapperIffNSC_4lessIfEEEEEE10hipError_tPvRmT0_T1_T2_T3_T4_T5_mmT6_P12ihipStream_tbEUlT_E_NS1_11comp_targetILNS1_3genE4ELNS1_11target_archE910ELNS1_3gpuE8ELNS1_3repE0EEENS1_30default_config_static_selectorELNS0_4arch9wavefront6targetE0EEEvS10_.uses_vcc, 0
	.set _ZN7rocprim17ROCPRIM_400000_NS6detail17trampoline_kernelINS0_14default_configENS1_21merge_config_selectorINS0_5tupleIJffEEENS0_10empty_typeEEEZNS1_10merge_implIS3_NS0_12zip_iteratorINS5_IJN6thrust23THRUST_200600_302600_NS6detail15normal_iteratorINSC_10device_ptrIKfEEEESI_EEEEESK_NSA_INS5_IJNSE_INSF_IfEEEESM_EEEEEPS7_SP_SP_NSC_11hip_rocprim7__merge17predicate_wrapperIffNSC_4lessIfEEEEEE10hipError_tPvRmT0_T1_T2_T3_T4_T5_mmT6_P12ihipStream_tbEUlT_E_NS1_11comp_targetILNS1_3genE4ELNS1_11target_archE910ELNS1_3gpuE8ELNS1_3repE0EEENS1_30default_config_static_selectorELNS0_4arch9wavefront6targetE0EEEvS10_.uses_flat_scratch, 0
	.set _ZN7rocprim17ROCPRIM_400000_NS6detail17trampoline_kernelINS0_14default_configENS1_21merge_config_selectorINS0_5tupleIJffEEENS0_10empty_typeEEEZNS1_10merge_implIS3_NS0_12zip_iteratorINS5_IJN6thrust23THRUST_200600_302600_NS6detail15normal_iteratorINSC_10device_ptrIKfEEEESI_EEEEESK_NSA_INS5_IJNSE_INSF_IfEEEESM_EEEEEPS7_SP_SP_NSC_11hip_rocprim7__merge17predicate_wrapperIffNSC_4lessIfEEEEEE10hipError_tPvRmT0_T1_T2_T3_T4_T5_mmT6_P12ihipStream_tbEUlT_E_NS1_11comp_targetILNS1_3genE4ELNS1_11target_archE910ELNS1_3gpuE8ELNS1_3repE0EEENS1_30default_config_static_selectorELNS0_4arch9wavefront6targetE0EEEvS10_.has_dyn_sized_stack, 0
	.set _ZN7rocprim17ROCPRIM_400000_NS6detail17trampoline_kernelINS0_14default_configENS1_21merge_config_selectorINS0_5tupleIJffEEENS0_10empty_typeEEEZNS1_10merge_implIS3_NS0_12zip_iteratorINS5_IJN6thrust23THRUST_200600_302600_NS6detail15normal_iteratorINSC_10device_ptrIKfEEEESI_EEEEESK_NSA_INS5_IJNSE_INSF_IfEEEESM_EEEEEPS7_SP_SP_NSC_11hip_rocprim7__merge17predicate_wrapperIffNSC_4lessIfEEEEEE10hipError_tPvRmT0_T1_T2_T3_T4_T5_mmT6_P12ihipStream_tbEUlT_E_NS1_11comp_targetILNS1_3genE4ELNS1_11target_archE910ELNS1_3gpuE8ELNS1_3repE0EEENS1_30default_config_static_selectorELNS0_4arch9wavefront6targetE0EEEvS10_.has_recursion, 0
	.set _ZN7rocprim17ROCPRIM_400000_NS6detail17trampoline_kernelINS0_14default_configENS1_21merge_config_selectorINS0_5tupleIJffEEENS0_10empty_typeEEEZNS1_10merge_implIS3_NS0_12zip_iteratorINS5_IJN6thrust23THRUST_200600_302600_NS6detail15normal_iteratorINSC_10device_ptrIKfEEEESI_EEEEESK_NSA_INS5_IJNSE_INSF_IfEEEESM_EEEEEPS7_SP_SP_NSC_11hip_rocprim7__merge17predicate_wrapperIffNSC_4lessIfEEEEEE10hipError_tPvRmT0_T1_T2_T3_T4_T5_mmT6_P12ihipStream_tbEUlT_E_NS1_11comp_targetILNS1_3genE4ELNS1_11target_archE910ELNS1_3gpuE8ELNS1_3repE0EEENS1_30default_config_static_selectorELNS0_4arch9wavefront6targetE0EEEvS10_.has_indirect_call, 0
	.section	.AMDGPU.csdata,"",@progbits
; Kernel info:
; codeLenInByte = 0
; TotalNumSgprs: 0
; NumVgprs: 0
; ScratchSize: 0
; MemoryBound: 0
; FloatMode: 240
; IeeeMode: 1
; LDSByteSize: 0 bytes/workgroup (compile time only)
; SGPRBlocks: 0
; VGPRBlocks: 0
; NumSGPRsForWavesPerEU: 1
; NumVGPRsForWavesPerEU: 1
; Occupancy: 16
; WaveLimiterHint : 0
; COMPUTE_PGM_RSRC2:SCRATCH_EN: 0
; COMPUTE_PGM_RSRC2:USER_SGPR: 6
; COMPUTE_PGM_RSRC2:TRAP_HANDLER: 0
; COMPUTE_PGM_RSRC2:TGID_X_EN: 1
; COMPUTE_PGM_RSRC2:TGID_Y_EN: 0
; COMPUTE_PGM_RSRC2:TGID_Z_EN: 0
; COMPUTE_PGM_RSRC2:TIDIG_COMP_CNT: 0
	.section	.text._ZN7rocprim17ROCPRIM_400000_NS6detail17trampoline_kernelINS0_14default_configENS1_21merge_config_selectorINS0_5tupleIJffEEENS0_10empty_typeEEEZNS1_10merge_implIS3_NS0_12zip_iteratorINS5_IJN6thrust23THRUST_200600_302600_NS6detail15normal_iteratorINSC_10device_ptrIKfEEEESI_EEEEESK_NSA_INS5_IJNSE_INSF_IfEEEESM_EEEEEPS7_SP_SP_NSC_11hip_rocprim7__merge17predicate_wrapperIffNSC_4lessIfEEEEEE10hipError_tPvRmT0_T1_T2_T3_T4_T5_mmT6_P12ihipStream_tbEUlT_E_NS1_11comp_targetILNS1_3genE3ELNS1_11target_archE908ELNS1_3gpuE7ELNS1_3repE0EEENS1_30default_config_static_selectorELNS0_4arch9wavefront6targetE0EEEvS10_,"axG",@progbits,_ZN7rocprim17ROCPRIM_400000_NS6detail17trampoline_kernelINS0_14default_configENS1_21merge_config_selectorINS0_5tupleIJffEEENS0_10empty_typeEEEZNS1_10merge_implIS3_NS0_12zip_iteratorINS5_IJN6thrust23THRUST_200600_302600_NS6detail15normal_iteratorINSC_10device_ptrIKfEEEESI_EEEEESK_NSA_INS5_IJNSE_INSF_IfEEEESM_EEEEEPS7_SP_SP_NSC_11hip_rocprim7__merge17predicate_wrapperIffNSC_4lessIfEEEEEE10hipError_tPvRmT0_T1_T2_T3_T4_T5_mmT6_P12ihipStream_tbEUlT_E_NS1_11comp_targetILNS1_3genE3ELNS1_11target_archE908ELNS1_3gpuE7ELNS1_3repE0EEENS1_30default_config_static_selectorELNS0_4arch9wavefront6targetE0EEEvS10_,comdat
	.protected	_ZN7rocprim17ROCPRIM_400000_NS6detail17trampoline_kernelINS0_14default_configENS1_21merge_config_selectorINS0_5tupleIJffEEENS0_10empty_typeEEEZNS1_10merge_implIS3_NS0_12zip_iteratorINS5_IJN6thrust23THRUST_200600_302600_NS6detail15normal_iteratorINSC_10device_ptrIKfEEEESI_EEEEESK_NSA_INS5_IJNSE_INSF_IfEEEESM_EEEEEPS7_SP_SP_NSC_11hip_rocprim7__merge17predicate_wrapperIffNSC_4lessIfEEEEEE10hipError_tPvRmT0_T1_T2_T3_T4_T5_mmT6_P12ihipStream_tbEUlT_E_NS1_11comp_targetILNS1_3genE3ELNS1_11target_archE908ELNS1_3gpuE7ELNS1_3repE0EEENS1_30default_config_static_selectorELNS0_4arch9wavefront6targetE0EEEvS10_ ; -- Begin function _ZN7rocprim17ROCPRIM_400000_NS6detail17trampoline_kernelINS0_14default_configENS1_21merge_config_selectorINS0_5tupleIJffEEENS0_10empty_typeEEEZNS1_10merge_implIS3_NS0_12zip_iteratorINS5_IJN6thrust23THRUST_200600_302600_NS6detail15normal_iteratorINSC_10device_ptrIKfEEEESI_EEEEESK_NSA_INS5_IJNSE_INSF_IfEEEESM_EEEEEPS7_SP_SP_NSC_11hip_rocprim7__merge17predicate_wrapperIffNSC_4lessIfEEEEEE10hipError_tPvRmT0_T1_T2_T3_T4_T5_mmT6_P12ihipStream_tbEUlT_E_NS1_11comp_targetILNS1_3genE3ELNS1_11target_archE908ELNS1_3gpuE7ELNS1_3repE0EEENS1_30default_config_static_selectorELNS0_4arch9wavefront6targetE0EEEvS10_
	.globl	_ZN7rocprim17ROCPRIM_400000_NS6detail17trampoline_kernelINS0_14default_configENS1_21merge_config_selectorINS0_5tupleIJffEEENS0_10empty_typeEEEZNS1_10merge_implIS3_NS0_12zip_iteratorINS5_IJN6thrust23THRUST_200600_302600_NS6detail15normal_iteratorINSC_10device_ptrIKfEEEESI_EEEEESK_NSA_INS5_IJNSE_INSF_IfEEEESM_EEEEEPS7_SP_SP_NSC_11hip_rocprim7__merge17predicate_wrapperIffNSC_4lessIfEEEEEE10hipError_tPvRmT0_T1_T2_T3_T4_T5_mmT6_P12ihipStream_tbEUlT_E_NS1_11comp_targetILNS1_3genE3ELNS1_11target_archE908ELNS1_3gpuE7ELNS1_3repE0EEENS1_30default_config_static_selectorELNS0_4arch9wavefront6targetE0EEEvS10_
	.p2align	8
	.type	_ZN7rocprim17ROCPRIM_400000_NS6detail17trampoline_kernelINS0_14default_configENS1_21merge_config_selectorINS0_5tupleIJffEEENS0_10empty_typeEEEZNS1_10merge_implIS3_NS0_12zip_iteratorINS5_IJN6thrust23THRUST_200600_302600_NS6detail15normal_iteratorINSC_10device_ptrIKfEEEESI_EEEEESK_NSA_INS5_IJNSE_INSF_IfEEEESM_EEEEEPS7_SP_SP_NSC_11hip_rocprim7__merge17predicate_wrapperIffNSC_4lessIfEEEEEE10hipError_tPvRmT0_T1_T2_T3_T4_T5_mmT6_P12ihipStream_tbEUlT_E_NS1_11comp_targetILNS1_3genE3ELNS1_11target_archE908ELNS1_3gpuE7ELNS1_3repE0EEENS1_30default_config_static_selectorELNS0_4arch9wavefront6targetE0EEEvS10_,@function
_ZN7rocprim17ROCPRIM_400000_NS6detail17trampoline_kernelINS0_14default_configENS1_21merge_config_selectorINS0_5tupleIJffEEENS0_10empty_typeEEEZNS1_10merge_implIS3_NS0_12zip_iteratorINS5_IJN6thrust23THRUST_200600_302600_NS6detail15normal_iteratorINSC_10device_ptrIKfEEEESI_EEEEESK_NSA_INS5_IJNSE_INSF_IfEEEESM_EEEEEPS7_SP_SP_NSC_11hip_rocprim7__merge17predicate_wrapperIffNSC_4lessIfEEEEEE10hipError_tPvRmT0_T1_T2_T3_T4_T5_mmT6_P12ihipStream_tbEUlT_E_NS1_11comp_targetILNS1_3genE3ELNS1_11target_archE908ELNS1_3gpuE7ELNS1_3repE0EEENS1_30default_config_static_selectorELNS0_4arch9wavefront6targetE0EEEvS10_: ; @_ZN7rocprim17ROCPRIM_400000_NS6detail17trampoline_kernelINS0_14default_configENS1_21merge_config_selectorINS0_5tupleIJffEEENS0_10empty_typeEEEZNS1_10merge_implIS3_NS0_12zip_iteratorINS5_IJN6thrust23THRUST_200600_302600_NS6detail15normal_iteratorINSC_10device_ptrIKfEEEESI_EEEEESK_NSA_INS5_IJNSE_INSF_IfEEEESM_EEEEEPS7_SP_SP_NSC_11hip_rocprim7__merge17predicate_wrapperIffNSC_4lessIfEEEEEE10hipError_tPvRmT0_T1_T2_T3_T4_T5_mmT6_P12ihipStream_tbEUlT_E_NS1_11comp_targetILNS1_3genE3ELNS1_11target_archE908ELNS1_3gpuE7ELNS1_3repE0EEENS1_30default_config_static_selectorELNS0_4arch9wavefront6targetE0EEEvS10_
; %bb.0:
	.section	.rodata,"a",@progbits
	.p2align	6, 0x0
	.amdhsa_kernel _ZN7rocprim17ROCPRIM_400000_NS6detail17trampoline_kernelINS0_14default_configENS1_21merge_config_selectorINS0_5tupleIJffEEENS0_10empty_typeEEEZNS1_10merge_implIS3_NS0_12zip_iteratorINS5_IJN6thrust23THRUST_200600_302600_NS6detail15normal_iteratorINSC_10device_ptrIKfEEEESI_EEEEESK_NSA_INS5_IJNSE_INSF_IfEEEESM_EEEEEPS7_SP_SP_NSC_11hip_rocprim7__merge17predicate_wrapperIffNSC_4lessIfEEEEEE10hipError_tPvRmT0_T1_T2_T3_T4_T5_mmT6_P12ihipStream_tbEUlT_E_NS1_11comp_targetILNS1_3genE3ELNS1_11target_archE908ELNS1_3gpuE7ELNS1_3repE0EEENS1_30default_config_static_selectorELNS0_4arch9wavefront6targetE0EEEvS10_
		.amdhsa_group_segment_fixed_size 0
		.amdhsa_private_segment_fixed_size 0
		.amdhsa_kernarg_size 64
		.amdhsa_user_sgpr_count 6
		.amdhsa_user_sgpr_private_segment_buffer 1
		.amdhsa_user_sgpr_dispatch_ptr 0
		.amdhsa_user_sgpr_queue_ptr 0
		.amdhsa_user_sgpr_kernarg_segment_ptr 1
		.amdhsa_user_sgpr_dispatch_id 0
		.amdhsa_user_sgpr_flat_scratch_init 0
		.amdhsa_user_sgpr_private_segment_size 0
		.amdhsa_wavefront_size32 1
		.amdhsa_uses_dynamic_stack 0
		.amdhsa_system_sgpr_private_segment_wavefront_offset 0
		.amdhsa_system_sgpr_workgroup_id_x 1
		.amdhsa_system_sgpr_workgroup_id_y 0
		.amdhsa_system_sgpr_workgroup_id_z 0
		.amdhsa_system_sgpr_workgroup_info 0
		.amdhsa_system_vgpr_workitem_id 0
		.amdhsa_next_free_vgpr 1
		.amdhsa_next_free_sgpr 1
		.amdhsa_reserve_vcc 0
		.amdhsa_reserve_flat_scratch 0
		.amdhsa_float_round_mode_32 0
		.amdhsa_float_round_mode_16_64 0
		.amdhsa_float_denorm_mode_32 3
		.amdhsa_float_denorm_mode_16_64 3
		.amdhsa_dx10_clamp 1
		.amdhsa_ieee_mode 1
		.amdhsa_fp16_overflow 0
		.amdhsa_workgroup_processor_mode 1
		.amdhsa_memory_ordered 1
		.amdhsa_forward_progress 1
		.amdhsa_shared_vgpr_count 0
		.amdhsa_exception_fp_ieee_invalid_op 0
		.amdhsa_exception_fp_denorm_src 0
		.amdhsa_exception_fp_ieee_div_zero 0
		.amdhsa_exception_fp_ieee_overflow 0
		.amdhsa_exception_fp_ieee_underflow 0
		.amdhsa_exception_fp_ieee_inexact 0
		.amdhsa_exception_int_div_zero 0
	.end_amdhsa_kernel
	.section	.text._ZN7rocprim17ROCPRIM_400000_NS6detail17trampoline_kernelINS0_14default_configENS1_21merge_config_selectorINS0_5tupleIJffEEENS0_10empty_typeEEEZNS1_10merge_implIS3_NS0_12zip_iteratorINS5_IJN6thrust23THRUST_200600_302600_NS6detail15normal_iteratorINSC_10device_ptrIKfEEEESI_EEEEESK_NSA_INS5_IJNSE_INSF_IfEEEESM_EEEEEPS7_SP_SP_NSC_11hip_rocprim7__merge17predicate_wrapperIffNSC_4lessIfEEEEEE10hipError_tPvRmT0_T1_T2_T3_T4_T5_mmT6_P12ihipStream_tbEUlT_E_NS1_11comp_targetILNS1_3genE3ELNS1_11target_archE908ELNS1_3gpuE7ELNS1_3repE0EEENS1_30default_config_static_selectorELNS0_4arch9wavefront6targetE0EEEvS10_,"axG",@progbits,_ZN7rocprim17ROCPRIM_400000_NS6detail17trampoline_kernelINS0_14default_configENS1_21merge_config_selectorINS0_5tupleIJffEEENS0_10empty_typeEEEZNS1_10merge_implIS3_NS0_12zip_iteratorINS5_IJN6thrust23THRUST_200600_302600_NS6detail15normal_iteratorINSC_10device_ptrIKfEEEESI_EEEEESK_NSA_INS5_IJNSE_INSF_IfEEEESM_EEEEEPS7_SP_SP_NSC_11hip_rocprim7__merge17predicate_wrapperIffNSC_4lessIfEEEEEE10hipError_tPvRmT0_T1_T2_T3_T4_T5_mmT6_P12ihipStream_tbEUlT_E_NS1_11comp_targetILNS1_3genE3ELNS1_11target_archE908ELNS1_3gpuE7ELNS1_3repE0EEENS1_30default_config_static_selectorELNS0_4arch9wavefront6targetE0EEEvS10_,comdat
.Lfunc_end62:
	.size	_ZN7rocprim17ROCPRIM_400000_NS6detail17trampoline_kernelINS0_14default_configENS1_21merge_config_selectorINS0_5tupleIJffEEENS0_10empty_typeEEEZNS1_10merge_implIS3_NS0_12zip_iteratorINS5_IJN6thrust23THRUST_200600_302600_NS6detail15normal_iteratorINSC_10device_ptrIKfEEEESI_EEEEESK_NSA_INS5_IJNSE_INSF_IfEEEESM_EEEEEPS7_SP_SP_NSC_11hip_rocprim7__merge17predicate_wrapperIffNSC_4lessIfEEEEEE10hipError_tPvRmT0_T1_T2_T3_T4_T5_mmT6_P12ihipStream_tbEUlT_E_NS1_11comp_targetILNS1_3genE3ELNS1_11target_archE908ELNS1_3gpuE7ELNS1_3repE0EEENS1_30default_config_static_selectorELNS0_4arch9wavefront6targetE0EEEvS10_, .Lfunc_end62-_ZN7rocprim17ROCPRIM_400000_NS6detail17trampoline_kernelINS0_14default_configENS1_21merge_config_selectorINS0_5tupleIJffEEENS0_10empty_typeEEEZNS1_10merge_implIS3_NS0_12zip_iteratorINS5_IJN6thrust23THRUST_200600_302600_NS6detail15normal_iteratorINSC_10device_ptrIKfEEEESI_EEEEESK_NSA_INS5_IJNSE_INSF_IfEEEESM_EEEEEPS7_SP_SP_NSC_11hip_rocprim7__merge17predicate_wrapperIffNSC_4lessIfEEEEEE10hipError_tPvRmT0_T1_T2_T3_T4_T5_mmT6_P12ihipStream_tbEUlT_E_NS1_11comp_targetILNS1_3genE3ELNS1_11target_archE908ELNS1_3gpuE7ELNS1_3repE0EEENS1_30default_config_static_selectorELNS0_4arch9wavefront6targetE0EEEvS10_
                                        ; -- End function
	.set _ZN7rocprim17ROCPRIM_400000_NS6detail17trampoline_kernelINS0_14default_configENS1_21merge_config_selectorINS0_5tupleIJffEEENS0_10empty_typeEEEZNS1_10merge_implIS3_NS0_12zip_iteratorINS5_IJN6thrust23THRUST_200600_302600_NS6detail15normal_iteratorINSC_10device_ptrIKfEEEESI_EEEEESK_NSA_INS5_IJNSE_INSF_IfEEEESM_EEEEEPS7_SP_SP_NSC_11hip_rocprim7__merge17predicate_wrapperIffNSC_4lessIfEEEEEE10hipError_tPvRmT0_T1_T2_T3_T4_T5_mmT6_P12ihipStream_tbEUlT_E_NS1_11comp_targetILNS1_3genE3ELNS1_11target_archE908ELNS1_3gpuE7ELNS1_3repE0EEENS1_30default_config_static_selectorELNS0_4arch9wavefront6targetE0EEEvS10_.num_vgpr, 0
	.set _ZN7rocprim17ROCPRIM_400000_NS6detail17trampoline_kernelINS0_14default_configENS1_21merge_config_selectorINS0_5tupleIJffEEENS0_10empty_typeEEEZNS1_10merge_implIS3_NS0_12zip_iteratorINS5_IJN6thrust23THRUST_200600_302600_NS6detail15normal_iteratorINSC_10device_ptrIKfEEEESI_EEEEESK_NSA_INS5_IJNSE_INSF_IfEEEESM_EEEEEPS7_SP_SP_NSC_11hip_rocprim7__merge17predicate_wrapperIffNSC_4lessIfEEEEEE10hipError_tPvRmT0_T1_T2_T3_T4_T5_mmT6_P12ihipStream_tbEUlT_E_NS1_11comp_targetILNS1_3genE3ELNS1_11target_archE908ELNS1_3gpuE7ELNS1_3repE0EEENS1_30default_config_static_selectorELNS0_4arch9wavefront6targetE0EEEvS10_.num_agpr, 0
	.set _ZN7rocprim17ROCPRIM_400000_NS6detail17trampoline_kernelINS0_14default_configENS1_21merge_config_selectorINS0_5tupleIJffEEENS0_10empty_typeEEEZNS1_10merge_implIS3_NS0_12zip_iteratorINS5_IJN6thrust23THRUST_200600_302600_NS6detail15normal_iteratorINSC_10device_ptrIKfEEEESI_EEEEESK_NSA_INS5_IJNSE_INSF_IfEEEESM_EEEEEPS7_SP_SP_NSC_11hip_rocprim7__merge17predicate_wrapperIffNSC_4lessIfEEEEEE10hipError_tPvRmT0_T1_T2_T3_T4_T5_mmT6_P12ihipStream_tbEUlT_E_NS1_11comp_targetILNS1_3genE3ELNS1_11target_archE908ELNS1_3gpuE7ELNS1_3repE0EEENS1_30default_config_static_selectorELNS0_4arch9wavefront6targetE0EEEvS10_.numbered_sgpr, 0
	.set _ZN7rocprim17ROCPRIM_400000_NS6detail17trampoline_kernelINS0_14default_configENS1_21merge_config_selectorINS0_5tupleIJffEEENS0_10empty_typeEEEZNS1_10merge_implIS3_NS0_12zip_iteratorINS5_IJN6thrust23THRUST_200600_302600_NS6detail15normal_iteratorINSC_10device_ptrIKfEEEESI_EEEEESK_NSA_INS5_IJNSE_INSF_IfEEEESM_EEEEEPS7_SP_SP_NSC_11hip_rocprim7__merge17predicate_wrapperIffNSC_4lessIfEEEEEE10hipError_tPvRmT0_T1_T2_T3_T4_T5_mmT6_P12ihipStream_tbEUlT_E_NS1_11comp_targetILNS1_3genE3ELNS1_11target_archE908ELNS1_3gpuE7ELNS1_3repE0EEENS1_30default_config_static_selectorELNS0_4arch9wavefront6targetE0EEEvS10_.num_named_barrier, 0
	.set _ZN7rocprim17ROCPRIM_400000_NS6detail17trampoline_kernelINS0_14default_configENS1_21merge_config_selectorINS0_5tupleIJffEEENS0_10empty_typeEEEZNS1_10merge_implIS3_NS0_12zip_iteratorINS5_IJN6thrust23THRUST_200600_302600_NS6detail15normal_iteratorINSC_10device_ptrIKfEEEESI_EEEEESK_NSA_INS5_IJNSE_INSF_IfEEEESM_EEEEEPS7_SP_SP_NSC_11hip_rocprim7__merge17predicate_wrapperIffNSC_4lessIfEEEEEE10hipError_tPvRmT0_T1_T2_T3_T4_T5_mmT6_P12ihipStream_tbEUlT_E_NS1_11comp_targetILNS1_3genE3ELNS1_11target_archE908ELNS1_3gpuE7ELNS1_3repE0EEENS1_30default_config_static_selectorELNS0_4arch9wavefront6targetE0EEEvS10_.private_seg_size, 0
	.set _ZN7rocprim17ROCPRIM_400000_NS6detail17trampoline_kernelINS0_14default_configENS1_21merge_config_selectorINS0_5tupleIJffEEENS0_10empty_typeEEEZNS1_10merge_implIS3_NS0_12zip_iteratorINS5_IJN6thrust23THRUST_200600_302600_NS6detail15normal_iteratorINSC_10device_ptrIKfEEEESI_EEEEESK_NSA_INS5_IJNSE_INSF_IfEEEESM_EEEEEPS7_SP_SP_NSC_11hip_rocprim7__merge17predicate_wrapperIffNSC_4lessIfEEEEEE10hipError_tPvRmT0_T1_T2_T3_T4_T5_mmT6_P12ihipStream_tbEUlT_E_NS1_11comp_targetILNS1_3genE3ELNS1_11target_archE908ELNS1_3gpuE7ELNS1_3repE0EEENS1_30default_config_static_selectorELNS0_4arch9wavefront6targetE0EEEvS10_.uses_vcc, 0
	.set _ZN7rocprim17ROCPRIM_400000_NS6detail17trampoline_kernelINS0_14default_configENS1_21merge_config_selectorINS0_5tupleIJffEEENS0_10empty_typeEEEZNS1_10merge_implIS3_NS0_12zip_iteratorINS5_IJN6thrust23THRUST_200600_302600_NS6detail15normal_iteratorINSC_10device_ptrIKfEEEESI_EEEEESK_NSA_INS5_IJNSE_INSF_IfEEEESM_EEEEEPS7_SP_SP_NSC_11hip_rocprim7__merge17predicate_wrapperIffNSC_4lessIfEEEEEE10hipError_tPvRmT0_T1_T2_T3_T4_T5_mmT6_P12ihipStream_tbEUlT_E_NS1_11comp_targetILNS1_3genE3ELNS1_11target_archE908ELNS1_3gpuE7ELNS1_3repE0EEENS1_30default_config_static_selectorELNS0_4arch9wavefront6targetE0EEEvS10_.uses_flat_scratch, 0
	.set _ZN7rocprim17ROCPRIM_400000_NS6detail17trampoline_kernelINS0_14default_configENS1_21merge_config_selectorINS0_5tupleIJffEEENS0_10empty_typeEEEZNS1_10merge_implIS3_NS0_12zip_iteratorINS5_IJN6thrust23THRUST_200600_302600_NS6detail15normal_iteratorINSC_10device_ptrIKfEEEESI_EEEEESK_NSA_INS5_IJNSE_INSF_IfEEEESM_EEEEEPS7_SP_SP_NSC_11hip_rocprim7__merge17predicate_wrapperIffNSC_4lessIfEEEEEE10hipError_tPvRmT0_T1_T2_T3_T4_T5_mmT6_P12ihipStream_tbEUlT_E_NS1_11comp_targetILNS1_3genE3ELNS1_11target_archE908ELNS1_3gpuE7ELNS1_3repE0EEENS1_30default_config_static_selectorELNS0_4arch9wavefront6targetE0EEEvS10_.has_dyn_sized_stack, 0
	.set _ZN7rocprim17ROCPRIM_400000_NS6detail17trampoline_kernelINS0_14default_configENS1_21merge_config_selectorINS0_5tupleIJffEEENS0_10empty_typeEEEZNS1_10merge_implIS3_NS0_12zip_iteratorINS5_IJN6thrust23THRUST_200600_302600_NS6detail15normal_iteratorINSC_10device_ptrIKfEEEESI_EEEEESK_NSA_INS5_IJNSE_INSF_IfEEEESM_EEEEEPS7_SP_SP_NSC_11hip_rocprim7__merge17predicate_wrapperIffNSC_4lessIfEEEEEE10hipError_tPvRmT0_T1_T2_T3_T4_T5_mmT6_P12ihipStream_tbEUlT_E_NS1_11comp_targetILNS1_3genE3ELNS1_11target_archE908ELNS1_3gpuE7ELNS1_3repE0EEENS1_30default_config_static_selectorELNS0_4arch9wavefront6targetE0EEEvS10_.has_recursion, 0
	.set _ZN7rocprim17ROCPRIM_400000_NS6detail17trampoline_kernelINS0_14default_configENS1_21merge_config_selectorINS0_5tupleIJffEEENS0_10empty_typeEEEZNS1_10merge_implIS3_NS0_12zip_iteratorINS5_IJN6thrust23THRUST_200600_302600_NS6detail15normal_iteratorINSC_10device_ptrIKfEEEESI_EEEEESK_NSA_INS5_IJNSE_INSF_IfEEEESM_EEEEEPS7_SP_SP_NSC_11hip_rocprim7__merge17predicate_wrapperIffNSC_4lessIfEEEEEE10hipError_tPvRmT0_T1_T2_T3_T4_T5_mmT6_P12ihipStream_tbEUlT_E_NS1_11comp_targetILNS1_3genE3ELNS1_11target_archE908ELNS1_3gpuE7ELNS1_3repE0EEENS1_30default_config_static_selectorELNS0_4arch9wavefront6targetE0EEEvS10_.has_indirect_call, 0
	.section	.AMDGPU.csdata,"",@progbits
; Kernel info:
; codeLenInByte = 0
; TotalNumSgprs: 0
; NumVgprs: 0
; ScratchSize: 0
; MemoryBound: 0
; FloatMode: 240
; IeeeMode: 1
; LDSByteSize: 0 bytes/workgroup (compile time only)
; SGPRBlocks: 0
; VGPRBlocks: 0
; NumSGPRsForWavesPerEU: 1
; NumVGPRsForWavesPerEU: 1
; Occupancy: 16
; WaveLimiterHint : 0
; COMPUTE_PGM_RSRC2:SCRATCH_EN: 0
; COMPUTE_PGM_RSRC2:USER_SGPR: 6
; COMPUTE_PGM_RSRC2:TRAP_HANDLER: 0
; COMPUTE_PGM_RSRC2:TGID_X_EN: 1
; COMPUTE_PGM_RSRC2:TGID_Y_EN: 0
; COMPUTE_PGM_RSRC2:TGID_Z_EN: 0
; COMPUTE_PGM_RSRC2:TIDIG_COMP_CNT: 0
	.section	.text._ZN7rocprim17ROCPRIM_400000_NS6detail17trampoline_kernelINS0_14default_configENS1_21merge_config_selectorINS0_5tupleIJffEEENS0_10empty_typeEEEZNS1_10merge_implIS3_NS0_12zip_iteratorINS5_IJN6thrust23THRUST_200600_302600_NS6detail15normal_iteratorINSC_10device_ptrIKfEEEESI_EEEEESK_NSA_INS5_IJNSE_INSF_IfEEEESM_EEEEEPS7_SP_SP_NSC_11hip_rocprim7__merge17predicate_wrapperIffNSC_4lessIfEEEEEE10hipError_tPvRmT0_T1_T2_T3_T4_T5_mmT6_P12ihipStream_tbEUlT_E_NS1_11comp_targetILNS1_3genE2ELNS1_11target_archE906ELNS1_3gpuE6ELNS1_3repE0EEENS1_30default_config_static_selectorELNS0_4arch9wavefront6targetE0EEEvS10_,"axG",@progbits,_ZN7rocprim17ROCPRIM_400000_NS6detail17trampoline_kernelINS0_14default_configENS1_21merge_config_selectorINS0_5tupleIJffEEENS0_10empty_typeEEEZNS1_10merge_implIS3_NS0_12zip_iteratorINS5_IJN6thrust23THRUST_200600_302600_NS6detail15normal_iteratorINSC_10device_ptrIKfEEEESI_EEEEESK_NSA_INS5_IJNSE_INSF_IfEEEESM_EEEEEPS7_SP_SP_NSC_11hip_rocprim7__merge17predicate_wrapperIffNSC_4lessIfEEEEEE10hipError_tPvRmT0_T1_T2_T3_T4_T5_mmT6_P12ihipStream_tbEUlT_E_NS1_11comp_targetILNS1_3genE2ELNS1_11target_archE906ELNS1_3gpuE6ELNS1_3repE0EEENS1_30default_config_static_selectorELNS0_4arch9wavefront6targetE0EEEvS10_,comdat
	.protected	_ZN7rocprim17ROCPRIM_400000_NS6detail17trampoline_kernelINS0_14default_configENS1_21merge_config_selectorINS0_5tupleIJffEEENS0_10empty_typeEEEZNS1_10merge_implIS3_NS0_12zip_iteratorINS5_IJN6thrust23THRUST_200600_302600_NS6detail15normal_iteratorINSC_10device_ptrIKfEEEESI_EEEEESK_NSA_INS5_IJNSE_INSF_IfEEEESM_EEEEEPS7_SP_SP_NSC_11hip_rocprim7__merge17predicate_wrapperIffNSC_4lessIfEEEEEE10hipError_tPvRmT0_T1_T2_T3_T4_T5_mmT6_P12ihipStream_tbEUlT_E_NS1_11comp_targetILNS1_3genE2ELNS1_11target_archE906ELNS1_3gpuE6ELNS1_3repE0EEENS1_30default_config_static_selectorELNS0_4arch9wavefront6targetE0EEEvS10_ ; -- Begin function _ZN7rocprim17ROCPRIM_400000_NS6detail17trampoline_kernelINS0_14default_configENS1_21merge_config_selectorINS0_5tupleIJffEEENS0_10empty_typeEEEZNS1_10merge_implIS3_NS0_12zip_iteratorINS5_IJN6thrust23THRUST_200600_302600_NS6detail15normal_iteratorINSC_10device_ptrIKfEEEESI_EEEEESK_NSA_INS5_IJNSE_INSF_IfEEEESM_EEEEEPS7_SP_SP_NSC_11hip_rocprim7__merge17predicate_wrapperIffNSC_4lessIfEEEEEE10hipError_tPvRmT0_T1_T2_T3_T4_T5_mmT6_P12ihipStream_tbEUlT_E_NS1_11comp_targetILNS1_3genE2ELNS1_11target_archE906ELNS1_3gpuE6ELNS1_3repE0EEENS1_30default_config_static_selectorELNS0_4arch9wavefront6targetE0EEEvS10_
	.globl	_ZN7rocprim17ROCPRIM_400000_NS6detail17trampoline_kernelINS0_14default_configENS1_21merge_config_selectorINS0_5tupleIJffEEENS0_10empty_typeEEEZNS1_10merge_implIS3_NS0_12zip_iteratorINS5_IJN6thrust23THRUST_200600_302600_NS6detail15normal_iteratorINSC_10device_ptrIKfEEEESI_EEEEESK_NSA_INS5_IJNSE_INSF_IfEEEESM_EEEEEPS7_SP_SP_NSC_11hip_rocprim7__merge17predicate_wrapperIffNSC_4lessIfEEEEEE10hipError_tPvRmT0_T1_T2_T3_T4_T5_mmT6_P12ihipStream_tbEUlT_E_NS1_11comp_targetILNS1_3genE2ELNS1_11target_archE906ELNS1_3gpuE6ELNS1_3repE0EEENS1_30default_config_static_selectorELNS0_4arch9wavefront6targetE0EEEvS10_
	.p2align	8
	.type	_ZN7rocprim17ROCPRIM_400000_NS6detail17trampoline_kernelINS0_14default_configENS1_21merge_config_selectorINS0_5tupleIJffEEENS0_10empty_typeEEEZNS1_10merge_implIS3_NS0_12zip_iteratorINS5_IJN6thrust23THRUST_200600_302600_NS6detail15normal_iteratorINSC_10device_ptrIKfEEEESI_EEEEESK_NSA_INS5_IJNSE_INSF_IfEEEESM_EEEEEPS7_SP_SP_NSC_11hip_rocprim7__merge17predicate_wrapperIffNSC_4lessIfEEEEEE10hipError_tPvRmT0_T1_T2_T3_T4_T5_mmT6_P12ihipStream_tbEUlT_E_NS1_11comp_targetILNS1_3genE2ELNS1_11target_archE906ELNS1_3gpuE6ELNS1_3repE0EEENS1_30default_config_static_selectorELNS0_4arch9wavefront6targetE0EEEvS10_,@function
_ZN7rocprim17ROCPRIM_400000_NS6detail17trampoline_kernelINS0_14default_configENS1_21merge_config_selectorINS0_5tupleIJffEEENS0_10empty_typeEEEZNS1_10merge_implIS3_NS0_12zip_iteratorINS5_IJN6thrust23THRUST_200600_302600_NS6detail15normal_iteratorINSC_10device_ptrIKfEEEESI_EEEEESK_NSA_INS5_IJNSE_INSF_IfEEEESM_EEEEEPS7_SP_SP_NSC_11hip_rocprim7__merge17predicate_wrapperIffNSC_4lessIfEEEEEE10hipError_tPvRmT0_T1_T2_T3_T4_T5_mmT6_P12ihipStream_tbEUlT_E_NS1_11comp_targetILNS1_3genE2ELNS1_11target_archE906ELNS1_3gpuE6ELNS1_3repE0EEENS1_30default_config_static_selectorELNS0_4arch9wavefront6targetE0EEEvS10_: ; @_ZN7rocprim17ROCPRIM_400000_NS6detail17trampoline_kernelINS0_14default_configENS1_21merge_config_selectorINS0_5tupleIJffEEENS0_10empty_typeEEEZNS1_10merge_implIS3_NS0_12zip_iteratorINS5_IJN6thrust23THRUST_200600_302600_NS6detail15normal_iteratorINSC_10device_ptrIKfEEEESI_EEEEESK_NSA_INS5_IJNSE_INSF_IfEEEESM_EEEEEPS7_SP_SP_NSC_11hip_rocprim7__merge17predicate_wrapperIffNSC_4lessIfEEEEEE10hipError_tPvRmT0_T1_T2_T3_T4_T5_mmT6_P12ihipStream_tbEUlT_E_NS1_11comp_targetILNS1_3genE2ELNS1_11target_archE906ELNS1_3gpuE6ELNS1_3repE0EEENS1_30default_config_static_selectorELNS0_4arch9wavefront6targetE0EEEvS10_
; %bb.0:
	.section	.rodata,"a",@progbits
	.p2align	6, 0x0
	.amdhsa_kernel _ZN7rocprim17ROCPRIM_400000_NS6detail17trampoline_kernelINS0_14default_configENS1_21merge_config_selectorINS0_5tupleIJffEEENS0_10empty_typeEEEZNS1_10merge_implIS3_NS0_12zip_iteratorINS5_IJN6thrust23THRUST_200600_302600_NS6detail15normal_iteratorINSC_10device_ptrIKfEEEESI_EEEEESK_NSA_INS5_IJNSE_INSF_IfEEEESM_EEEEEPS7_SP_SP_NSC_11hip_rocprim7__merge17predicate_wrapperIffNSC_4lessIfEEEEEE10hipError_tPvRmT0_T1_T2_T3_T4_T5_mmT6_P12ihipStream_tbEUlT_E_NS1_11comp_targetILNS1_3genE2ELNS1_11target_archE906ELNS1_3gpuE6ELNS1_3repE0EEENS1_30default_config_static_selectorELNS0_4arch9wavefront6targetE0EEEvS10_
		.amdhsa_group_segment_fixed_size 0
		.amdhsa_private_segment_fixed_size 0
		.amdhsa_kernarg_size 64
		.amdhsa_user_sgpr_count 6
		.amdhsa_user_sgpr_private_segment_buffer 1
		.amdhsa_user_sgpr_dispatch_ptr 0
		.amdhsa_user_sgpr_queue_ptr 0
		.amdhsa_user_sgpr_kernarg_segment_ptr 1
		.amdhsa_user_sgpr_dispatch_id 0
		.amdhsa_user_sgpr_flat_scratch_init 0
		.amdhsa_user_sgpr_private_segment_size 0
		.amdhsa_wavefront_size32 1
		.amdhsa_uses_dynamic_stack 0
		.amdhsa_system_sgpr_private_segment_wavefront_offset 0
		.amdhsa_system_sgpr_workgroup_id_x 1
		.amdhsa_system_sgpr_workgroup_id_y 0
		.amdhsa_system_sgpr_workgroup_id_z 0
		.amdhsa_system_sgpr_workgroup_info 0
		.amdhsa_system_vgpr_workitem_id 0
		.amdhsa_next_free_vgpr 1
		.amdhsa_next_free_sgpr 1
		.amdhsa_reserve_vcc 0
		.amdhsa_reserve_flat_scratch 0
		.amdhsa_float_round_mode_32 0
		.amdhsa_float_round_mode_16_64 0
		.amdhsa_float_denorm_mode_32 3
		.amdhsa_float_denorm_mode_16_64 3
		.amdhsa_dx10_clamp 1
		.amdhsa_ieee_mode 1
		.amdhsa_fp16_overflow 0
		.amdhsa_workgroup_processor_mode 1
		.amdhsa_memory_ordered 1
		.amdhsa_forward_progress 1
		.amdhsa_shared_vgpr_count 0
		.amdhsa_exception_fp_ieee_invalid_op 0
		.amdhsa_exception_fp_denorm_src 0
		.amdhsa_exception_fp_ieee_div_zero 0
		.amdhsa_exception_fp_ieee_overflow 0
		.amdhsa_exception_fp_ieee_underflow 0
		.amdhsa_exception_fp_ieee_inexact 0
		.amdhsa_exception_int_div_zero 0
	.end_amdhsa_kernel
	.section	.text._ZN7rocprim17ROCPRIM_400000_NS6detail17trampoline_kernelINS0_14default_configENS1_21merge_config_selectorINS0_5tupleIJffEEENS0_10empty_typeEEEZNS1_10merge_implIS3_NS0_12zip_iteratorINS5_IJN6thrust23THRUST_200600_302600_NS6detail15normal_iteratorINSC_10device_ptrIKfEEEESI_EEEEESK_NSA_INS5_IJNSE_INSF_IfEEEESM_EEEEEPS7_SP_SP_NSC_11hip_rocprim7__merge17predicate_wrapperIffNSC_4lessIfEEEEEE10hipError_tPvRmT0_T1_T2_T3_T4_T5_mmT6_P12ihipStream_tbEUlT_E_NS1_11comp_targetILNS1_3genE2ELNS1_11target_archE906ELNS1_3gpuE6ELNS1_3repE0EEENS1_30default_config_static_selectorELNS0_4arch9wavefront6targetE0EEEvS10_,"axG",@progbits,_ZN7rocprim17ROCPRIM_400000_NS6detail17trampoline_kernelINS0_14default_configENS1_21merge_config_selectorINS0_5tupleIJffEEENS0_10empty_typeEEEZNS1_10merge_implIS3_NS0_12zip_iteratorINS5_IJN6thrust23THRUST_200600_302600_NS6detail15normal_iteratorINSC_10device_ptrIKfEEEESI_EEEEESK_NSA_INS5_IJNSE_INSF_IfEEEESM_EEEEEPS7_SP_SP_NSC_11hip_rocprim7__merge17predicate_wrapperIffNSC_4lessIfEEEEEE10hipError_tPvRmT0_T1_T2_T3_T4_T5_mmT6_P12ihipStream_tbEUlT_E_NS1_11comp_targetILNS1_3genE2ELNS1_11target_archE906ELNS1_3gpuE6ELNS1_3repE0EEENS1_30default_config_static_selectorELNS0_4arch9wavefront6targetE0EEEvS10_,comdat
.Lfunc_end63:
	.size	_ZN7rocprim17ROCPRIM_400000_NS6detail17trampoline_kernelINS0_14default_configENS1_21merge_config_selectorINS0_5tupleIJffEEENS0_10empty_typeEEEZNS1_10merge_implIS3_NS0_12zip_iteratorINS5_IJN6thrust23THRUST_200600_302600_NS6detail15normal_iteratorINSC_10device_ptrIKfEEEESI_EEEEESK_NSA_INS5_IJNSE_INSF_IfEEEESM_EEEEEPS7_SP_SP_NSC_11hip_rocprim7__merge17predicate_wrapperIffNSC_4lessIfEEEEEE10hipError_tPvRmT0_T1_T2_T3_T4_T5_mmT6_P12ihipStream_tbEUlT_E_NS1_11comp_targetILNS1_3genE2ELNS1_11target_archE906ELNS1_3gpuE6ELNS1_3repE0EEENS1_30default_config_static_selectorELNS0_4arch9wavefront6targetE0EEEvS10_, .Lfunc_end63-_ZN7rocprim17ROCPRIM_400000_NS6detail17trampoline_kernelINS0_14default_configENS1_21merge_config_selectorINS0_5tupleIJffEEENS0_10empty_typeEEEZNS1_10merge_implIS3_NS0_12zip_iteratorINS5_IJN6thrust23THRUST_200600_302600_NS6detail15normal_iteratorINSC_10device_ptrIKfEEEESI_EEEEESK_NSA_INS5_IJNSE_INSF_IfEEEESM_EEEEEPS7_SP_SP_NSC_11hip_rocprim7__merge17predicate_wrapperIffNSC_4lessIfEEEEEE10hipError_tPvRmT0_T1_T2_T3_T4_T5_mmT6_P12ihipStream_tbEUlT_E_NS1_11comp_targetILNS1_3genE2ELNS1_11target_archE906ELNS1_3gpuE6ELNS1_3repE0EEENS1_30default_config_static_selectorELNS0_4arch9wavefront6targetE0EEEvS10_
                                        ; -- End function
	.set _ZN7rocprim17ROCPRIM_400000_NS6detail17trampoline_kernelINS0_14default_configENS1_21merge_config_selectorINS0_5tupleIJffEEENS0_10empty_typeEEEZNS1_10merge_implIS3_NS0_12zip_iteratorINS5_IJN6thrust23THRUST_200600_302600_NS6detail15normal_iteratorINSC_10device_ptrIKfEEEESI_EEEEESK_NSA_INS5_IJNSE_INSF_IfEEEESM_EEEEEPS7_SP_SP_NSC_11hip_rocprim7__merge17predicate_wrapperIffNSC_4lessIfEEEEEE10hipError_tPvRmT0_T1_T2_T3_T4_T5_mmT6_P12ihipStream_tbEUlT_E_NS1_11comp_targetILNS1_3genE2ELNS1_11target_archE906ELNS1_3gpuE6ELNS1_3repE0EEENS1_30default_config_static_selectorELNS0_4arch9wavefront6targetE0EEEvS10_.num_vgpr, 0
	.set _ZN7rocprim17ROCPRIM_400000_NS6detail17trampoline_kernelINS0_14default_configENS1_21merge_config_selectorINS0_5tupleIJffEEENS0_10empty_typeEEEZNS1_10merge_implIS3_NS0_12zip_iteratorINS5_IJN6thrust23THRUST_200600_302600_NS6detail15normal_iteratorINSC_10device_ptrIKfEEEESI_EEEEESK_NSA_INS5_IJNSE_INSF_IfEEEESM_EEEEEPS7_SP_SP_NSC_11hip_rocprim7__merge17predicate_wrapperIffNSC_4lessIfEEEEEE10hipError_tPvRmT0_T1_T2_T3_T4_T5_mmT6_P12ihipStream_tbEUlT_E_NS1_11comp_targetILNS1_3genE2ELNS1_11target_archE906ELNS1_3gpuE6ELNS1_3repE0EEENS1_30default_config_static_selectorELNS0_4arch9wavefront6targetE0EEEvS10_.num_agpr, 0
	.set _ZN7rocprim17ROCPRIM_400000_NS6detail17trampoline_kernelINS0_14default_configENS1_21merge_config_selectorINS0_5tupleIJffEEENS0_10empty_typeEEEZNS1_10merge_implIS3_NS0_12zip_iteratorINS5_IJN6thrust23THRUST_200600_302600_NS6detail15normal_iteratorINSC_10device_ptrIKfEEEESI_EEEEESK_NSA_INS5_IJNSE_INSF_IfEEEESM_EEEEEPS7_SP_SP_NSC_11hip_rocprim7__merge17predicate_wrapperIffNSC_4lessIfEEEEEE10hipError_tPvRmT0_T1_T2_T3_T4_T5_mmT6_P12ihipStream_tbEUlT_E_NS1_11comp_targetILNS1_3genE2ELNS1_11target_archE906ELNS1_3gpuE6ELNS1_3repE0EEENS1_30default_config_static_selectorELNS0_4arch9wavefront6targetE0EEEvS10_.numbered_sgpr, 0
	.set _ZN7rocprim17ROCPRIM_400000_NS6detail17trampoline_kernelINS0_14default_configENS1_21merge_config_selectorINS0_5tupleIJffEEENS0_10empty_typeEEEZNS1_10merge_implIS3_NS0_12zip_iteratorINS5_IJN6thrust23THRUST_200600_302600_NS6detail15normal_iteratorINSC_10device_ptrIKfEEEESI_EEEEESK_NSA_INS5_IJNSE_INSF_IfEEEESM_EEEEEPS7_SP_SP_NSC_11hip_rocprim7__merge17predicate_wrapperIffNSC_4lessIfEEEEEE10hipError_tPvRmT0_T1_T2_T3_T4_T5_mmT6_P12ihipStream_tbEUlT_E_NS1_11comp_targetILNS1_3genE2ELNS1_11target_archE906ELNS1_3gpuE6ELNS1_3repE0EEENS1_30default_config_static_selectorELNS0_4arch9wavefront6targetE0EEEvS10_.num_named_barrier, 0
	.set _ZN7rocprim17ROCPRIM_400000_NS6detail17trampoline_kernelINS0_14default_configENS1_21merge_config_selectorINS0_5tupleIJffEEENS0_10empty_typeEEEZNS1_10merge_implIS3_NS0_12zip_iteratorINS5_IJN6thrust23THRUST_200600_302600_NS6detail15normal_iteratorINSC_10device_ptrIKfEEEESI_EEEEESK_NSA_INS5_IJNSE_INSF_IfEEEESM_EEEEEPS7_SP_SP_NSC_11hip_rocprim7__merge17predicate_wrapperIffNSC_4lessIfEEEEEE10hipError_tPvRmT0_T1_T2_T3_T4_T5_mmT6_P12ihipStream_tbEUlT_E_NS1_11comp_targetILNS1_3genE2ELNS1_11target_archE906ELNS1_3gpuE6ELNS1_3repE0EEENS1_30default_config_static_selectorELNS0_4arch9wavefront6targetE0EEEvS10_.private_seg_size, 0
	.set _ZN7rocprim17ROCPRIM_400000_NS6detail17trampoline_kernelINS0_14default_configENS1_21merge_config_selectorINS0_5tupleIJffEEENS0_10empty_typeEEEZNS1_10merge_implIS3_NS0_12zip_iteratorINS5_IJN6thrust23THRUST_200600_302600_NS6detail15normal_iteratorINSC_10device_ptrIKfEEEESI_EEEEESK_NSA_INS5_IJNSE_INSF_IfEEEESM_EEEEEPS7_SP_SP_NSC_11hip_rocprim7__merge17predicate_wrapperIffNSC_4lessIfEEEEEE10hipError_tPvRmT0_T1_T2_T3_T4_T5_mmT6_P12ihipStream_tbEUlT_E_NS1_11comp_targetILNS1_3genE2ELNS1_11target_archE906ELNS1_3gpuE6ELNS1_3repE0EEENS1_30default_config_static_selectorELNS0_4arch9wavefront6targetE0EEEvS10_.uses_vcc, 0
	.set _ZN7rocprim17ROCPRIM_400000_NS6detail17trampoline_kernelINS0_14default_configENS1_21merge_config_selectorINS0_5tupleIJffEEENS0_10empty_typeEEEZNS1_10merge_implIS3_NS0_12zip_iteratorINS5_IJN6thrust23THRUST_200600_302600_NS6detail15normal_iteratorINSC_10device_ptrIKfEEEESI_EEEEESK_NSA_INS5_IJNSE_INSF_IfEEEESM_EEEEEPS7_SP_SP_NSC_11hip_rocprim7__merge17predicate_wrapperIffNSC_4lessIfEEEEEE10hipError_tPvRmT0_T1_T2_T3_T4_T5_mmT6_P12ihipStream_tbEUlT_E_NS1_11comp_targetILNS1_3genE2ELNS1_11target_archE906ELNS1_3gpuE6ELNS1_3repE0EEENS1_30default_config_static_selectorELNS0_4arch9wavefront6targetE0EEEvS10_.uses_flat_scratch, 0
	.set _ZN7rocprim17ROCPRIM_400000_NS6detail17trampoline_kernelINS0_14default_configENS1_21merge_config_selectorINS0_5tupleIJffEEENS0_10empty_typeEEEZNS1_10merge_implIS3_NS0_12zip_iteratorINS5_IJN6thrust23THRUST_200600_302600_NS6detail15normal_iteratorINSC_10device_ptrIKfEEEESI_EEEEESK_NSA_INS5_IJNSE_INSF_IfEEEESM_EEEEEPS7_SP_SP_NSC_11hip_rocprim7__merge17predicate_wrapperIffNSC_4lessIfEEEEEE10hipError_tPvRmT0_T1_T2_T3_T4_T5_mmT6_P12ihipStream_tbEUlT_E_NS1_11comp_targetILNS1_3genE2ELNS1_11target_archE906ELNS1_3gpuE6ELNS1_3repE0EEENS1_30default_config_static_selectorELNS0_4arch9wavefront6targetE0EEEvS10_.has_dyn_sized_stack, 0
	.set _ZN7rocprim17ROCPRIM_400000_NS6detail17trampoline_kernelINS0_14default_configENS1_21merge_config_selectorINS0_5tupleIJffEEENS0_10empty_typeEEEZNS1_10merge_implIS3_NS0_12zip_iteratorINS5_IJN6thrust23THRUST_200600_302600_NS6detail15normal_iteratorINSC_10device_ptrIKfEEEESI_EEEEESK_NSA_INS5_IJNSE_INSF_IfEEEESM_EEEEEPS7_SP_SP_NSC_11hip_rocprim7__merge17predicate_wrapperIffNSC_4lessIfEEEEEE10hipError_tPvRmT0_T1_T2_T3_T4_T5_mmT6_P12ihipStream_tbEUlT_E_NS1_11comp_targetILNS1_3genE2ELNS1_11target_archE906ELNS1_3gpuE6ELNS1_3repE0EEENS1_30default_config_static_selectorELNS0_4arch9wavefront6targetE0EEEvS10_.has_recursion, 0
	.set _ZN7rocprim17ROCPRIM_400000_NS6detail17trampoline_kernelINS0_14default_configENS1_21merge_config_selectorINS0_5tupleIJffEEENS0_10empty_typeEEEZNS1_10merge_implIS3_NS0_12zip_iteratorINS5_IJN6thrust23THRUST_200600_302600_NS6detail15normal_iteratorINSC_10device_ptrIKfEEEESI_EEEEESK_NSA_INS5_IJNSE_INSF_IfEEEESM_EEEEEPS7_SP_SP_NSC_11hip_rocprim7__merge17predicate_wrapperIffNSC_4lessIfEEEEEE10hipError_tPvRmT0_T1_T2_T3_T4_T5_mmT6_P12ihipStream_tbEUlT_E_NS1_11comp_targetILNS1_3genE2ELNS1_11target_archE906ELNS1_3gpuE6ELNS1_3repE0EEENS1_30default_config_static_selectorELNS0_4arch9wavefront6targetE0EEEvS10_.has_indirect_call, 0
	.section	.AMDGPU.csdata,"",@progbits
; Kernel info:
; codeLenInByte = 0
; TotalNumSgprs: 0
; NumVgprs: 0
; ScratchSize: 0
; MemoryBound: 0
; FloatMode: 240
; IeeeMode: 1
; LDSByteSize: 0 bytes/workgroup (compile time only)
; SGPRBlocks: 0
; VGPRBlocks: 0
; NumSGPRsForWavesPerEU: 1
; NumVGPRsForWavesPerEU: 1
; Occupancy: 16
; WaveLimiterHint : 0
; COMPUTE_PGM_RSRC2:SCRATCH_EN: 0
; COMPUTE_PGM_RSRC2:USER_SGPR: 6
; COMPUTE_PGM_RSRC2:TRAP_HANDLER: 0
; COMPUTE_PGM_RSRC2:TGID_X_EN: 1
; COMPUTE_PGM_RSRC2:TGID_Y_EN: 0
; COMPUTE_PGM_RSRC2:TGID_Z_EN: 0
; COMPUTE_PGM_RSRC2:TIDIG_COMP_CNT: 0
	.section	.text._ZN7rocprim17ROCPRIM_400000_NS6detail17trampoline_kernelINS0_14default_configENS1_21merge_config_selectorINS0_5tupleIJffEEENS0_10empty_typeEEEZNS1_10merge_implIS3_NS0_12zip_iteratorINS5_IJN6thrust23THRUST_200600_302600_NS6detail15normal_iteratorINSC_10device_ptrIKfEEEESI_EEEEESK_NSA_INS5_IJNSE_INSF_IfEEEESM_EEEEEPS7_SP_SP_NSC_11hip_rocprim7__merge17predicate_wrapperIffNSC_4lessIfEEEEEE10hipError_tPvRmT0_T1_T2_T3_T4_T5_mmT6_P12ihipStream_tbEUlT_E_NS1_11comp_targetILNS1_3genE10ELNS1_11target_archE1201ELNS1_3gpuE5ELNS1_3repE0EEENS1_30default_config_static_selectorELNS0_4arch9wavefront6targetE0EEEvS10_,"axG",@progbits,_ZN7rocprim17ROCPRIM_400000_NS6detail17trampoline_kernelINS0_14default_configENS1_21merge_config_selectorINS0_5tupleIJffEEENS0_10empty_typeEEEZNS1_10merge_implIS3_NS0_12zip_iteratorINS5_IJN6thrust23THRUST_200600_302600_NS6detail15normal_iteratorINSC_10device_ptrIKfEEEESI_EEEEESK_NSA_INS5_IJNSE_INSF_IfEEEESM_EEEEEPS7_SP_SP_NSC_11hip_rocprim7__merge17predicate_wrapperIffNSC_4lessIfEEEEEE10hipError_tPvRmT0_T1_T2_T3_T4_T5_mmT6_P12ihipStream_tbEUlT_E_NS1_11comp_targetILNS1_3genE10ELNS1_11target_archE1201ELNS1_3gpuE5ELNS1_3repE0EEENS1_30default_config_static_selectorELNS0_4arch9wavefront6targetE0EEEvS10_,comdat
	.protected	_ZN7rocprim17ROCPRIM_400000_NS6detail17trampoline_kernelINS0_14default_configENS1_21merge_config_selectorINS0_5tupleIJffEEENS0_10empty_typeEEEZNS1_10merge_implIS3_NS0_12zip_iteratorINS5_IJN6thrust23THRUST_200600_302600_NS6detail15normal_iteratorINSC_10device_ptrIKfEEEESI_EEEEESK_NSA_INS5_IJNSE_INSF_IfEEEESM_EEEEEPS7_SP_SP_NSC_11hip_rocprim7__merge17predicate_wrapperIffNSC_4lessIfEEEEEE10hipError_tPvRmT0_T1_T2_T3_T4_T5_mmT6_P12ihipStream_tbEUlT_E_NS1_11comp_targetILNS1_3genE10ELNS1_11target_archE1201ELNS1_3gpuE5ELNS1_3repE0EEENS1_30default_config_static_selectorELNS0_4arch9wavefront6targetE0EEEvS10_ ; -- Begin function _ZN7rocprim17ROCPRIM_400000_NS6detail17trampoline_kernelINS0_14default_configENS1_21merge_config_selectorINS0_5tupleIJffEEENS0_10empty_typeEEEZNS1_10merge_implIS3_NS0_12zip_iteratorINS5_IJN6thrust23THRUST_200600_302600_NS6detail15normal_iteratorINSC_10device_ptrIKfEEEESI_EEEEESK_NSA_INS5_IJNSE_INSF_IfEEEESM_EEEEEPS7_SP_SP_NSC_11hip_rocprim7__merge17predicate_wrapperIffNSC_4lessIfEEEEEE10hipError_tPvRmT0_T1_T2_T3_T4_T5_mmT6_P12ihipStream_tbEUlT_E_NS1_11comp_targetILNS1_3genE10ELNS1_11target_archE1201ELNS1_3gpuE5ELNS1_3repE0EEENS1_30default_config_static_selectorELNS0_4arch9wavefront6targetE0EEEvS10_
	.globl	_ZN7rocprim17ROCPRIM_400000_NS6detail17trampoline_kernelINS0_14default_configENS1_21merge_config_selectorINS0_5tupleIJffEEENS0_10empty_typeEEEZNS1_10merge_implIS3_NS0_12zip_iteratorINS5_IJN6thrust23THRUST_200600_302600_NS6detail15normal_iteratorINSC_10device_ptrIKfEEEESI_EEEEESK_NSA_INS5_IJNSE_INSF_IfEEEESM_EEEEEPS7_SP_SP_NSC_11hip_rocprim7__merge17predicate_wrapperIffNSC_4lessIfEEEEEE10hipError_tPvRmT0_T1_T2_T3_T4_T5_mmT6_P12ihipStream_tbEUlT_E_NS1_11comp_targetILNS1_3genE10ELNS1_11target_archE1201ELNS1_3gpuE5ELNS1_3repE0EEENS1_30default_config_static_selectorELNS0_4arch9wavefront6targetE0EEEvS10_
	.p2align	8
	.type	_ZN7rocprim17ROCPRIM_400000_NS6detail17trampoline_kernelINS0_14default_configENS1_21merge_config_selectorINS0_5tupleIJffEEENS0_10empty_typeEEEZNS1_10merge_implIS3_NS0_12zip_iteratorINS5_IJN6thrust23THRUST_200600_302600_NS6detail15normal_iteratorINSC_10device_ptrIKfEEEESI_EEEEESK_NSA_INS5_IJNSE_INSF_IfEEEESM_EEEEEPS7_SP_SP_NSC_11hip_rocprim7__merge17predicate_wrapperIffNSC_4lessIfEEEEEE10hipError_tPvRmT0_T1_T2_T3_T4_T5_mmT6_P12ihipStream_tbEUlT_E_NS1_11comp_targetILNS1_3genE10ELNS1_11target_archE1201ELNS1_3gpuE5ELNS1_3repE0EEENS1_30default_config_static_selectorELNS0_4arch9wavefront6targetE0EEEvS10_,@function
_ZN7rocprim17ROCPRIM_400000_NS6detail17trampoline_kernelINS0_14default_configENS1_21merge_config_selectorINS0_5tupleIJffEEENS0_10empty_typeEEEZNS1_10merge_implIS3_NS0_12zip_iteratorINS5_IJN6thrust23THRUST_200600_302600_NS6detail15normal_iteratorINSC_10device_ptrIKfEEEESI_EEEEESK_NSA_INS5_IJNSE_INSF_IfEEEESM_EEEEEPS7_SP_SP_NSC_11hip_rocprim7__merge17predicate_wrapperIffNSC_4lessIfEEEEEE10hipError_tPvRmT0_T1_T2_T3_T4_T5_mmT6_P12ihipStream_tbEUlT_E_NS1_11comp_targetILNS1_3genE10ELNS1_11target_archE1201ELNS1_3gpuE5ELNS1_3repE0EEENS1_30default_config_static_selectorELNS0_4arch9wavefront6targetE0EEEvS10_: ; @_ZN7rocprim17ROCPRIM_400000_NS6detail17trampoline_kernelINS0_14default_configENS1_21merge_config_selectorINS0_5tupleIJffEEENS0_10empty_typeEEEZNS1_10merge_implIS3_NS0_12zip_iteratorINS5_IJN6thrust23THRUST_200600_302600_NS6detail15normal_iteratorINSC_10device_ptrIKfEEEESI_EEEEESK_NSA_INS5_IJNSE_INSF_IfEEEESM_EEEEEPS7_SP_SP_NSC_11hip_rocprim7__merge17predicate_wrapperIffNSC_4lessIfEEEEEE10hipError_tPvRmT0_T1_T2_T3_T4_T5_mmT6_P12ihipStream_tbEUlT_E_NS1_11comp_targetILNS1_3genE10ELNS1_11target_archE1201ELNS1_3gpuE5ELNS1_3repE0EEENS1_30default_config_static_selectorELNS0_4arch9wavefront6targetE0EEEvS10_
; %bb.0:
	.section	.rodata,"a",@progbits
	.p2align	6, 0x0
	.amdhsa_kernel _ZN7rocprim17ROCPRIM_400000_NS6detail17trampoline_kernelINS0_14default_configENS1_21merge_config_selectorINS0_5tupleIJffEEENS0_10empty_typeEEEZNS1_10merge_implIS3_NS0_12zip_iteratorINS5_IJN6thrust23THRUST_200600_302600_NS6detail15normal_iteratorINSC_10device_ptrIKfEEEESI_EEEEESK_NSA_INS5_IJNSE_INSF_IfEEEESM_EEEEEPS7_SP_SP_NSC_11hip_rocprim7__merge17predicate_wrapperIffNSC_4lessIfEEEEEE10hipError_tPvRmT0_T1_T2_T3_T4_T5_mmT6_P12ihipStream_tbEUlT_E_NS1_11comp_targetILNS1_3genE10ELNS1_11target_archE1201ELNS1_3gpuE5ELNS1_3repE0EEENS1_30default_config_static_selectorELNS0_4arch9wavefront6targetE0EEEvS10_
		.amdhsa_group_segment_fixed_size 0
		.amdhsa_private_segment_fixed_size 0
		.amdhsa_kernarg_size 64
		.amdhsa_user_sgpr_count 6
		.amdhsa_user_sgpr_private_segment_buffer 1
		.amdhsa_user_sgpr_dispatch_ptr 0
		.amdhsa_user_sgpr_queue_ptr 0
		.amdhsa_user_sgpr_kernarg_segment_ptr 1
		.amdhsa_user_sgpr_dispatch_id 0
		.amdhsa_user_sgpr_flat_scratch_init 0
		.amdhsa_user_sgpr_private_segment_size 0
		.amdhsa_wavefront_size32 1
		.amdhsa_uses_dynamic_stack 0
		.amdhsa_system_sgpr_private_segment_wavefront_offset 0
		.amdhsa_system_sgpr_workgroup_id_x 1
		.amdhsa_system_sgpr_workgroup_id_y 0
		.amdhsa_system_sgpr_workgroup_id_z 0
		.amdhsa_system_sgpr_workgroup_info 0
		.amdhsa_system_vgpr_workitem_id 0
		.amdhsa_next_free_vgpr 1
		.amdhsa_next_free_sgpr 1
		.amdhsa_reserve_vcc 0
		.amdhsa_reserve_flat_scratch 0
		.amdhsa_float_round_mode_32 0
		.amdhsa_float_round_mode_16_64 0
		.amdhsa_float_denorm_mode_32 3
		.amdhsa_float_denorm_mode_16_64 3
		.amdhsa_dx10_clamp 1
		.amdhsa_ieee_mode 1
		.amdhsa_fp16_overflow 0
		.amdhsa_workgroup_processor_mode 1
		.amdhsa_memory_ordered 1
		.amdhsa_forward_progress 1
		.amdhsa_shared_vgpr_count 0
		.amdhsa_exception_fp_ieee_invalid_op 0
		.amdhsa_exception_fp_denorm_src 0
		.amdhsa_exception_fp_ieee_div_zero 0
		.amdhsa_exception_fp_ieee_overflow 0
		.amdhsa_exception_fp_ieee_underflow 0
		.amdhsa_exception_fp_ieee_inexact 0
		.amdhsa_exception_int_div_zero 0
	.end_amdhsa_kernel
	.section	.text._ZN7rocprim17ROCPRIM_400000_NS6detail17trampoline_kernelINS0_14default_configENS1_21merge_config_selectorINS0_5tupleIJffEEENS0_10empty_typeEEEZNS1_10merge_implIS3_NS0_12zip_iteratorINS5_IJN6thrust23THRUST_200600_302600_NS6detail15normal_iteratorINSC_10device_ptrIKfEEEESI_EEEEESK_NSA_INS5_IJNSE_INSF_IfEEEESM_EEEEEPS7_SP_SP_NSC_11hip_rocprim7__merge17predicate_wrapperIffNSC_4lessIfEEEEEE10hipError_tPvRmT0_T1_T2_T3_T4_T5_mmT6_P12ihipStream_tbEUlT_E_NS1_11comp_targetILNS1_3genE10ELNS1_11target_archE1201ELNS1_3gpuE5ELNS1_3repE0EEENS1_30default_config_static_selectorELNS0_4arch9wavefront6targetE0EEEvS10_,"axG",@progbits,_ZN7rocprim17ROCPRIM_400000_NS6detail17trampoline_kernelINS0_14default_configENS1_21merge_config_selectorINS0_5tupleIJffEEENS0_10empty_typeEEEZNS1_10merge_implIS3_NS0_12zip_iteratorINS5_IJN6thrust23THRUST_200600_302600_NS6detail15normal_iteratorINSC_10device_ptrIKfEEEESI_EEEEESK_NSA_INS5_IJNSE_INSF_IfEEEESM_EEEEEPS7_SP_SP_NSC_11hip_rocprim7__merge17predicate_wrapperIffNSC_4lessIfEEEEEE10hipError_tPvRmT0_T1_T2_T3_T4_T5_mmT6_P12ihipStream_tbEUlT_E_NS1_11comp_targetILNS1_3genE10ELNS1_11target_archE1201ELNS1_3gpuE5ELNS1_3repE0EEENS1_30default_config_static_selectorELNS0_4arch9wavefront6targetE0EEEvS10_,comdat
.Lfunc_end64:
	.size	_ZN7rocprim17ROCPRIM_400000_NS6detail17trampoline_kernelINS0_14default_configENS1_21merge_config_selectorINS0_5tupleIJffEEENS0_10empty_typeEEEZNS1_10merge_implIS3_NS0_12zip_iteratorINS5_IJN6thrust23THRUST_200600_302600_NS6detail15normal_iteratorINSC_10device_ptrIKfEEEESI_EEEEESK_NSA_INS5_IJNSE_INSF_IfEEEESM_EEEEEPS7_SP_SP_NSC_11hip_rocprim7__merge17predicate_wrapperIffNSC_4lessIfEEEEEE10hipError_tPvRmT0_T1_T2_T3_T4_T5_mmT6_P12ihipStream_tbEUlT_E_NS1_11comp_targetILNS1_3genE10ELNS1_11target_archE1201ELNS1_3gpuE5ELNS1_3repE0EEENS1_30default_config_static_selectorELNS0_4arch9wavefront6targetE0EEEvS10_, .Lfunc_end64-_ZN7rocprim17ROCPRIM_400000_NS6detail17trampoline_kernelINS0_14default_configENS1_21merge_config_selectorINS0_5tupleIJffEEENS0_10empty_typeEEEZNS1_10merge_implIS3_NS0_12zip_iteratorINS5_IJN6thrust23THRUST_200600_302600_NS6detail15normal_iteratorINSC_10device_ptrIKfEEEESI_EEEEESK_NSA_INS5_IJNSE_INSF_IfEEEESM_EEEEEPS7_SP_SP_NSC_11hip_rocprim7__merge17predicate_wrapperIffNSC_4lessIfEEEEEE10hipError_tPvRmT0_T1_T2_T3_T4_T5_mmT6_P12ihipStream_tbEUlT_E_NS1_11comp_targetILNS1_3genE10ELNS1_11target_archE1201ELNS1_3gpuE5ELNS1_3repE0EEENS1_30default_config_static_selectorELNS0_4arch9wavefront6targetE0EEEvS10_
                                        ; -- End function
	.set _ZN7rocprim17ROCPRIM_400000_NS6detail17trampoline_kernelINS0_14default_configENS1_21merge_config_selectorINS0_5tupleIJffEEENS0_10empty_typeEEEZNS1_10merge_implIS3_NS0_12zip_iteratorINS5_IJN6thrust23THRUST_200600_302600_NS6detail15normal_iteratorINSC_10device_ptrIKfEEEESI_EEEEESK_NSA_INS5_IJNSE_INSF_IfEEEESM_EEEEEPS7_SP_SP_NSC_11hip_rocprim7__merge17predicate_wrapperIffNSC_4lessIfEEEEEE10hipError_tPvRmT0_T1_T2_T3_T4_T5_mmT6_P12ihipStream_tbEUlT_E_NS1_11comp_targetILNS1_3genE10ELNS1_11target_archE1201ELNS1_3gpuE5ELNS1_3repE0EEENS1_30default_config_static_selectorELNS0_4arch9wavefront6targetE0EEEvS10_.num_vgpr, 0
	.set _ZN7rocprim17ROCPRIM_400000_NS6detail17trampoline_kernelINS0_14default_configENS1_21merge_config_selectorINS0_5tupleIJffEEENS0_10empty_typeEEEZNS1_10merge_implIS3_NS0_12zip_iteratorINS5_IJN6thrust23THRUST_200600_302600_NS6detail15normal_iteratorINSC_10device_ptrIKfEEEESI_EEEEESK_NSA_INS5_IJNSE_INSF_IfEEEESM_EEEEEPS7_SP_SP_NSC_11hip_rocprim7__merge17predicate_wrapperIffNSC_4lessIfEEEEEE10hipError_tPvRmT0_T1_T2_T3_T4_T5_mmT6_P12ihipStream_tbEUlT_E_NS1_11comp_targetILNS1_3genE10ELNS1_11target_archE1201ELNS1_3gpuE5ELNS1_3repE0EEENS1_30default_config_static_selectorELNS0_4arch9wavefront6targetE0EEEvS10_.num_agpr, 0
	.set _ZN7rocprim17ROCPRIM_400000_NS6detail17trampoline_kernelINS0_14default_configENS1_21merge_config_selectorINS0_5tupleIJffEEENS0_10empty_typeEEEZNS1_10merge_implIS3_NS0_12zip_iteratorINS5_IJN6thrust23THRUST_200600_302600_NS6detail15normal_iteratorINSC_10device_ptrIKfEEEESI_EEEEESK_NSA_INS5_IJNSE_INSF_IfEEEESM_EEEEEPS7_SP_SP_NSC_11hip_rocprim7__merge17predicate_wrapperIffNSC_4lessIfEEEEEE10hipError_tPvRmT0_T1_T2_T3_T4_T5_mmT6_P12ihipStream_tbEUlT_E_NS1_11comp_targetILNS1_3genE10ELNS1_11target_archE1201ELNS1_3gpuE5ELNS1_3repE0EEENS1_30default_config_static_selectorELNS0_4arch9wavefront6targetE0EEEvS10_.numbered_sgpr, 0
	.set _ZN7rocprim17ROCPRIM_400000_NS6detail17trampoline_kernelINS0_14default_configENS1_21merge_config_selectorINS0_5tupleIJffEEENS0_10empty_typeEEEZNS1_10merge_implIS3_NS0_12zip_iteratorINS5_IJN6thrust23THRUST_200600_302600_NS6detail15normal_iteratorINSC_10device_ptrIKfEEEESI_EEEEESK_NSA_INS5_IJNSE_INSF_IfEEEESM_EEEEEPS7_SP_SP_NSC_11hip_rocprim7__merge17predicate_wrapperIffNSC_4lessIfEEEEEE10hipError_tPvRmT0_T1_T2_T3_T4_T5_mmT6_P12ihipStream_tbEUlT_E_NS1_11comp_targetILNS1_3genE10ELNS1_11target_archE1201ELNS1_3gpuE5ELNS1_3repE0EEENS1_30default_config_static_selectorELNS0_4arch9wavefront6targetE0EEEvS10_.num_named_barrier, 0
	.set _ZN7rocprim17ROCPRIM_400000_NS6detail17trampoline_kernelINS0_14default_configENS1_21merge_config_selectorINS0_5tupleIJffEEENS0_10empty_typeEEEZNS1_10merge_implIS3_NS0_12zip_iteratorINS5_IJN6thrust23THRUST_200600_302600_NS6detail15normal_iteratorINSC_10device_ptrIKfEEEESI_EEEEESK_NSA_INS5_IJNSE_INSF_IfEEEESM_EEEEEPS7_SP_SP_NSC_11hip_rocprim7__merge17predicate_wrapperIffNSC_4lessIfEEEEEE10hipError_tPvRmT0_T1_T2_T3_T4_T5_mmT6_P12ihipStream_tbEUlT_E_NS1_11comp_targetILNS1_3genE10ELNS1_11target_archE1201ELNS1_3gpuE5ELNS1_3repE0EEENS1_30default_config_static_selectorELNS0_4arch9wavefront6targetE0EEEvS10_.private_seg_size, 0
	.set _ZN7rocprim17ROCPRIM_400000_NS6detail17trampoline_kernelINS0_14default_configENS1_21merge_config_selectorINS0_5tupleIJffEEENS0_10empty_typeEEEZNS1_10merge_implIS3_NS0_12zip_iteratorINS5_IJN6thrust23THRUST_200600_302600_NS6detail15normal_iteratorINSC_10device_ptrIKfEEEESI_EEEEESK_NSA_INS5_IJNSE_INSF_IfEEEESM_EEEEEPS7_SP_SP_NSC_11hip_rocprim7__merge17predicate_wrapperIffNSC_4lessIfEEEEEE10hipError_tPvRmT0_T1_T2_T3_T4_T5_mmT6_P12ihipStream_tbEUlT_E_NS1_11comp_targetILNS1_3genE10ELNS1_11target_archE1201ELNS1_3gpuE5ELNS1_3repE0EEENS1_30default_config_static_selectorELNS0_4arch9wavefront6targetE0EEEvS10_.uses_vcc, 0
	.set _ZN7rocprim17ROCPRIM_400000_NS6detail17trampoline_kernelINS0_14default_configENS1_21merge_config_selectorINS0_5tupleIJffEEENS0_10empty_typeEEEZNS1_10merge_implIS3_NS0_12zip_iteratorINS5_IJN6thrust23THRUST_200600_302600_NS6detail15normal_iteratorINSC_10device_ptrIKfEEEESI_EEEEESK_NSA_INS5_IJNSE_INSF_IfEEEESM_EEEEEPS7_SP_SP_NSC_11hip_rocprim7__merge17predicate_wrapperIffNSC_4lessIfEEEEEE10hipError_tPvRmT0_T1_T2_T3_T4_T5_mmT6_P12ihipStream_tbEUlT_E_NS1_11comp_targetILNS1_3genE10ELNS1_11target_archE1201ELNS1_3gpuE5ELNS1_3repE0EEENS1_30default_config_static_selectorELNS0_4arch9wavefront6targetE0EEEvS10_.uses_flat_scratch, 0
	.set _ZN7rocprim17ROCPRIM_400000_NS6detail17trampoline_kernelINS0_14default_configENS1_21merge_config_selectorINS0_5tupleIJffEEENS0_10empty_typeEEEZNS1_10merge_implIS3_NS0_12zip_iteratorINS5_IJN6thrust23THRUST_200600_302600_NS6detail15normal_iteratorINSC_10device_ptrIKfEEEESI_EEEEESK_NSA_INS5_IJNSE_INSF_IfEEEESM_EEEEEPS7_SP_SP_NSC_11hip_rocprim7__merge17predicate_wrapperIffNSC_4lessIfEEEEEE10hipError_tPvRmT0_T1_T2_T3_T4_T5_mmT6_P12ihipStream_tbEUlT_E_NS1_11comp_targetILNS1_3genE10ELNS1_11target_archE1201ELNS1_3gpuE5ELNS1_3repE0EEENS1_30default_config_static_selectorELNS0_4arch9wavefront6targetE0EEEvS10_.has_dyn_sized_stack, 0
	.set _ZN7rocprim17ROCPRIM_400000_NS6detail17trampoline_kernelINS0_14default_configENS1_21merge_config_selectorINS0_5tupleIJffEEENS0_10empty_typeEEEZNS1_10merge_implIS3_NS0_12zip_iteratorINS5_IJN6thrust23THRUST_200600_302600_NS6detail15normal_iteratorINSC_10device_ptrIKfEEEESI_EEEEESK_NSA_INS5_IJNSE_INSF_IfEEEESM_EEEEEPS7_SP_SP_NSC_11hip_rocprim7__merge17predicate_wrapperIffNSC_4lessIfEEEEEE10hipError_tPvRmT0_T1_T2_T3_T4_T5_mmT6_P12ihipStream_tbEUlT_E_NS1_11comp_targetILNS1_3genE10ELNS1_11target_archE1201ELNS1_3gpuE5ELNS1_3repE0EEENS1_30default_config_static_selectorELNS0_4arch9wavefront6targetE0EEEvS10_.has_recursion, 0
	.set _ZN7rocprim17ROCPRIM_400000_NS6detail17trampoline_kernelINS0_14default_configENS1_21merge_config_selectorINS0_5tupleIJffEEENS0_10empty_typeEEEZNS1_10merge_implIS3_NS0_12zip_iteratorINS5_IJN6thrust23THRUST_200600_302600_NS6detail15normal_iteratorINSC_10device_ptrIKfEEEESI_EEEEESK_NSA_INS5_IJNSE_INSF_IfEEEESM_EEEEEPS7_SP_SP_NSC_11hip_rocprim7__merge17predicate_wrapperIffNSC_4lessIfEEEEEE10hipError_tPvRmT0_T1_T2_T3_T4_T5_mmT6_P12ihipStream_tbEUlT_E_NS1_11comp_targetILNS1_3genE10ELNS1_11target_archE1201ELNS1_3gpuE5ELNS1_3repE0EEENS1_30default_config_static_selectorELNS0_4arch9wavefront6targetE0EEEvS10_.has_indirect_call, 0
	.section	.AMDGPU.csdata,"",@progbits
; Kernel info:
; codeLenInByte = 0
; TotalNumSgprs: 0
; NumVgprs: 0
; ScratchSize: 0
; MemoryBound: 0
; FloatMode: 240
; IeeeMode: 1
; LDSByteSize: 0 bytes/workgroup (compile time only)
; SGPRBlocks: 0
; VGPRBlocks: 0
; NumSGPRsForWavesPerEU: 1
; NumVGPRsForWavesPerEU: 1
; Occupancy: 16
; WaveLimiterHint : 0
; COMPUTE_PGM_RSRC2:SCRATCH_EN: 0
; COMPUTE_PGM_RSRC2:USER_SGPR: 6
; COMPUTE_PGM_RSRC2:TRAP_HANDLER: 0
; COMPUTE_PGM_RSRC2:TGID_X_EN: 1
; COMPUTE_PGM_RSRC2:TGID_Y_EN: 0
; COMPUTE_PGM_RSRC2:TGID_Z_EN: 0
; COMPUTE_PGM_RSRC2:TIDIG_COMP_CNT: 0
	.section	.text._ZN7rocprim17ROCPRIM_400000_NS6detail17trampoline_kernelINS0_14default_configENS1_21merge_config_selectorINS0_5tupleIJffEEENS0_10empty_typeEEEZNS1_10merge_implIS3_NS0_12zip_iteratorINS5_IJN6thrust23THRUST_200600_302600_NS6detail15normal_iteratorINSC_10device_ptrIKfEEEESI_EEEEESK_NSA_INS5_IJNSE_INSF_IfEEEESM_EEEEEPS7_SP_SP_NSC_11hip_rocprim7__merge17predicate_wrapperIffNSC_4lessIfEEEEEE10hipError_tPvRmT0_T1_T2_T3_T4_T5_mmT6_P12ihipStream_tbEUlT_E_NS1_11comp_targetILNS1_3genE10ELNS1_11target_archE1200ELNS1_3gpuE4ELNS1_3repE0EEENS1_30default_config_static_selectorELNS0_4arch9wavefront6targetE0EEEvS10_,"axG",@progbits,_ZN7rocprim17ROCPRIM_400000_NS6detail17trampoline_kernelINS0_14default_configENS1_21merge_config_selectorINS0_5tupleIJffEEENS0_10empty_typeEEEZNS1_10merge_implIS3_NS0_12zip_iteratorINS5_IJN6thrust23THRUST_200600_302600_NS6detail15normal_iteratorINSC_10device_ptrIKfEEEESI_EEEEESK_NSA_INS5_IJNSE_INSF_IfEEEESM_EEEEEPS7_SP_SP_NSC_11hip_rocprim7__merge17predicate_wrapperIffNSC_4lessIfEEEEEE10hipError_tPvRmT0_T1_T2_T3_T4_T5_mmT6_P12ihipStream_tbEUlT_E_NS1_11comp_targetILNS1_3genE10ELNS1_11target_archE1200ELNS1_3gpuE4ELNS1_3repE0EEENS1_30default_config_static_selectorELNS0_4arch9wavefront6targetE0EEEvS10_,comdat
	.protected	_ZN7rocprim17ROCPRIM_400000_NS6detail17trampoline_kernelINS0_14default_configENS1_21merge_config_selectorINS0_5tupleIJffEEENS0_10empty_typeEEEZNS1_10merge_implIS3_NS0_12zip_iteratorINS5_IJN6thrust23THRUST_200600_302600_NS6detail15normal_iteratorINSC_10device_ptrIKfEEEESI_EEEEESK_NSA_INS5_IJNSE_INSF_IfEEEESM_EEEEEPS7_SP_SP_NSC_11hip_rocprim7__merge17predicate_wrapperIffNSC_4lessIfEEEEEE10hipError_tPvRmT0_T1_T2_T3_T4_T5_mmT6_P12ihipStream_tbEUlT_E_NS1_11comp_targetILNS1_3genE10ELNS1_11target_archE1200ELNS1_3gpuE4ELNS1_3repE0EEENS1_30default_config_static_selectorELNS0_4arch9wavefront6targetE0EEEvS10_ ; -- Begin function _ZN7rocprim17ROCPRIM_400000_NS6detail17trampoline_kernelINS0_14default_configENS1_21merge_config_selectorINS0_5tupleIJffEEENS0_10empty_typeEEEZNS1_10merge_implIS3_NS0_12zip_iteratorINS5_IJN6thrust23THRUST_200600_302600_NS6detail15normal_iteratorINSC_10device_ptrIKfEEEESI_EEEEESK_NSA_INS5_IJNSE_INSF_IfEEEESM_EEEEEPS7_SP_SP_NSC_11hip_rocprim7__merge17predicate_wrapperIffNSC_4lessIfEEEEEE10hipError_tPvRmT0_T1_T2_T3_T4_T5_mmT6_P12ihipStream_tbEUlT_E_NS1_11comp_targetILNS1_3genE10ELNS1_11target_archE1200ELNS1_3gpuE4ELNS1_3repE0EEENS1_30default_config_static_selectorELNS0_4arch9wavefront6targetE0EEEvS10_
	.globl	_ZN7rocprim17ROCPRIM_400000_NS6detail17trampoline_kernelINS0_14default_configENS1_21merge_config_selectorINS0_5tupleIJffEEENS0_10empty_typeEEEZNS1_10merge_implIS3_NS0_12zip_iteratorINS5_IJN6thrust23THRUST_200600_302600_NS6detail15normal_iteratorINSC_10device_ptrIKfEEEESI_EEEEESK_NSA_INS5_IJNSE_INSF_IfEEEESM_EEEEEPS7_SP_SP_NSC_11hip_rocprim7__merge17predicate_wrapperIffNSC_4lessIfEEEEEE10hipError_tPvRmT0_T1_T2_T3_T4_T5_mmT6_P12ihipStream_tbEUlT_E_NS1_11comp_targetILNS1_3genE10ELNS1_11target_archE1200ELNS1_3gpuE4ELNS1_3repE0EEENS1_30default_config_static_selectorELNS0_4arch9wavefront6targetE0EEEvS10_
	.p2align	8
	.type	_ZN7rocprim17ROCPRIM_400000_NS6detail17trampoline_kernelINS0_14default_configENS1_21merge_config_selectorINS0_5tupleIJffEEENS0_10empty_typeEEEZNS1_10merge_implIS3_NS0_12zip_iteratorINS5_IJN6thrust23THRUST_200600_302600_NS6detail15normal_iteratorINSC_10device_ptrIKfEEEESI_EEEEESK_NSA_INS5_IJNSE_INSF_IfEEEESM_EEEEEPS7_SP_SP_NSC_11hip_rocprim7__merge17predicate_wrapperIffNSC_4lessIfEEEEEE10hipError_tPvRmT0_T1_T2_T3_T4_T5_mmT6_P12ihipStream_tbEUlT_E_NS1_11comp_targetILNS1_3genE10ELNS1_11target_archE1200ELNS1_3gpuE4ELNS1_3repE0EEENS1_30default_config_static_selectorELNS0_4arch9wavefront6targetE0EEEvS10_,@function
_ZN7rocprim17ROCPRIM_400000_NS6detail17trampoline_kernelINS0_14default_configENS1_21merge_config_selectorINS0_5tupleIJffEEENS0_10empty_typeEEEZNS1_10merge_implIS3_NS0_12zip_iteratorINS5_IJN6thrust23THRUST_200600_302600_NS6detail15normal_iteratorINSC_10device_ptrIKfEEEESI_EEEEESK_NSA_INS5_IJNSE_INSF_IfEEEESM_EEEEEPS7_SP_SP_NSC_11hip_rocprim7__merge17predicate_wrapperIffNSC_4lessIfEEEEEE10hipError_tPvRmT0_T1_T2_T3_T4_T5_mmT6_P12ihipStream_tbEUlT_E_NS1_11comp_targetILNS1_3genE10ELNS1_11target_archE1200ELNS1_3gpuE4ELNS1_3repE0EEENS1_30default_config_static_selectorELNS0_4arch9wavefront6targetE0EEEvS10_: ; @_ZN7rocprim17ROCPRIM_400000_NS6detail17trampoline_kernelINS0_14default_configENS1_21merge_config_selectorINS0_5tupleIJffEEENS0_10empty_typeEEEZNS1_10merge_implIS3_NS0_12zip_iteratorINS5_IJN6thrust23THRUST_200600_302600_NS6detail15normal_iteratorINSC_10device_ptrIKfEEEESI_EEEEESK_NSA_INS5_IJNSE_INSF_IfEEEESM_EEEEEPS7_SP_SP_NSC_11hip_rocprim7__merge17predicate_wrapperIffNSC_4lessIfEEEEEE10hipError_tPvRmT0_T1_T2_T3_T4_T5_mmT6_P12ihipStream_tbEUlT_E_NS1_11comp_targetILNS1_3genE10ELNS1_11target_archE1200ELNS1_3gpuE4ELNS1_3repE0EEENS1_30default_config_static_selectorELNS0_4arch9wavefront6targetE0EEEvS10_
; %bb.0:
	.section	.rodata,"a",@progbits
	.p2align	6, 0x0
	.amdhsa_kernel _ZN7rocprim17ROCPRIM_400000_NS6detail17trampoline_kernelINS0_14default_configENS1_21merge_config_selectorINS0_5tupleIJffEEENS0_10empty_typeEEEZNS1_10merge_implIS3_NS0_12zip_iteratorINS5_IJN6thrust23THRUST_200600_302600_NS6detail15normal_iteratorINSC_10device_ptrIKfEEEESI_EEEEESK_NSA_INS5_IJNSE_INSF_IfEEEESM_EEEEEPS7_SP_SP_NSC_11hip_rocprim7__merge17predicate_wrapperIffNSC_4lessIfEEEEEE10hipError_tPvRmT0_T1_T2_T3_T4_T5_mmT6_P12ihipStream_tbEUlT_E_NS1_11comp_targetILNS1_3genE10ELNS1_11target_archE1200ELNS1_3gpuE4ELNS1_3repE0EEENS1_30default_config_static_selectorELNS0_4arch9wavefront6targetE0EEEvS10_
		.amdhsa_group_segment_fixed_size 0
		.amdhsa_private_segment_fixed_size 0
		.amdhsa_kernarg_size 64
		.amdhsa_user_sgpr_count 6
		.amdhsa_user_sgpr_private_segment_buffer 1
		.amdhsa_user_sgpr_dispatch_ptr 0
		.amdhsa_user_sgpr_queue_ptr 0
		.amdhsa_user_sgpr_kernarg_segment_ptr 1
		.amdhsa_user_sgpr_dispatch_id 0
		.amdhsa_user_sgpr_flat_scratch_init 0
		.amdhsa_user_sgpr_private_segment_size 0
		.amdhsa_wavefront_size32 1
		.amdhsa_uses_dynamic_stack 0
		.amdhsa_system_sgpr_private_segment_wavefront_offset 0
		.amdhsa_system_sgpr_workgroup_id_x 1
		.amdhsa_system_sgpr_workgroup_id_y 0
		.amdhsa_system_sgpr_workgroup_id_z 0
		.amdhsa_system_sgpr_workgroup_info 0
		.amdhsa_system_vgpr_workitem_id 0
		.amdhsa_next_free_vgpr 1
		.amdhsa_next_free_sgpr 1
		.amdhsa_reserve_vcc 0
		.amdhsa_reserve_flat_scratch 0
		.amdhsa_float_round_mode_32 0
		.amdhsa_float_round_mode_16_64 0
		.amdhsa_float_denorm_mode_32 3
		.amdhsa_float_denorm_mode_16_64 3
		.amdhsa_dx10_clamp 1
		.amdhsa_ieee_mode 1
		.amdhsa_fp16_overflow 0
		.amdhsa_workgroup_processor_mode 1
		.amdhsa_memory_ordered 1
		.amdhsa_forward_progress 1
		.amdhsa_shared_vgpr_count 0
		.amdhsa_exception_fp_ieee_invalid_op 0
		.amdhsa_exception_fp_denorm_src 0
		.amdhsa_exception_fp_ieee_div_zero 0
		.amdhsa_exception_fp_ieee_overflow 0
		.amdhsa_exception_fp_ieee_underflow 0
		.amdhsa_exception_fp_ieee_inexact 0
		.amdhsa_exception_int_div_zero 0
	.end_amdhsa_kernel
	.section	.text._ZN7rocprim17ROCPRIM_400000_NS6detail17trampoline_kernelINS0_14default_configENS1_21merge_config_selectorINS0_5tupleIJffEEENS0_10empty_typeEEEZNS1_10merge_implIS3_NS0_12zip_iteratorINS5_IJN6thrust23THRUST_200600_302600_NS6detail15normal_iteratorINSC_10device_ptrIKfEEEESI_EEEEESK_NSA_INS5_IJNSE_INSF_IfEEEESM_EEEEEPS7_SP_SP_NSC_11hip_rocprim7__merge17predicate_wrapperIffNSC_4lessIfEEEEEE10hipError_tPvRmT0_T1_T2_T3_T4_T5_mmT6_P12ihipStream_tbEUlT_E_NS1_11comp_targetILNS1_3genE10ELNS1_11target_archE1200ELNS1_3gpuE4ELNS1_3repE0EEENS1_30default_config_static_selectorELNS0_4arch9wavefront6targetE0EEEvS10_,"axG",@progbits,_ZN7rocprim17ROCPRIM_400000_NS6detail17trampoline_kernelINS0_14default_configENS1_21merge_config_selectorINS0_5tupleIJffEEENS0_10empty_typeEEEZNS1_10merge_implIS3_NS0_12zip_iteratorINS5_IJN6thrust23THRUST_200600_302600_NS6detail15normal_iteratorINSC_10device_ptrIKfEEEESI_EEEEESK_NSA_INS5_IJNSE_INSF_IfEEEESM_EEEEEPS7_SP_SP_NSC_11hip_rocprim7__merge17predicate_wrapperIffNSC_4lessIfEEEEEE10hipError_tPvRmT0_T1_T2_T3_T4_T5_mmT6_P12ihipStream_tbEUlT_E_NS1_11comp_targetILNS1_3genE10ELNS1_11target_archE1200ELNS1_3gpuE4ELNS1_3repE0EEENS1_30default_config_static_selectorELNS0_4arch9wavefront6targetE0EEEvS10_,comdat
.Lfunc_end65:
	.size	_ZN7rocprim17ROCPRIM_400000_NS6detail17trampoline_kernelINS0_14default_configENS1_21merge_config_selectorINS0_5tupleIJffEEENS0_10empty_typeEEEZNS1_10merge_implIS3_NS0_12zip_iteratorINS5_IJN6thrust23THRUST_200600_302600_NS6detail15normal_iteratorINSC_10device_ptrIKfEEEESI_EEEEESK_NSA_INS5_IJNSE_INSF_IfEEEESM_EEEEEPS7_SP_SP_NSC_11hip_rocprim7__merge17predicate_wrapperIffNSC_4lessIfEEEEEE10hipError_tPvRmT0_T1_T2_T3_T4_T5_mmT6_P12ihipStream_tbEUlT_E_NS1_11comp_targetILNS1_3genE10ELNS1_11target_archE1200ELNS1_3gpuE4ELNS1_3repE0EEENS1_30default_config_static_selectorELNS0_4arch9wavefront6targetE0EEEvS10_, .Lfunc_end65-_ZN7rocprim17ROCPRIM_400000_NS6detail17trampoline_kernelINS0_14default_configENS1_21merge_config_selectorINS0_5tupleIJffEEENS0_10empty_typeEEEZNS1_10merge_implIS3_NS0_12zip_iteratorINS5_IJN6thrust23THRUST_200600_302600_NS6detail15normal_iteratorINSC_10device_ptrIKfEEEESI_EEEEESK_NSA_INS5_IJNSE_INSF_IfEEEESM_EEEEEPS7_SP_SP_NSC_11hip_rocprim7__merge17predicate_wrapperIffNSC_4lessIfEEEEEE10hipError_tPvRmT0_T1_T2_T3_T4_T5_mmT6_P12ihipStream_tbEUlT_E_NS1_11comp_targetILNS1_3genE10ELNS1_11target_archE1200ELNS1_3gpuE4ELNS1_3repE0EEENS1_30default_config_static_selectorELNS0_4arch9wavefront6targetE0EEEvS10_
                                        ; -- End function
	.set _ZN7rocprim17ROCPRIM_400000_NS6detail17trampoline_kernelINS0_14default_configENS1_21merge_config_selectorINS0_5tupleIJffEEENS0_10empty_typeEEEZNS1_10merge_implIS3_NS0_12zip_iteratorINS5_IJN6thrust23THRUST_200600_302600_NS6detail15normal_iteratorINSC_10device_ptrIKfEEEESI_EEEEESK_NSA_INS5_IJNSE_INSF_IfEEEESM_EEEEEPS7_SP_SP_NSC_11hip_rocprim7__merge17predicate_wrapperIffNSC_4lessIfEEEEEE10hipError_tPvRmT0_T1_T2_T3_T4_T5_mmT6_P12ihipStream_tbEUlT_E_NS1_11comp_targetILNS1_3genE10ELNS1_11target_archE1200ELNS1_3gpuE4ELNS1_3repE0EEENS1_30default_config_static_selectorELNS0_4arch9wavefront6targetE0EEEvS10_.num_vgpr, 0
	.set _ZN7rocprim17ROCPRIM_400000_NS6detail17trampoline_kernelINS0_14default_configENS1_21merge_config_selectorINS0_5tupleIJffEEENS0_10empty_typeEEEZNS1_10merge_implIS3_NS0_12zip_iteratorINS5_IJN6thrust23THRUST_200600_302600_NS6detail15normal_iteratorINSC_10device_ptrIKfEEEESI_EEEEESK_NSA_INS5_IJNSE_INSF_IfEEEESM_EEEEEPS7_SP_SP_NSC_11hip_rocprim7__merge17predicate_wrapperIffNSC_4lessIfEEEEEE10hipError_tPvRmT0_T1_T2_T3_T4_T5_mmT6_P12ihipStream_tbEUlT_E_NS1_11comp_targetILNS1_3genE10ELNS1_11target_archE1200ELNS1_3gpuE4ELNS1_3repE0EEENS1_30default_config_static_selectorELNS0_4arch9wavefront6targetE0EEEvS10_.num_agpr, 0
	.set _ZN7rocprim17ROCPRIM_400000_NS6detail17trampoline_kernelINS0_14default_configENS1_21merge_config_selectorINS0_5tupleIJffEEENS0_10empty_typeEEEZNS1_10merge_implIS3_NS0_12zip_iteratorINS5_IJN6thrust23THRUST_200600_302600_NS6detail15normal_iteratorINSC_10device_ptrIKfEEEESI_EEEEESK_NSA_INS5_IJNSE_INSF_IfEEEESM_EEEEEPS7_SP_SP_NSC_11hip_rocprim7__merge17predicate_wrapperIffNSC_4lessIfEEEEEE10hipError_tPvRmT0_T1_T2_T3_T4_T5_mmT6_P12ihipStream_tbEUlT_E_NS1_11comp_targetILNS1_3genE10ELNS1_11target_archE1200ELNS1_3gpuE4ELNS1_3repE0EEENS1_30default_config_static_selectorELNS0_4arch9wavefront6targetE0EEEvS10_.numbered_sgpr, 0
	.set _ZN7rocprim17ROCPRIM_400000_NS6detail17trampoline_kernelINS0_14default_configENS1_21merge_config_selectorINS0_5tupleIJffEEENS0_10empty_typeEEEZNS1_10merge_implIS3_NS0_12zip_iteratorINS5_IJN6thrust23THRUST_200600_302600_NS6detail15normal_iteratorINSC_10device_ptrIKfEEEESI_EEEEESK_NSA_INS5_IJNSE_INSF_IfEEEESM_EEEEEPS7_SP_SP_NSC_11hip_rocprim7__merge17predicate_wrapperIffNSC_4lessIfEEEEEE10hipError_tPvRmT0_T1_T2_T3_T4_T5_mmT6_P12ihipStream_tbEUlT_E_NS1_11comp_targetILNS1_3genE10ELNS1_11target_archE1200ELNS1_3gpuE4ELNS1_3repE0EEENS1_30default_config_static_selectorELNS0_4arch9wavefront6targetE0EEEvS10_.num_named_barrier, 0
	.set _ZN7rocprim17ROCPRIM_400000_NS6detail17trampoline_kernelINS0_14default_configENS1_21merge_config_selectorINS0_5tupleIJffEEENS0_10empty_typeEEEZNS1_10merge_implIS3_NS0_12zip_iteratorINS5_IJN6thrust23THRUST_200600_302600_NS6detail15normal_iteratorINSC_10device_ptrIKfEEEESI_EEEEESK_NSA_INS5_IJNSE_INSF_IfEEEESM_EEEEEPS7_SP_SP_NSC_11hip_rocprim7__merge17predicate_wrapperIffNSC_4lessIfEEEEEE10hipError_tPvRmT0_T1_T2_T3_T4_T5_mmT6_P12ihipStream_tbEUlT_E_NS1_11comp_targetILNS1_3genE10ELNS1_11target_archE1200ELNS1_3gpuE4ELNS1_3repE0EEENS1_30default_config_static_selectorELNS0_4arch9wavefront6targetE0EEEvS10_.private_seg_size, 0
	.set _ZN7rocprim17ROCPRIM_400000_NS6detail17trampoline_kernelINS0_14default_configENS1_21merge_config_selectorINS0_5tupleIJffEEENS0_10empty_typeEEEZNS1_10merge_implIS3_NS0_12zip_iteratorINS5_IJN6thrust23THRUST_200600_302600_NS6detail15normal_iteratorINSC_10device_ptrIKfEEEESI_EEEEESK_NSA_INS5_IJNSE_INSF_IfEEEESM_EEEEEPS7_SP_SP_NSC_11hip_rocprim7__merge17predicate_wrapperIffNSC_4lessIfEEEEEE10hipError_tPvRmT0_T1_T2_T3_T4_T5_mmT6_P12ihipStream_tbEUlT_E_NS1_11comp_targetILNS1_3genE10ELNS1_11target_archE1200ELNS1_3gpuE4ELNS1_3repE0EEENS1_30default_config_static_selectorELNS0_4arch9wavefront6targetE0EEEvS10_.uses_vcc, 0
	.set _ZN7rocprim17ROCPRIM_400000_NS6detail17trampoline_kernelINS0_14default_configENS1_21merge_config_selectorINS0_5tupleIJffEEENS0_10empty_typeEEEZNS1_10merge_implIS3_NS0_12zip_iteratorINS5_IJN6thrust23THRUST_200600_302600_NS6detail15normal_iteratorINSC_10device_ptrIKfEEEESI_EEEEESK_NSA_INS5_IJNSE_INSF_IfEEEESM_EEEEEPS7_SP_SP_NSC_11hip_rocprim7__merge17predicate_wrapperIffNSC_4lessIfEEEEEE10hipError_tPvRmT0_T1_T2_T3_T4_T5_mmT6_P12ihipStream_tbEUlT_E_NS1_11comp_targetILNS1_3genE10ELNS1_11target_archE1200ELNS1_3gpuE4ELNS1_3repE0EEENS1_30default_config_static_selectorELNS0_4arch9wavefront6targetE0EEEvS10_.uses_flat_scratch, 0
	.set _ZN7rocprim17ROCPRIM_400000_NS6detail17trampoline_kernelINS0_14default_configENS1_21merge_config_selectorINS0_5tupleIJffEEENS0_10empty_typeEEEZNS1_10merge_implIS3_NS0_12zip_iteratorINS5_IJN6thrust23THRUST_200600_302600_NS6detail15normal_iteratorINSC_10device_ptrIKfEEEESI_EEEEESK_NSA_INS5_IJNSE_INSF_IfEEEESM_EEEEEPS7_SP_SP_NSC_11hip_rocprim7__merge17predicate_wrapperIffNSC_4lessIfEEEEEE10hipError_tPvRmT0_T1_T2_T3_T4_T5_mmT6_P12ihipStream_tbEUlT_E_NS1_11comp_targetILNS1_3genE10ELNS1_11target_archE1200ELNS1_3gpuE4ELNS1_3repE0EEENS1_30default_config_static_selectorELNS0_4arch9wavefront6targetE0EEEvS10_.has_dyn_sized_stack, 0
	.set _ZN7rocprim17ROCPRIM_400000_NS6detail17trampoline_kernelINS0_14default_configENS1_21merge_config_selectorINS0_5tupleIJffEEENS0_10empty_typeEEEZNS1_10merge_implIS3_NS0_12zip_iteratorINS5_IJN6thrust23THRUST_200600_302600_NS6detail15normal_iteratorINSC_10device_ptrIKfEEEESI_EEEEESK_NSA_INS5_IJNSE_INSF_IfEEEESM_EEEEEPS7_SP_SP_NSC_11hip_rocprim7__merge17predicate_wrapperIffNSC_4lessIfEEEEEE10hipError_tPvRmT0_T1_T2_T3_T4_T5_mmT6_P12ihipStream_tbEUlT_E_NS1_11comp_targetILNS1_3genE10ELNS1_11target_archE1200ELNS1_3gpuE4ELNS1_3repE0EEENS1_30default_config_static_selectorELNS0_4arch9wavefront6targetE0EEEvS10_.has_recursion, 0
	.set _ZN7rocprim17ROCPRIM_400000_NS6detail17trampoline_kernelINS0_14default_configENS1_21merge_config_selectorINS0_5tupleIJffEEENS0_10empty_typeEEEZNS1_10merge_implIS3_NS0_12zip_iteratorINS5_IJN6thrust23THRUST_200600_302600_NS6detail15normal_iteratorINSC_10device_ptrIKfEEEESI_EEEEESK_NSA_INS5_IJNSE_INSF_IfEEEESM_EEEEEPS7_SP_SP_NSC_11hip_rocprim7__merge17predicate_wrapperIffNSC_4lessIfEEEEEE10hipError_tPvRmT0_T1_T2_T3_T4_T5_mmT6_P12ihipStream_tbEUlT_E_NS1_11comp_targetILNS1_3genE10ELNS1_11target_archE1200ELNS1_3gpuE4ELNS1_3repE0EEENS1_30default_config_static_selectorELNS0_4arch9wavefront6targetE0EEEvS10_.has_indirect_call, 0
	.section	.AMDGPU.csdata,"",@progbits
; Kernel info:
; codeLenInByte = 0
; TotalNumSgprs: 0
; NumVgprs: 0
; ScratchSize: 0
; MemoryBound: 0
; FloatMode: 240
; IeeeMode: 1
; LDSByteSize: 0 bytes/workgroup (compile time only)
; SGPRBlocks: 0
; VGPRBlocks: 0
; NumSGPRsForWavesPerEU: 1
; NumVGPRsForWavesPerEU: 1
; Occupancy: 16
; WaveLimiterHint : 0
; COMPUTE_PGM_RSRC2:SCRATCH_EN: 0
; COMPUTE_PGM_RSRC2:USER_SGPR: 6
; COMPUTE_PGM_RSRC2:TRAP_HANDLER: 0
; COMPUTE_PGM_RSRC2:TGID_X_EN: 1
; COMPUTE_PGM_RSRC2:TGID_Y_EN: 0
; COMPUTE_PGM_RSRC2:TGID_Z_EN: 0
; COMPUTE_PGM_RSRC2:TIDIG_COMP_CNT: 0
	.section	.text._ZN7rocprim17ROCPRIM_400000_NS6detail17trampoline_kernelINS0_14default_configENS1_21merge_config_selectorINS0_5tupleIJffEEENS0_10empty_typeEEEZNS1_10merge_implIS3_NS0_12zip_iteratorINS5_IJN6thrust23THRUST_200600_302600_NS6detail15normal_iteratorINSC_10device_ptrIKfEEEESI_EEEEESK_NSA_INS5_IJNSE_INSF_IfEEEESM_EEEEEPS7_SP_SP_NSC_11hip_rocprim7__merge17predicate_wrapperIffNSC_4lessIfEEEEEE10hipError_tPvRmT0_T1_T2_T3_T4_T5_mmT6_P12ihipStream_tbEUlT_E_NS1_11comp_targetILNS1_3genE9ELNS1_11target_archE1100ELNS1_3gpuE3ELNS1_3repE0EEENS1_30default_config_static_selectorELNS0_4arch9wavefront6targetE0EEEvS10_,"axG",@progbits,_ZN7rocprim17ROCPRIM_400000_NS6detail17trampoline_kernelINS0_14default_configENS1_21merge_config_selectorINS0_5tupleIJffEEENS0_10empty_typeEEEZNS1_10merge_implIS3_NS0_12zip_iteratorINS5_IJN6thrust23THRUST_200600_302600_NS6detail15normal_iteratorINSC_10device_ptrIKfEEEESI_EEEEESK_NSA_INS5_IJNSE_INSF_IfEEEESM_EEEEEPS7_SP_SP_NSC_11hip_rocprim7__merge17predicate_wrapperIffNSC_4lessIfEEEEEE10hipError_tPvRmT0_T1_T2_T3_T4_T5_mmT6_P12ihipStream_tbEUlT_E_NS1_11comp_targetILNS1_3genE9ELNS1_11target_archE1100ELNS1_3gpuE3ELNS1_3repE0EEENS1_30default_config_static_selectorELNS0_4arch9wavefront6targetE0EEEvS10_,comdat
	.protected	_ZN7rocprim17ROCPRIM_400000_NS6detail17trampoline_kernelINS0_14default_configENS1_21merge_config_selectorINS0_5tupleIJffEEENS0_10empty_typeEEEZNS1_10merge_implIS3_NS0_12zip_iteratorINS5_IJN6thrust23THRUST_200600_302600_NS6detail15normal_iteratorINSC_10device_ptrIKfEEEESI_EEEEESK_NSA_INS5_IJNSE_INSF_IfEEEESM_EEEEEPS7_SP_SP_NSC_11hip_rocprim7__merge17predicate_wrapperIffNSC_4lessIfEEEEEE10hipError_tPvRmT0_T1_T2_T3_T4_T5_mmT6_P12ihipStream_tbEUlT_E_NS1_11comp_targetILNS1_3genE9ELNS1_11target_archE1100ELNS1_3gpuE3ELNS1_3repE0EEENS1_30default_config_static_selectorELNS0_4arch9wavefront6targetE0EEEvS10_ ; -- Begin function _ZN7rocprim17ROCPRIM_400000_NS6detail17trampoline_kernelINS0_14default_configENS1_21merge_config_selectorINS0_5tupleIJffEEENS0_10empty_typeEEEZNS1_10merge_implIS3_NS0_12zip_iteratorINS5_IJN6thrust23THRUST_200600_302600_NS6detail15normal_iteratorINSC_10device_ptrIKfEEEESI_EEEEESK_NSA_INS5_IJNSE_INSF_IfEEEESM_EEEEEPS7_SP_SP_NSC_11hip_rocprim7__merge17predicate_wrapperIffNSC_4lessIfEEEEEE10hipError_tPvRmT0_T1_T2_T3_T4_T5_mmT6_P12ihipStream_tbEUlT_E_NS1_11comp_targetILNS1_3genE9ELNS1_11target_archE1100ELNS1_3gpuE3ELNS1_3repE0EEENS1_30default_config_static_selectorELNS0_4arch9wavefront6targetE0EEEvS10_
	.globl	_ZN7rocprim17ROCPRIM_400000_NS6detail17trampoline_kernelINS0_14default_configENS1_21merge_config_selectorINS0_5tupleIJffEEENS0_10empty_typeEEEZNS1_10merge_implIS3_NS0_12zip_iteratorINS5_IJN6thrust23THRUST_200600_302600_NS6detail15normal_iteratorINSC_10device_ptrIKfEEEESI_EEEEESK_NSA_INS5_IJNSE_INSF_IfEEEESM_EEEEEPS7_SP_SP_NSC_11hip_rocprim7__merge17predicate_wrapperIffNSC_4lessIfEEEEEE10hipError_tPvRmT0_T1_T2_T3_T4_T5_mmT6_P12ihipStream_tbEUlT_E_NS1_11comp_targetILNS1_3genE9ELNS1_11target_archE1100ELNS1_3gpuE3ELNS1_3repE0EEENS1_30default_config_static_selectorELNS0_4arch9wavefront6targetE0EEEvS10_
	.p2align	8
	.type	_ZN7rocprim17ROCPRIM_400000_NS6detail17trampoline_kernelINS0_14default_configENS1_21merge_config_selectorINS0_5tupleIJffEEENS0_10empty_typeEEEZNS1_10merge_implIS3_NS0_12zip_iteratorINS5_IJN6thrust23THRUST_200600_302600_NS6detail15normal_iteratorINSC_10device_ptrIKfEEEESI_EEEEESK_NSA_INS5_IJNSE_INSF_IfEEEESM_EEEEEPS7_SP_SP_NSC_11hip_rocprim7__merge17predicate_wrapperIffNSC_4lessIfEEEEEE10hipError_tPvRmT0_T1_T2_T3_T4_T5_mmT6_P12ihipStream_tbEUlT_E_NS1_11comp_targetILNS1_3genE9ELNS1_11target_archE1100ELNS1_3gpuE3ELNS1_3repE0EEENS1_30default_config_static_selectorELNS0_4arch9wavefront6targetE0EEEvS10_,@function
_ZN7rocprim17ROCPRIM_400000_NS6detail17trampoline_kernelINS0_14default_configENS1_21merge_config_selectorINS0_5tupleIJffEEENS0_10empty_typeEEEZNS1_10merge_implIS3_NS0_12zip_iteratorINS5_IJN6thrust23THRUST_200600_302600_NS6detail15normal_iteratorINSC_10device_ptrIKfEEEESI_EEEEESK_NSA_INS5_IJNSE_INSF_IfEEEESM_EEEEEPS7_SP_SP_NSC_11hip_rocprim7__merge17predicate_wrapperIffNSC_4lessIfEEEEEE10hipError_tPvRmT0_T1_T2_T3_T4_T5_mmT6_P12ihipStream_tbEUlT_E_NS1_11comp_targetILNS1_3genE9ELNS1_11target_archE1100ELNS1_3gpuE3ELNS1_3repE0EEENS1_30default_config_static_selectorELNS0_4arch9wavefront6targetE0EEEvS10_: ; @_ZN7rocprim17ROCPRIM_400000_NS6detail17trampoline_kernelINS0_14default_configENS1_21merge_config_selectorINS0_5tupleIJffEEENS0_10empty_typeEEEZNS1_10merge_implIS3_NS0_12zip_iteratorINS5_IJN6thrust23THRUST_200600_302600_NS6detail15normal_iteratorINSC_10device_ptrIKfEEEESI_EEEEESK_NSA_INS5_IJNSE_INSF_IfEEEESM_EEEEEPS7_SP_SP_NSC_11hip_rocprim7__merge17predicate_wrapperIffNSC_4lessIfEEEEEE10hipError_tPvRmT0_T1_T2_T3_T4_T5_mmT6_P12ihipStream_tbEUlT_E_NS1_11comp_targetILNS1_3genE9ELNS1_11target_archE1100ELNS1_3gpuE3ELNS1_3repE0EEENS1_30default_config_static_selectorELNS0_4arch9wavefront6targetE0EEEvS10_
; %bb.0:
	.section	.rodata,"a",@progbits
	.p2align	6, 0x0
	.amdhsa_kernel _ZN7rocprim17ROCPRIM_400000_NS6detail17trampoline_kernelINS0_14default_configENS1_21merge_config_selectorINS0_5tupleIJffEEENS0_10empty_typeEEEZNS1_10merge_implIS3_NS0_12zip_iteratorINS5_IJN6thrust23THRUST_200600_302600_NS6detail15normal_iteratorINSC_10device_ptrIKfEEEESI_EEEEESK_NSA_INS5_IJNSE_INSF_IfEEEESM_EEEEEPS7_SP_SP_NSC_11hip_rocprim7__merge17predicate_wrapperIffNSC_4lessIfEEEEEE10hipError_tPvRmT0_T1_T2_T3_T4_T5_mmT6_P12ihipStream_tbEUlT_E_NS1_11comp_targetILNS1_3genE9ELNS1_11target_archE1100ELNS1_3gpuE3ELNS1_3repE0EEENS1_30default_config_static_selectorELNS0_4arch9wavefront6targetE0EEEvS10_
		.amdhsa_group_segment_fixed_size 0
		.amdhsa_private_segment_fixed_size 0
		.amdhsa_kernarg_size 64
		.amdhsa_user_sgpr_count 6
		.amdhsa_user_sgpr_private_segment_buffer 1
		.amdhsa_user_sgpr_dispatch_ptr 0
		.amdhsa_user_sgpr_queue_ptr 0
		.amdhsa_user_sgpr_kernarg_segment_ptr 1
		.amdhsa_user_sgpr_dispatch_id 0
		.amdhsa_user_sgpr_flat_scratch_init 0
		.amdhsa_user_sgpr_private_segment_size 0
		.amdhsa_wavefront_size32 1
		.amdhsa_uses_dynamic_stack 0
		.amdhsa_system_sgpr_private_segment_wavefront_offset 0
		.amdhsa_system_sgpr_workgroup_id_x 1
		.amdhsa_system_sgpr_workgroup_id_y 0
		.amdhsa_system_sgpr_workgroup_id_z 0
		.amdhsa_system_sgpr_workgroup_info 0
		.amdhsa_system_vgpr_workitem_id 0
		.amdhsa_next_free_vgpr 1
		.amdhsa_next_free_sgpr 1
		.amdhsa_reserve_vcc 0
		.amdhsa_reserve_flat_scratch 0
		.amdhsa_float_round_mode_32 0
		.amdhsa_float_round_mode_16_64 0
		.amdhsa_float_denorm_mode_32 3
		.amdhsa_float_denorm_mode_16_64 3
		.amdhsa_dx10_clamp 1
		.amdhsa_ieee_mode 1
		.amdhsa_fp16_overflow 0
		.amdhsa_workgroup_processor_mode 1
		.amdhsa_memory_ordered 1
		.amdhsa_forward_progress 1
		.amdhsa_shared_vgpr_count 0
		.amdhsa_exception_fp_ieee_invalid_op 0
		.amdhsa_exception_fp_denorm_src 0
		.amdhsa_exception_fp_ieee_div_zero 0
		.amdhsa_exception_fp_ieee_overflow 0
		.amdhsa_exception_fp_ieee_underflow 0
		.amdhsa_exception_fp_ieee_inexact 0
		.amdhsa_exception_int_div_zero 0
	.end_amdhsa_kernel
	.section	.text._ZN7rocprim17ROCPRIM_400000_NS6detail17trampoline_kernelINS0_14default_configENS1_21merge_config_selectorINS0_5tupleIJffEEENS0_10empty_typeEEEZNS1_10merge_implIS3_NS0_12zip_iteratorINS5_IJN6thrust23THRUST_200600_302600_NS6detail15normal_iteratorINSC_10device_ptrIKfEEEESI_EEEEESK_NSA_INS5_IJNSE_INSF_IfEEEESM_EEEEEPS7_SP_SP_NSC_11hip_rocprim7__merge17predicate_wrapperIffNSC_4lessIfEEEEEE10hipError_tPvRmT0_T1_T2_T3_T4_T5_mmT6_P12ihipStream_tbEUlT_E_NS1_11comp_targetILNS1_3genE9ELNS1_11target_archE1100ELNS1_3gpuE3ELNS1_3repE0EEENS1_30default_config_static_selectorELNS0_4arch9wavefront6targetE0EEEvS10_,"axG",@progbits,_ZN7rocprim17ROCPRIM_400000_NS6detail17trampoline_kernelINS0_14default_configENS1_21merge_config_selectorINS0_5tupleIJffEEENS0_10empty_typeEEEZNS1_10merge_implIS3_NS0_12zip_iteratorINS5_IJN6thrust23THRUST_200600_302600_NS6detail15normal_iteratorINSC_10device_ptrIKfEEEESI_EEEEESK_NSA_INS5_IJNSE_INSF_IfEEEESM_EEEEEPS7_SP_SP_NSC_11hip_rocprim7__merge17predicate_wrapperIffNSC_4lessIfEEEEEE10hipError_tPvRmT0_T1_T2_T3_T4_T5_mmT6_P12ihipStream_tbEUlT_E_NS1_11comp_targetILNS1_3genE9ELNS1_11target_archE1100ELNS1_3gpuE3ELNS1_3repE0EEENS1_30default_config_static_selectorELNS0_4arch9wavefront6targetE0EEEvS10_,comdat
.Lfunc_end66:
	.size	_ZN7rocprim17ROCPRIM_400000_NS6detail17trampoline_kernelINS0_14default_configENS1_21merge_config_selectorINS0_5tupleIJffEEENS0_10empty_typeEEEZNS1_10merge_implIS3_NS0_12zip_iteratorINS5_IJN6thrust23THRUST_200600_302600_NS6detail15normal_iteratorINSC_10device_ptrIKfEEEESI_EEEEESK_NSA_INS5_IJNSE_INSF_IfEEEESM_EEEEEPS7_SP_SP_NSC_11hip_rocprim7__merge17predicate_wrapperIffNSC_4lessIfEEEEEE10hipError_tPvRmT0_T1_T2_T3_T4_T5_mmT6_P12ihipStream_tbEUlT_E_NS1_11comp_targetILNS1_3genE9ELNS1_11target_archE1100ELNS1_3gpuE3ELNS1_3repE0EEENS1_30default_config_static_selectorELNS0_4arch9wavefront6targetE0EEEvS10_, .Lfunc_end66-_ZN7rocprim17ROCPRIM_400000_NS6detail17trampoline_kernelINS0_14default_configENS1_21merge_config_selectorINS0_5tupleIJffEEENS0_10empty_typeEEEZNS1_10merge_implIS3_NS0_12zip_iteratorINS5_IJN6thrust23THRUST_200600_302600_NS6detail15normal_iteratorINSC_10device_ptrIKfEEEESI_EEEEESK_NSA_INS5_IJNSE_INSF_IfEEEESM_EEEEEPS7_SP_SP_NSC_11hip_rocprim7__merge17predicate_wrapperIffNSC_4lessIfEEEEEE10hipError_tPvRmT0_T1_T2_T3_T4_T5_mmT6_P12ihipStream_tbEUlT_E_NS1_11comp_targetILNS1_3genE9ELNS1_11target_archE1100ELNS1_3gpuE3ELNS1_3repE0EEENS1_30default_config_static_selectorELNS0_4arch9wavefront6targetE0EEEvS10_
                                        ; -- End function
	.set _ZN7rocprim17ROCPRIM_400000_NS6detail17trampoline_kernelINS0_14default_configENS1_21merge_config_selectorINS0_5tupleIJffEEENS0_10empty_typeEEEZNS1_10merge_implIS3_NS0_12zip_iteratorINS5_IJN6thrust23THRUST_200600_302600_NS6detail15normal_iteratorINSC_10device_ptrIKfEEEESI_EEEEESK_NSA_INS5_IJNSE_INSF_IfEEEESM_EEEEEPS7_SP_SP_NSC_11hip_rocprim7__merge17predicate_wrapperIffNSC_4lessIfEEEEEE10hipError_tPvRmT0_T1_T2_T3_T4_T5_mmT6_P12ihipStream_tbEUlT_E_NS1_11comp_targetILNS1_3genE9ELNS1_11target_archE1100ELNS1_3gpuE3ELNS1_3repE0EEENS1_30default_config_static_selectorELNS0_4arch9wavefront6targetE0EEEvS10_.num_vgpr, 0
	.set _ZN7rocprim17ROCPRIM_400000_NS6detail17trampoline_kernelINS0_14default_configENS1_21merge_config_selectorINS0_5tupleIJffEEENS0_10empty_typeEEEZNS1_10merge_implIS3_NS0_12zip_iteratorINS5_IJN6thrust23THRUST_200600_302600_NS6detail15normal_iteratorINSC_10device_ptrIKfEEEESI_EEEEESK_NSA_INS5_IJNSE_INSF_IfEEEESM_EEEEEPS7_SP_SP_NSC_11hip_rocprim7__merge17predicate_wrapperIffNSC_4lessIfEEEEEE10hipError_tPvRmT0_T1_T2_T3_T4_T5_mmT6_P12ihipStream_tbEUlT_E_NS1_11comp_targetILNS1_3genE9ELNS1_11target_archE1100ELNS1_3gpuE3ELNS1_3repE0EEENS1_30default_config_static_selectorELNS0_4arch9wavefront6targetE0EEEvS10_.num_agpr, 0
	.set _ZN7rocprim17ROCPRIM_400000_NS6detail17trampoline_kernelINS0_14default_configENS1_21merge_config_selectorINS0_5tupleIJffEEENS0_10empty_typeEEEZNS1_10merge_implIS3_NS0_12zip_iteratorINS5_IJN6thrust23THRUST_200600_302600_NS6detail15normal_iteratorINSC_10device_ptrIKfEEEESI_EEEEESK_NSA_INS5_IJNSE_INSF_IfEEEESM_EEEEEPS7_SP_SP_NSC_11hip_rocprim7__merge17predicate_wrapperIffNSC_4lessIfEEEEEE10hipError_tPvRmT0_T1_T2_T3_T4_T5_mmT6_P12ihipStream_tbEUlT_E_NS1_11comp_targetILNS1_3genE9ELNS1_11target_archE1100ELNS1_3gpuE3ELNS1_3repE0EEENS1_30default_config_static_selectorELNS0_4arch9wavefront6targetE0EEEvS10_.numbered_sgpr, 0
	.set _ZN7rocprim17ROCPRIM_400000_NS6detail17trampoline_kernelINS0_14default_configENS1_21merge_config_selectorINS0_5tupleIJffEEENS0_10empty_typeEEEZNS1_10merge_implIS3_NS0_12zip_iteratorINS5_IJN6thrust23THRUST_200600_302600_NS6detail15normal_iteratorINSC_10device_ptrIKfEEEESI_EEEEESK_NSA_INS5_IJNSE_INSF_IfEEEESM_EEEEEPS7_SP_SP_NSC_11hip_rocprim7__merge17predicate_wrapperIffNSC_4lessIfEEEEEE10hipError_tPvRmT0_T1_T2_T3_T4_T5_mmT6_P12ihipStream_tbEUlT_E_NS1_11comp_targetILNS1_3genE9ELNS1_11target_archE1100ELNS1_3gpuE3ELNS1_3repE0EEENS1_30default_config_static_selectorELNS0_4arch9wavefront6targetE0EEEvS10_.num_named_barrier, 0
	.set _ZN7rocprim17ROCPRIM_400000_NS6detail17trampoline_kernelINS0_14default_configENS1_21merge_config_selectorINS0_5tupleIJffEEENS0_10empty_typeEEEZNS1_10merge_implIS3_NS0_12zip_iteratorINS5_IJN6thrust23THRUST_200600_302600_NS6detail15normal_iteratorINSC_10device_ptrIKfEEEESI_EEEEESK_NSA_INS5_IJNSE_INSF_IfEEEESM_EEEEEPS7_SP_SP_NSC_11hip_rocprim7__merge17predicate_wrapperIffNSC_4lessIfEEEEEE10hipError_tPvRmT0_T1_T2_T3_T4_T5_mmT6_P12ihipStream_tbEUlT_E_NS1_11comp_targetILNS1_3genE9ELNS1_11target_archE1100ELNS1_3gpuE3ELNS1_3repE0EEENS1_30default_config_static_selectorELNS0_4arch9wavefront6targetE0EEEvS10_.private_seg_size, 0
	.set _ZN7rocprim17ROCPRIM_400000_NS6detail17trampoline_kernelINS0_14default_configENS1_21merge_config_selectorINS0_5tupleIJffEEENS0_10empty_typeEEEZNS1_10merge_implIS3_NS0_12zip_iteratorINS5_IJN6thrust23THRUST_200600_302600_NS6detail15normal_iteratorINSC_10device_ptrIKfEEEESI_EEEEESK_NSA_INS5_IJNSE_INSF_IfEEEESM_EEEEEPS7_SP_SP_NSC_11hip_rocprim7__merge17predicate_wrapperIffNSC_4lessIfEEEEEE10hipError_tPvRmT0_T1_T2_T3_T4_T5_mmT6_P12ihipStream_tbEUlT_E_NS1_11comp_targetILNS1_3genE9ELNS1_11target_archE1100ELNS1_3gpuE3ELNS1_3repE0EEENS1_30default_config_static_selectorELNS0_4arch9wavefront6targetE0EEEvS10_.uses_vcc, 0
	.set _ZN7rocprim17ROCPRIM_400000_NS6detail17trampoline_kernelINS0_14default_configENS1_21merge_config_selectorINS0_5tupleIJffEEENS0_10empty_typeEEEZNS1_10merge_implIS3_NS0_12zip_iteratorINS5_IJN6thrust23THRUST_200600_302600_NS6detail15normal_iteratorINSC_10device_ptrIKfEEEESI_EEEEESK_NSA_INS5_IJNSE_INSF_IfEEEESM_EEEEEPS7_SP_SP_NSC_11hip_rocprim7__merge17predicate_wrapperIffNSC_4lessIfEEEEEE10hipError_tPvRmT0_T1_T2_T3_T4_T5_mmT6_P12ihipStream_tbEUlT_E_NS1_11comp_targetILNS1_3genE9ELNS1_11target_archE1100ELNS1_3gpuE3ELNS1_3repE0EEENS1_30default_config_static_selectorELNS0_4arch9wavefront6targetE0EEEvS10_.uses_flat_scratch, 0
	.set _ZN7rocprim17ROCPRIM_400000_NS6detail17trampoline_kernelINS0_14default_configENS1_21merge_config_selectorINS0_5tupleIJffEEENS0_10empty_typeEEEZNS1_10merge_implIS3_NS0_12zip_iteratorINS5_IJN6thrust23THRUST_200600_302600_NS6detail15normal_iteratorINSC_10device_ptrIKfEEEESI_EEEEESK_NSA_INS5_IJNSE_INSF_IfEEEESM_EEEEEPS7_SP_SP_NSC_11hip_rocprim7__merge17predicate_wrapperIffNSC_4lessIfEEEEEE10hipError_tPvRmT0_T1_T2_T3_T4_T5_mmT6_P12ihipStream_tbEUlT_E_NS1_11comp_targetILNS1_3genE9ELNS1_11target_archE1100ELNS1_3gpuE3ELNS1_3repE0EEENS1_30default_config_static_selectorELNS0_4arch9wavefront6targetE0EEEvS10_.has_dyn_sized_stack, 0
	.set _ZN7rocprim17ROCPRIM_400000_NS6detail17trampoline_kernelINS0_14default_configENS1_21merge_config_selectorINS0_5tupleIJffEEENS0_10empty_typeEEEZNS1_10merge_implIS3_NS0_12zip_iteratorINS5_IJN6thrust23THRUST_200600_302600_NS6detail15normal_iteratorINSC_10device_ptrIKfEEEESI_EEEEESK_NSA_INS5_IJNSE_INSF_IfEEEESM_EEEEEPS7_SP_SP_NSC_11hip_rocprim7__merge17predicate_wrapperIffNSC_4lessIfEEEEEE10hipError_tPvRmT0_T1_T2_T3_T4_T5_mmT6_P12ihipStream_tbEUlT_E_NS1_11comp_targetILNS1_3genE9ELNS1_11target_archE1100ELNS1_3gpuE3ELNS1_3repE0EEENS1_30default_config_static_selectorELNS0_4arch9wavefront6targetE0EEEvS10_.has_recursion, 0
	.set _ZN7rocprim17ROCPRIM_400000_NS6detail17trampoline_kernelINS0_14default_configENS1_21merge_config_selectorINS0_5tupleIJffEEENS0_10empty_typeEEEZNS1_10merge_implIS3_NS0_12zip_iteratorINS5_IJN6thrust23THRUST_200600_302600_NS6detail15normal_iteratorINSC_10device_ptrIKfEEEESI_EEEEESK_NSA_INS5_IJNSE_INSF_IfEEEESM_EEEEEPS7_SP_SP_NSC_11hip_rocprim7__merge17predicate_wrapperIffNSC_4lessIfEEEEEE10hipError_tPvRmT0_T1_T2_T3_T4_T5_mmT6_P12ihipStream_tbEUlT_E_NS1_11comp_targetILNS1_3genE9ELNS1_11target_archE1100ELNS1_3gpuE3ELNS1_3repE0EEENS1_30default_config_static_selectorELNS0_4arch9wavefront6targetE0EEEvS10_.has_indirect_call, 0
	.section	.AMDGPU.csdata,"",@progbits
; Kernel info:
; codeLenInByte = 0
; TotalNumSgprs: 0
; NumVgprs: 0
; ScratchSize: 0
; MemoryBound: 0
; FloatMode: 240
; IeeeMode: 1
; LDSByteSize: 0 bytes/workgroup (compile time only)
; SGPRBlocks: 0
; VGPRBlocks: 0
; NumSGPRsForWavesPerEU: 1
; NumVGPRsForWavesPerEU: 1
; Occupancy: 16
; WaveLimiterHint : 0
; COMPUTE_PGM_RSRC2:SCRATCH_EN: 0
; COMPUTE_PGM_RSRC2:USER_SGPR: 6
; COMPUTE_PGM_RSRC2:TRAP_HANDLER: 0
; COMPUTE_PGM_RSRC2:TGID_X_EN: 1
; COMPUTE_PGM_RSRC2:TGID_Y_EN: 0
; COMPUTE_PGM_RSRC2:TGID_Z_EN: 0
; COMPUTE_PGM_RSRC2:TIDIG_COMP_CNT: 0
	.section	.text._ZN7rocprim17ROCPRIM_400000_NS6detail17trampoline_kernelINS0_14default_configENS1_21merge_config_selectorINS0_5tupleIJffEEENS0_10empty_typeEEEZNS1_10merge_implIS3_NS0_12zip_iteratorINS5_IJN6thrust23THRUST_200600_302600_NS6detail15normal_iteratorINSC_10device_ptrIKfEEEESI_EEEEESK_NSA_INS5_IJNSE_INSF_IfEEEESM_EEEEEPS7_SP_SP_NSC_11hip_rocprim7__merge17predicate_wrapperIffNSC_4lessIfEEEEEE10hipError_tPvRmT0_T1_T2_T3_T4_T5_mmT6_P12ihipStream_tbEUlT_E_NS1_11comp_targetILNS1_3genE8ELNS1_11target_archE1030ELNS1_3gpuE2ELNS1_3repE0EEENS1_30default_config_static_selectorELNS0_4arch9wavefront6targetE0EEEvS10_,"axG",@progbits,_ZN7rocprim17ROCPRIM_400000_NS6detail17trampoline_kernelINS0_14default_configENS1_21merge_config_selectorINS0_5tupleIJffEEENS0_10empty_typeEEEZNS1_10merge_implIS3_NS0_12zip_iteratorINS5_IJN6thrust23THRUST_200600_302600_NS6detail15normal_iteratorINSC_10device_ptrIKfEEEESI_EEEEESK_NSA_INS5_IJNSE_INSF_IfEEEESM_EEEEEPS7_SP_SP_NSC_11hip_rocprim7__merge17predicate_wrapperIffNSC_4lessIfEEEEEE10hipError_tPvRmT0_T1_T2_T3_T4_T5_mmT6_P12ihipStream_tbEUlT_E_NS1_11comp_targetILNS1_3genE8ELNS1_11target_archE1030ELNS1_3gpuE2ELNS1_3repE0EEENS1_30default_config_static_selectorELNS0_4arch9wavefront6targetE0EEEvS10_,comdat
	.protected	_ZN7rocprim17ROCPRIM_400000_NS6detail17trampoline_kernelINS0_14default_configENS1_21merge_config_selectorINS0_5tupleIJffEEENS0_10empty_typeEEEZNS1_10merge_implIS3_NS0_12zip_iteratorINS5_IJN6thrust23THRUST_200600_302600_NS6detail15normal_iteratorINSC_10device_ptrIKfEEEESI_EEEEESK_NSA_INS5_IJNSE_INSF_IfEEEESM_EEEEEPS7_SP_SP_NSC_11hip_rocprim7__merge17predicate_wrapperIffNSC_4lessIfEEEEEE10hipError_tPvRmT0_T1_T2_T3_T4_T5_mmT6_P12ihipStream_tbEUlT_E_NS1_11comp_targetILNS1_3genE8ELNS1_11target_archE1030ELNS1_3gpuE2ELNS1_3repE0EEENS1_30default_config_static_selectorELNS0_4arch9wavefront6targetE0EEEvS10_ ; -- Begin function _ZN7rocprim17ROCPRIM_400000_NS6detail17trampoline_kernelINS0_14default_configENS1_21merge_config_selectorINS0_5tupleIJffEEENS0_10empty_typeEEEZNS1_10merge_implIS3_NS0_12zip_iteratorINS5_IJN6thrust23THRUST_200600_302600_NS6detail15normal_iteratorINSC_10device_ptrIKfEEEESI_EEEEESK_NSA_INS5_IJNSE_INSF_IfEEEESM_EEEEEPS7_SP_SP_NSC_11hip_rocprim7__merge17predicate_wrapperIffNSC_4lessIfEEEEEE10hipError_tPvRmT0_T1_T2_T3_T4_T5_mmT6_P12ihipStream_tbEUlT_E_NS1_11comp_targetILNS1_3genE8ELNS1_11target_archE1030ELNS1_3gpuE2ELNS1_3repE0EEENS1_30default_config_static_selectorELNS0_4arch9wavefront6targetE0EEEvS10_
	.globl	_ZN7rocprim17ROCPRIM_400000_NS6detail17trampoline_kernelINS0_14default_configENS1_21merge_config_selectorINS0_5tupleIJffEEENS0_10empty_typeEEEZNS1_10merge_implIS3_NS0_12zip_iteratorINS5_IJN6thrust23THRUST_200600_302600_NS6detail15normal_iteratorINSC_10device_ptrIKfEEEESI_EEEEESK_NSA_INS5_IJNSE_INSF_IfEEEESM_EEEEEPS7_SP_SP_NSC_11hip_rocprim7__merge17predicate_wrapperIffNSC_4lessIfEEEEEE10hipError_tPvRmT0_T1_T2_T3_T4_T5_mmT6_P12ihipStream_tbEUlT_E_NS1_11comp_targetILNS1_3genE8ELNS1_11target_archE1030ELNS1_3gpuE2ELNS1_3repE0EEENS1_30default_config_static_selectorELNS0_4arch9wavefront6targetE0EEEvS10_
	.p2align	8
	.type	_ZN7rocprim17ROCPRIM_400000_NS6detail17trampoline_kernelINS0_14default_configENS1_21merge_config_selectorINS0_5tupleIJffEEENS0_10empty_typeEEEZNS1_10merge_implIS3_NS0_12zip_iteratorINS5_IJN6thrust23THRUST_200600_302600_NS6detail15normal_iteratorINSC_10device_ptrIKfEEEESI_EEEEESK_NSA_INS5_IJNSE_INSF_IfEEEESM_EEEEEPS7_SP_SP_NSC_11hip_rocprim7__merge17predicate_wrapperIffNSC_4lessIfEEEEEE10hipError_tPvRmT0_T1_T2_T3_T4_T5_mmT6_P12ihipStream_tbEUlT_E_NS1_11comp_targetILNS1_3genE8ELNS1_11target_archE1030ELNS1_3gpuE2ELNS1_3repE0EEENS1_30default_config_static_selectorELNS0_4arch9wavefront6targetE0EEEvS10_,@function
_ZN7rocprim17ROCPRIM_400000_NS6detail17trampoline_kernelINS0_14default_configENS1_21merge_config_selectorINS0_5tupleIJffEEENS0_10empty_typeEEEZNS1_10merge_implIS3_NS0_12zip_iteratorINS5_IJN6thrust23THRUST_200600_302600_NS6detail15normal_iteratorINSC_10device_ptrIKfEEEESI_EEEEESK_NSA_INS5_IJNSE_INSF_IfEEEESM_EEEEEPS7_SP_SP_NSC_11hip_rocprim7__merge17predicate_wrapperIffNSC_4lessIfEEEEEE10hipError_tPvRmT0_T1_T2_T3_T4_T5_mmT6_P12ihipStream_tbEUlT_E_NS1_11comp_targetILNS1_3genE8ELNS1_11target_archE1030ELNS1_3gpuE2ELNS1_3repE0EEENS1_30default_config_static_selectorELNS0_4arch9wavefront6targetE0EEEvS10_: ; @_ZN7rocprim17ROCPRIM_400000_NS6detail17trampoline_kernelINS0_14default_configENS1_21merge_config_selectorINS0_5tupleIJffEEENS0_10empty_typeEEEZNS1_10merge_implIS3_NS0_12zip_iteratorINS5_IJN6thrust23THRUST_200600_302600_NS6detail15normal_iteratorINSC_10device_ptrIKfEEEESI_EEEEESK_NSA_INS5_IJNSE_INSF_IfEEEESM_EEEEEPS7_SP_SP_NSC_11hip_rocprim7__merge17predicate_wrapperIffNSC_4lessIfEEEEEE10hipError_tPvRmT0_T1_T2_T3_T4_T5_mmT6_P12ihipStream_tbEUlT_E_NS1_11comp_targetILNS1_3genE8ELNS1_11target_archE1030ELNS1_3gpuE2ELNS1_3repE0EEENS1_30default_config_static_selectorELNS0_4arch9wavefront6targetE0EEEvS10_
; %bb.0:
	s_clause 0x2
	s_load_dword s2, s[4:5], 0x38
	s_load_dword s0, s[4:5], 0x4c
	s_load_dwordx4 s[12:15], s[4:5], 0x28
	s_waitcnt lgkmcnt(0)
	v_cvt_f32_u32_e32 v1, s2
	s_and_b32 s3, s0, 0xffff
	s_add_u32 s0, s14, s12
	s_addc_u32 s1, s15, s13
	s_sub_i32 s8, 0, s2
	v_rcp_iflag_f32_e32 v1, v1
	s_add_i32 s9, s2, s0
	s_add_i32 s9, s9, -1
	v_mul_f32_e32 v1, 0x4f7ffffe, v1
	v_cvt_u32_f32_e32 v1, v1
	v_readfirstlane_b32 s7, v1
	v_mad_u64_u32 v[0:1], null, s6, s3, v[0:1]
	s_mul_i32 s8, s8, s7
	s_mul_hi_u32 s8, s7, s8
	s_add_i32 s7, s7, s8
	s_mul_hi_u32 s7, s9, s7
	s_mul_i32 s8, s7, s2
	s_sub_i32 s8, s9, s8
	s_add_i32 s9, s7, 1
	s_sub_i32 s10, s8, s2
	s_cmp_ge_u32 s8, s2
	s_cselect_b32 s3, s9, s7
	s_cselect_b32 s6, s10, s8
	s_add_i32 s7, s3, 1
	s_cmp_ge_u32 s6, s2
	s_cselect_b32 s3, s7, s3
	v_cmp_ge_u32_e32 vcc_lo, s3, v0
	s_and_saveexec_b32 s3, vcc_lo
	s_cbranch_execz .LBB67_6
; %bb.1:
	v_mul_lo_u32 v1, v0, s2
	v_mov_b32_e32 v2, 0
	s_load_dwordx4 s[8:11], s[4:5], 0x0
	v_cmp_gt_u64_e32 vcc_lo, s[0:1], v[1:2]
	v_cndmask_b32_e32 v6, s0, v1, vcc_lo
	v_cndmask_b32_e64 v7, s1, 0, vcc_lo
	v_sub_co_u32 v1, vcc_lo, v6, s14
	v_subrev_co_ci_u32_e64 v2, null, s15, v7, vcc_lo
	v_cmp_gt_u64_e64 s0, s[12:13], v[6:7]
	v_cmp_gt_u64_e32 vcc_lo, v[1:2], v[6:7]
	v_cndmask_b32_e64 v5, s13, v7, s0
	v_cndmask_b32_e64 v4, s12, v6, s0
	s_mov_b32 s0, exec_lo
	v_cndmask_b32_e64 v3, v2, 0, vcc_lo
	v_cndmask_b32_e64 v2, v1, 0, vcc_lo
	v_cmpx_lt_u64_e64 v[2:3], v[4:5]
	s_cbranch_execz .LBB67_5
; %bb.2:
	s_load_dwordx2 s[2:3], s[4:5], 0x18
	v_lshlrev_b64 v[6:7], 2, v[6:7]
	s_mov_b32 s1, 0
	s_waitcnt lgkmcnt(0)
	v_add_co_u32 v1, vcc_lo, s2, v6
	v_add_co_ci_u32_e64 v6, null, s3, v7, vcc_lo
	s_inst_prefetch 0x1
	.p2align	6
.LBB67_3:                               ; =>This Inner Loop Header: Depth=1
	v_add_co_u32 v7, vcc_lo, v4, v2
	v_add_co_ci_u32_e64 v8, null, v5, v3, vcc_lo
	v_lshrrev_b64 v[7:8], 1, v[7:8]
	v_lshlrev_b64 v[9:10], 2, v[7:8]
	v_xor_b32_e32 v11, -4, v9
	v_xor_b32_e32 v12, -1, v10
	v_add_co_u32 v9, vcc_lo, s10, v9
	v_add_co_ci_u32_e64 v10, null, s11, v10, vcc_lo
	v_add_co_u32 v11, vcc_lo, v1, v11
	v_add_co_ci_u32_e64 v12, null, v6, v12, vcc_lo
	global_load_dword v9, v[9:10], off
	global_load_dword v10, v[11:12], off
	v_add_co_u32 v11, vcc_lo, v7, 1
	v_add_co_ci_u32_e64 v12, null, 0, v8, vcc_lo
	s_waitcnt vmcnt(0)
	v_cmp_lt_f32_e32 vcc_lo, v10, v9
	v_cndmask_b32_e32 v5, v5, v8, vcc_lo
	v_cndmask_b32_e32 v4, v4, v7, vcc_lo
	;; [unrolled: 1-line block ×4, first 2 shown]
	v_cmp_ge_u64_e32 vcc_lo, v[2:3], v[4:5]
	s_or_b32 s1, vcc_lo, s1
	s_andn2_b32 exec_lo, exec_lo, s1
	s_cbranch_execnz .LBB67_3
; %bb.4:
	s_inst_prefetch 0x2
	s_or_b32 exec_lo, exec_lo, s1
.LBB67_5:
	s_or_b32 exec_lo, exec_lo, s0
	v_mov_b32_e32 v1, 0
	v_lshlrev_b64 v[0:1], 2, v[0:1]
	s_waitcnt lgkmcnt(0)
	v_add_co_u32 v0, vcc_lo, s8, v0
	v_add_co_ci_u32_e64 v1, null, s9, v1, vcc_lo
	global_store_dword v[0:1], v2, off
.LBB67_6:
	s_endpgm
	.section	.rodata,"a",@progbits
	.p2align	6, 0x0
	.amdhsa_kernel _ZN7rocprim17ROCPRIM_400000_NS6detail17trampoline_kernelINS0_14default_configENS1_21merge_config_selectorINS0_5tupleIJffEEENS0_10empty_typeEEEZNS1_10merge_implIS3_NS0_12zip_iteratorINS5_IJN6thrust23THRUST_200600_302600_NS6detail15normal_iteratorINSC_10device_ptrIKfEEEESI_EEEEESK_NSA_INS5_IJNSE_INSF_IfEEEESM_EEEEEPS7_SP_SP_NSC_11hip_rocprim7__merge17predicate_wrapperIffNSC_4lessIfEEEEEE10hipError_tPvRmT0_T1_T2_T3_T4_T5_mmT6_P12ihipStream_tbEUlT_E_NS1_11comp_targetILNS1_3genE8ELNS1_11target_archE1030ELNS1_3gpuE2ELNS1_3repE0EEENS1_30default_config_static_selectorELNS0_4arch9wavefront6targetE0EEEvS10_
		.amdhsa_group_segment_fixed_size 0
		.amdhsa_private_segment_fixed_size 0
		.amdhsa_kernarg_size 320
		.amdhsa_user_sgpr_count 6
		.amdhsa_user_sgpr_private_segment_buffer 1
		.amdhsa_user_sgpr_dispatch_ptr 0
		.amdhsa_user_sgpr_queue_ptr 0
		.amdhsa_user_sgpr_kernarg_segment_ptr 1
		.amdhsa_user_sgpr_dispatch_id 0
		.amdhsa_user_sgpr_flat_scratch_init 0
		.amdhsa_user_sgpr_private_segment_size 0
		.amdhsa_wavefront_size32 1
		.amdhsa_uses_dynamic_stack 0
		.amdhsa_system_sgpr_private_segment_wavefront_offset 0
		.amdhsa_system_sgpr_workgroup_id_x 1
		.amdhsa_system_sgpr_workgroup_id_y 0
		.amdhsa_system_sgpr_workgroup_id_z 0
		.amdhsa_system_sgpr_workgroup_info 0
		.amdhsa_system_vgpr_workitem_id 0
		.amdhsa_next_free_vgpr 13
		.amdhsa_next_free_sgpr 16
		.amdhsa_reserve_vcc 1
		.amdhsa_reserve_flat_scratch 0
		.amdhsa_float_round_mode_32 0
		.amdhsa_float_round_mode_16_64 0
		.amdhsa_float_denorm_mode_32 3
		.amdhsa_float_denorm_mode_16_64 3
		.amdhsa_dx10_clamp 1
		.amdhsa_ieee_mode 1
		.amdhsa_fp16_overflow 0
		.amdhsa_workgroup_processor_mode 1
		.amdhsa_memory_ordered 1
		.amdhsa_forward_progress 1
		.amdhsa_shared_vgpr_count 0
		.amdhsa_exception_fp_ieee_invalid_op 0
		.amdhsa_exception_fp_denorm_src 0
		.amdhsa_exception_fp_ieee_div_zero 0
		.amdhsa_exception_fp_ieee_overflow 0
		.amdhsa_exception_fp_ieee_underflow 0
		.amdhsa_exception_fp_ieee_inexact 0
		.amdhsa_exception_int_div_zero 0
	.end_amdhsa_kernel
	.section	.text._ZN7rocprim17ROCPRIM_400000_NS6detail17trampoline_kernelINS0_14default_configENS1_21merge_config_selectorINS0_5tupleIJffEEENS0_10empty_typeEEEZNS1_10merge_implIS3_NS0_12zip_iteratorINS5_IJN6thrust23THRUST_200600_302600_NS6detail15normal_iteratorINSC_10device_ptrIKfEEEESI_EEEEESK_NSA_INS5_IJNSE_INSF_IfEEEESM_EEEEEPS7_SP_SP_NSC_11hip_rocprim7__merge17predicate_wrapperIffNSC_4lessIfEEEEEE10hipError_tPvRmT0_T1_T2_T3_T4_T5_mmT6_P12ihipStream_tbEUlT_E_NS1_11comp_targetILNS1_3genE8ELNS1_11target_archE1030ELNS1_3gpuE2ELNS1_3repE0EEENS1_30default_config_static_selectorELNS0_4arch9wavefront6targetE0EEEvS10_,"axG",@progbits,_ZN7rocprim17ROCPRIM_400000_NS6detail17trampoline_kernelINS0_14default_configENS1_21merge_config_selectorINS0_5tupleIJffEEENS0_10empty_typeEEEZNS1_10merge_implIS3_NS0_12zip_iteratorINS5_IJN6thrust23THRUST_200600_302600_NS6detail15normal_iteratorINSC_10device_ptrIKfEEEESI_EEEEESK_NSA_INS5_IJNSE_INSF_IfEEEESM_EEEEEPS7_SP_SP_NSC_11hip_rocprim7__merge17predicate_wrapperIffNSC_4lessIfEEEEEE10hipError_tPvRmT0_T1_T2_T3_T4_T5_mmT6_P12ihipStream_tbEUlT_E_NS1_11comp_targetILNS1_3genE8ELNS1_11target_archE1030ELNS1_3gpuE2ELNS1_3repE0EEENS1_30default_config_static_selectorELNS0_4arch9wavefront6targetE0EEEvS10_,comdat
.Lfunc_end67:
	.size	_ZN7rocprim17ROCPRIM_400000_NS6detail17trampoline_kernelINS0_14default_configENS1_21merge_config_selectorINS0_5tupleIJffEEENS0_10empty_typeEEEZNS1_10merge_implIS3_NS0_12zip_iteratorINS5_IJN6thrust23THRUST_200600_302600_NS6detail15normal_iteratorINSC_10device_ptrIKfEEEESI_EEEEESK_NSA_INS5_IJNSE_INSF_IfEEEESM_EEEEEPS7_SP_SP_NSC_11hip_rocprim7__merge17predicate_wrapperIffNSC_4lessIfEEEEEE10hipError_tPvRmT0_T1_T2_T3_T4_T5_mmT6_P12ihipStream_tbEUlT_E_NS1_11comp_targetILNS1_3genE8ELNS1_11target_archE1030ELNS1_3gpuE2ELNS1_3repE0EEENS1_30default_config_static_selectorELNS0_4arch9wavefront6targetE0EEEvS10_, .Lfunc_end67-_ZN7rocprim17ROCPRIM_400000_NS6detail17trampoline_kernelINS0_14default_configENS1_21merge_config_selectorINS0_5tupleIJffEEENS0_10empty_typeEEEZNS1_10merge_implIS3_NS0_12zip_iteratorINS5_IJN6thrust23THRUST_200600_302600_NS6detail15normal_iteratorINSC_10device_ptrIKfEEEESI_EEEEESK_NSA_INS5_IJNSE_INSF_IfEEEESM_EEEEEPS7_SP_SP_NSC_11hip_rocprim7__merge17predicate_wrapperIffNSC_4lessIfEEEEEE10hipError_tPvRmT0_T1_T2_T3_T4_T5_mmT6_P12ihipStream_tbEUlT_E_NS1_11comp_targetILNS1_3genE8ELNS1_11target_archE1030ELNS1_3gpuE2ELNS1_3repE0EEENS1_30default_config_static_selectorELNS0_4arch9wavefront6targetE0EEEvS10_
                                        ; -- End function
	.set _ZN7rocprim17ROCPRIM_400000_NS6detail17trampoline_kernelINS0_14default_configENS1_21merge_config_selectorINS0_5tupleIJffEEENS0_10empty_typeEEEZNS1_10merge_implIS3_NS0_12zip_iteratorINS5_IJN6thrust23THRUST_200600_302600_NS6detail15normal_iteratorINSC_10device_ptrIKfEEEESI_EEEEESK_NSA_INS5_IJNSE_INSF_IfEEEESM_EEEEEPS7_SP_SP_NSC_11hip_rocprim7__merge17predicate_wrapperIffNSC_4lessIfEEEEEE10hipError_tPvRmT0_T1_T2_T3_T4_T5_mmT6_P12ihipStream_tbEUlT_E_NS1_11comp_targetILNS1_3genE8ELNS1_11target_archE1030ELNS1_3gpuE2ELNS1_3repE0EEENS1_30default_config_static_selectorELNS0_4arch9wavefront6targetE0EEEvS10_.num_vgpr, 13
	.set _ZN7rocprim17ROCPRIM_400000_NS6detail17trampoline_kernelINS0_14default_configENS1_21merge_config_selectorINS0_5tupleIJffEEENS0_10empty_typeEEEZNS1_10merge_implIS3_NS0_12zip_iteratorINS5_IJN6thrust23THRUST_200600_302600_NS6detail15normal_iteratorINSC_10device_ptrIKfEEEESI_EEEEESK_NSA_INS5_IJNSE_INSF_IfEEEESM_EEEEEPS7_SP_SP_NSC_11hip_rocprim7__merge17predicate_wrapperIffNSC_4lessIfEEEEEE10hipError_tPvRmT0_T1_T2_T3_T4_T5_mmT6_P12ihipStream_tbEUlT_E_NS1_11comp_targetILNS1_3genE8ELNS1_11target_archE1030ELNS1_3gpuE2ELNS1_3repE0EEENS1_30default_config_static_selectorELNS0_4arch9wavefront6targetE0EEEvS10_.num_agpr, 0
	.set _ZN7rocprim17ROCPRIM_400000_NS6detail17trampoline_kernelINS0_14default_configENS1_21merge_config_selectorINS0_5tupleIJffEEENS0_10empty_typeEEEZNS1_10merge_implIS3_NS0_12zip_iteratorINS5_IJN6thrust23THRUST_200600_302600_NS6detail15normal_iteratorINSC_10device_ptrIKfEEEESI_EEEEESK_NSA_INS5_IJNSE_INSF_IfEEEESM_EEEEEPS7_SP_SP_NSC_11hip_rocprim7__merge17predicate_wrapperIffNSC_4lessIfEEEEEE10hipError_tPvRmT0_T1_T2_T3_T4_T5_mmT6_P12ihipStream_tbEUlT_E_NS1_11comp_targetILNS1_3genE8ELNS1_11target_archE1030ELNS1_3gpuE2ELNS1_3repE0EEENS1_30default_config_static_selectorELNS0_4arch9wavefront6targetE0EEEvS10_.numbered_sgpr, 16
	.set _ZN7rocprim17ROCPRIM_400000_NS6detail17trampoline_kernelINS0_14default_configENS1_21merge_config_selectorINS0_5tupleIJffEEENS0_10empty_typeEEEZNS1_10merge_implIS3_NS0_12zip_iteratorINS5_IJN6thrust23THRUST_200600_302600_NS6detail15normal_iteratorINSC_10device_ptrIKfEEEESI_EEEEESK_NSA_INS5_IJNSE_INSF_IfEEEESM_EEEEEPS7_SP_SP_NSC_11hip_rocprim7__merge17predicate_wrapperIffNSC_4lessIfEEEEEE10hipError_tPvRmT0_T1_T2_T3_T4_T5_mmT6_P12ihipStream_tbEUlT_E_NS1_11comp_targetILNS1_3genE8ELNS1_11target_archE1030ELNS1_3gpuE2ELNS1_3repE0EEENS1_30default_config_static_selectorELNS0_4arch9wavefront6targetE0EEEvS10_.num_named_barrier, 0
	.set _ZN7rocprim17ROCPRIM_400000_NS6detail17trampoline_kernelINS0_14default_configENS1_21merge_config_selectorINS0_5tupleIJffEEENS0_10empty_typeEEEZNS1_10merge_implIS3_NS0_12zip_iteratorINS5_IJN6thrust23THRUST_200600_302600_NS6detail15normal_iteratorINSC_10device_ptrIKfEEEESI_EEEEESK_NSA_INS5_IJNSE_INSF_IfEEEESM_EEEEEPS7_SP_SP_NSC_11hip_rocprim7__merge17predicate_wrapperIffNSC_4lessIfEEEEEE10hipError_tPvRmT0_T1_T2_T3_T4_T5_mmT6_P12ihipStream_tbEUlT_E_NS1_11comp_targetILNS1_3genE8ELNS1_11target_archE1030ELNS1_3gpuE2ELNS1_3repE0EEENS1_30default_config_static_selectorELNS0_4arch9wavefront6targetE0EEEvS10_.private_seg_size, 0
	.set _ZN7rocprim17ROCPRIM_400000_NS6detail17trampoline_kernelINS0_14default_configENS1_21merge_config_selectorINS0_5tupleIJffEEENS0_10empty_typeEEEZNS1_10merge_implIS3_NS0_12zip_iteratorINS5_IJN6thrust23THRUST_200600_302600_NS6detail15normal_iteratorINSC_10device_ptrIKfEEEESI_EEEEESK_NSA_INS5_IJNSE_INSF_IfEEEESM_EEEEEPS7_SP_SP_NSC_11hip_rocprim7__merge17predicate_wrapperIffNSC_4lessIfEEEEEE10hipError_tPvRmT0_T1_T2_T3_T4_T5_mmT6_P12ihipStream_tbEUlT_E_NS1_11comp_targetILNS1_3genE8ELNS1_11target_archE1030ELNS1_3gpuE2ELNS1_3repE0EEENS1_30default_config_static_selectorELNS0_4arch9wavefront6targetE0EEEvS10_.uses_vcc, 1
	.set _ZN7rocprim17ROCPRIM_400000_NS6detail17trampoline_kernelINS0_14default_configENS1_21merge_config_selectorINS0_5tupleIJffEEENS0_10empty_typeEEEZNS1_10merge_implIS3_NS0_12zip_iteratorINS5_IJN6thrust23THRUST_200600_302600_NS6detail15normal_iteratorINSC_10device_ptrIKfEEEESI_EEEEESK_NSA_INS5_IJNSE_INSF_IfEEEESM_EEEEEPS7_SP_SP_NSC_11hip_rocprim7__merge17predicate_wrapperIffNSC_4lessIfEEEEEE10hipError_tPvRmT0_T1_T2_T3_T4_T5_mmT6_P12ihipStream_tbEUlT_E_NS1_11comp_targetILNS1_3genE8ELNS1_11target_archE1030ELNS1_3gpuE2ELNS1_3repE0EEENS1_30default_config_static_selectorELNS0_4arch9wavefront6targetE0EEEvS10_.uses_flat_scratch, 0
	.set _ZN7rocprim17ROCPRIM_400000_NS6detail17trampoline_kernelINS0_14default_configENS1_21merge_config_selectorINS0_5tupleIJffEEENS0_10empty_typeEEEZNS1_10merge_implIS3_NS0_12zip_iteratorINS5_IJN6thrust23THRUST_200600_302600_NS6detail15normal_iteratorINSC_10device_ptrIKfEEEESI_EEEEESK_NSA_INS5_IJNSE_INSF_IfEEEESM_EEEEEPS7_SP_SP_NSC_11hip_rocprim7__merge17predicate_wrapperIffNSC_4lessIfEEEEEE10hipError_tPvRmT0_T1_T2_T3_T4_T5_mmT6_P12ihipStream_tbEUlT_E_NS1_11comp_targetILNS1_3genE8ELNS1_11target_archE1030ELNS1_3gpuE2ELNS1_3repE0EEENS1_30default_config_static_selectorELNS0_4arch9wavefront6targetE0EEEvS10_.has_dyn_sized_stack, 0
	.set _ZN7rocprim17ROCPRIM_400000_NS6detail17trampoline_kernelINS0_14default_configENS1_21merge_config_selectorINS0_5tupleIJffEEENS0_10empty_typeEEEZNS1_10merge_implIS3_NS0_12zip_iteratorINS5_IJN6thrust23THRUST_200600_302600_NS6detail15normal_iteratorINSC_10device_ptrIKfEEEESI_EEEEESK_NSA_INS5_IJNSE_INSF_IfEEEESM_EEEEEPS7_SP_SP_NSC_11hip_rocprim7__merge17predicate_wrapperIffNSC_4lessIfEEEEEE10hipError_tPvRmT0_T1_T2_T3_T4_T5_mmT6_P12ihipStream_tbEUlT_E_NS1_11comp_targetILNS1_3genE8ELNS1_11target_archE1030ELNS1_3gpuE2ELNS1_3repE0EEENS1_30default_config_static_selectorELNS0_4arch9wavefront6targetE0EEEvS10_.has_recursion, 0
	.set _ZN7rocprim17ROCPRIM_400000_NS6detail17trampoline_kernelINS0_14default_configENS1_21merge_config_selectorINS0_5tupleIJffEEENS0_10empty_typeEEEZNS1_10merge_implIS3_NS0_12zip_iteratorINS5_IJN6thrust23THRUST_200600_302600_NS6detail15normal_iteratorINSC_10device_ptrIKfEEEESI_EEEEESK_NSA_INS5_IJNSE_INSF_IfEEEESM_EEEEEPS7_SP_SP_NSC_11hip_rocprim7__merge17predicate_wrapperIffNSC_4lessIfEEEEEE10hipError_tPvRmT0_T1_T2_T3_T4_T5_mmT6_P12ihipStream_tbEUlT_E_NS1_11comp_targetILNS1_3genE8ELNS1_11target_archE1030ELNS1_3gpuE2ELNS1_3repE0EEENS1_30default_config_static_selectorELNS0_4arch9wavefront6targetE0EEEvS10_.has_indirect_call, 0
	.section	.AMDGPU.csdata,"",@progbits
; Kernel info:
; codeLenInByte = 520
; TotalNumSgprs: 18
; NumVgprs: 13
; ScratchSize: 0
; MemoryBound: 0
; FloatMode: 240
; IeeeMode: 1
; LDSByteSize: 0 bytes/workgroup (compile time only)
; SGPRBlocks: 0
; VGPRBlocks: 1
; NumSGPRsForWavesPerEU: 18
; NumVGPRsForWavesPerEU: 13
; Occupancy: 16
; WaveLimiterHint : 0
; COMPUTE_PGM_RSRC2:SCRATCH_EN: 0
; COMPUTE_PGM_RSRC2:USER_SGPR: 6
; COMPUTE_PGM_RSRC2:TRAP_HANDLER: 0
; COMPUTE_PGM_RSRC2:TGID_X_EN: 1
; COMPUTE_PGM_RSRC2:TGID_Y_EN: 0
; COMPUTE_PGM_RSRC2:TGID_Z_EN: 0
; COMPUTE_PGM_RSRC2:TIDIG_COMP_CNT: 0
	.section	.text._ZN7rocprim17ROCPRIM_400000_NS6detail17trampoline_kernelINS0_14default_configENS1_21merge_config_selectorINS0_5tupleIJffEEENS0_10empty_typeEEEZNS1_10merge_implIS3_NS0_12zip_iteratorINS5_IJN6thrust23THRUST_200600_302600_NS6detail15normal_iteratorINSC_10device_ptrIKfEEEESI_EEEEESK_NSA_INS5_IJNSE_INSF_IfEEEESM_EEEEEPS7_SP_SP_NSC_11hip_rocprim7__merge17predicate_wrapperIffNSC_4lessIfEEEEEE10hipError_tPvRmT0_T1_T2_T3_T4_T5_mmT6_P12ihipStream_tbEUlT_E0_NS1_11comp_targetILNS1_3genE0ELNS1_11target_archE4294967295ELNS1_3gpuE0ELNS1_3repE0EEENS1_30default_config_static_selectorELNS0_4arch9wavefront6targetE0EEEvS10_,"axG",@progbits,_ZN7rocprim17ROCPRIM_400000_NS6detail17trampoline_kernelINS0_14default_configENS1_21merge_config_selectorINS0_5tupleIJffEEENS0_10empty_typeEEEZNS1_10merge_implIS3_NS0_12zip_iteratorINS5_IJN6thrust23THRUST_200600_302600_NS6detail15normal_iteratorINSC_10device_ptrIKfEEEESI_EEEEESK_NSA_INS5_IJNSE_INSF_IfEEEESM_EEEEEPS7_SP_SP_NSC_11hip_rocprim7__merge17predicate_wrapperIffNSC_4lessIfEEEEEE10hipError_tPvRmT0_T1_T2_T3_T4_T5_mmT6_P12ihipStream_tbEUlT_E0_NS1_11comp_targetILNS1_3genE0ELNS1_11target_archE4294967295ELNS1_3gpuE0ELNS1_3repE0EEENS1_30default_config_static_selectorELNS0_4arch9wavefront6targetE0EEEvS10_,comdat
	.protected	_ZN7rocprim17ROCPRIM_400000_NS6detail17trampoline_kernelINS0_14default_configENS1_21merge_config_selectorINS0_5tupleIJffEEENS0_10empty_typeEEEZNS1_10merge_implIS3_NS0_12zip_iteratorINS5_IJN6thrust23THRUST_200600_302600_NS6detail15normal_iteratorINSC_10device_ptrIKfEEEESI_EEEEESK_NSA_INS5_IJNSE_INSF_IfEEEESM_EEEEEPS7_SP_SP_NSC_11hip_rocprim7__merge17predicate_wrapperIffNSC_4lessIfEEEEEE10hipError_tPvRmT0_T1_T2_T3_T4_T5_mmT6_P12ihipStream_tbEUlT_E0_NS1_11comp_targetILNS1_3genE0ELNS1_11target_archE4294967295ELNS1_3gpuE0ELNS1_3repE0EEENS1_30default_config_static_selectorELNS0_4arch9wavefront6targetE0EEEvS10_ ; -- Begin function _ZN7rocprim17ROCPRIM_400000_NS6detail17trampoline_kernelINS0_14default_configENS1_21merge_config_selectorINS0_5tupleIJffEEENS0_10empty_typeEEEZNS1_10merge_implIS3_NS0_12zip_iteratorINS5_IJN6thrust23THRUST_200600_302600_NS6detail15normal_iteratorINSC_10device_ptrIKfEEEESI_EEEEESK_NSA_INS5_IJNSE_INSF_IfEEEESM_EEEEEPS7_SP_SP_NSC_11hip_rocprim7__merge17predicate_wrapperIffNSC_4lessIfEEEEEE10hipError_tPvRmT0_T1_T2_T3_T4_T5_mmT6_P12ihipStream_tbEUlT_E0_NS1_11comp_targetILNS1_3genE0ELNS1_11target_archE4294967295ELNS1_3gpuE0ELNS1_3repE0EEENS1_30default_config_static_selectorELNS0_4arch9wavefront6targetE0EEEvS10_
	.globl	_ZN7rocprim17ROCPRIM_400000_NS6detail17trampoline_kernelINS0_14default_configENS1_21merge_config_selectorINS0_5tupleIJffEEENS0_10empty_typeEEEZNS1_10merge_implIS3_NS0_12zip_iteratorINS5_IJN6thrust23THRUST_200600_302600_NS6detail15normal_iteratorINSC_10device_ptrIKfEEEESI_EEEEESK_NSA_INS5_IJNSE_INSF_IfEEEESM_EEEEEPS7_SP_SP_NSC_11hip_rocprim7__merge17predicate_wrapperIffNSC_4lessIfEEEEEE10hipError_tPvRmT0_T1_T2_T3_T4_T5_mmT6_P12ihipStream_tbEUlT_E0_NS1_11comp_targetILNS1_3genE0ELNS1_11target_archE4294967295ELNS1_3gpuE0ELNS1_3repE0EEENS1_30default_config_static_selectorELNS0_4arch9wavefront6targetE0EEEvS10_
	.p2align	8
	.type	_ZN7rocprim17ROCPRIM_400000_NS6detail17trampoline_kernelINS0_14default_configENS1_21merge_config_selectorINS0_5tupleIJffEEENS0_10empty_typeEEEZNS1_10merge_implIS3_NS0_12zip_iteratorINS5_IJN6thrust23THRUST_200600_302600_NS6detail15normal_iteratorINSC_10device_ptrIKfEEEESI_EEEEESK_NSA_INS5_IJNSE_INSF_IfEEEESM_EEEEEPS7_SP_SP_NSC_11hip_rocprim7__merge17predicate_wrapperIffNSC_4lessIfEEEEEE10hipError_tPvRmT0_T1_T2_T3_T4_T5_mmT6_P12ihipStream_tbEUlT_E0_NS1_11comp_targetILNS1_3genE0ELNS1_11target_archE4294967295ELNS1_3gpuE0ELNS1_3repE0EEENS1_30default_config_static_selectorELNS0_4arch9wavefront6targetE0EEEvS10_,@function
_ZN7rocprim17ROCPRIM_400000_NS6detail17trampoline_kernelINS0_14default_configENS1_21merge_config_selectorINS0_5tupleIJffEEENS0_10empty_typeEEEZNS1_10merge_implIS3_NS0_12zip_iteratorINS5_IJN6thrust23THRUST_200600_302600_NS6detail15normal_iteratorINSC_10device_ptrIKfEEEESI_EEEEESK_NSA_INS5_IJNSE_INSF_IfEEEESM_EEEEEPS7_SP_SP_NSC_11hip_rocprim7__merge17predicate_wrapperIffNSC_4lessIfEEEEEE10hipError_tPvRmT0_T1_T2_T3_T4_T5_mmT6_P12ihipStream_tbEUlT_E0_NS1_11comp_targetILNS1_3genE0ELNS1_11target_archE4294967295ELNS1_3gpuE0ELNS1_3repE0EEENS1_30default_config_static_selectorELNS0_4arch9wavefront6targetE0EEEvS10_: ; @_ZN7rocprim17ROCPRIM_400000_NS6detail17trampoline_kernelINS0_14default_configENS1_21merge_config_selectorINS0_5tupleIJffEEENS0_10empty_typeEEEZNS1_10merge_implIS3_NS0_12zip_iteratorINS5_IJN6thrust23THRUST_200600_302600_NS6detail15normal_iteratorINSC_10device_ptrIKfEEEESI_EEEEESK_NSA_INS5_IJNSE_INSF_IfEEEESM_EEEEEPS7_SP_SP_NSC_11hip_rocprim7__merge17predicate_wrapperIffNSC_4lessIfEEEEEE10hipError_tPvRmT0_T1_T2_T3_T4_T5_mmT6_P12ihipStream_tbEUlT_E0_NS1_11comp_targetILNS1_3genE0ELNS1_11target_archE4294967295ELNS1_3gpuE0ELNS1_3repE0EEENS1_30default_config_static_selectorELNS0_4arch9wavefront6targetE0EEEvS10_
; %bb.0:
	.section	.rodata,"a",@progbits
	.p2align	6, 0x0
	.amdhsa_kernel _ZN7rocprim17ROCPRIM_400000_NS6detail17trampoline_kernelINS0_14default_configENS1_21merge_config_selectorINS0_5tupleIJffEEENS0_10empty_typeEEEZNS1_10merge_implIS3_NS0_12zip_iteratorINS5_IJN6thrust23THRUST_200600_302600_NS6detail15normal_iteratorINSC_10device_ptrIKfEEEESI_EEEEESK_NSA_INS5_IJNSE_INSF_IfEEEESM_EEEEEPS7_SP_SP_NSC_11hip_rocprim7__merge17predicate_wrapperIffNSC_4lessIfEEEEEE10hipError_tPvRmT0_T1_T2_T3_T4_T5_mmT6_P12ihipStream_tbEUlT_E0_NS1_11comp_targetILNS1_3genE0ELNS1_11target_archE4294967295ELNS1_3gpuE0ELNS1_3repE0EEENS1_30default_config_static_selectorELNS0_4arch9wavefront6targetE0EEEvS10_
		.amdhsa_group_segment_fixed_size 0
		.amdhsa_private_segment_fixed_size 0
		.amdhsa_kernarg_size 112
		.amdhsa_user_sgpr_count 6
		.amdhsa_user_sgpr_private_segment_buffer 1
		.amdhsa_user_sgpr_dispatch_ptr 0
		.amdhsa_user_sgpr_queue_ptr 0
		.amdhsa_user_sgpr_kernarg_segment_ptr 1
		.amdhsa_user_sgpr_dispatch_id 0
		.amdhsa_user_sgpr_flat_scratch_init 0
		.amdhsa_user_sgpr_private_segment_size 0
		.amdhsa_wavefront_size32 1
		.amdhsa_uses_dynamic_stack 0
		.amdhsa_system_sgpr_private_segment_wavefront_offset 0
		.amdhsa_system_sgpr_workgroup_id_x 1
		.amdhsa_system_sgpr_workgroup_id_y 0
		.amdhsa_system_sgpr_workgroup_id_z 0
		.amdhsa_system_sgpr_workgroup_info 0
		.amdhsa_system_vgpr_workitem_id 0
		.amdhsa_next_free_vgpr 1
		.amdhsa_next_free_sgpr 1
		.amdhsa_reserve_vcc 0
		.amdhsa_reserve_flat_scratch 0
		.amdhsa_float_round_mode_32 0
		.amdhsa_float_round_mode_16_64 0
		.amdhsa_float_denorm_mode_32 3
		.amdhsa_float_denorm_mode_16_64 3
		.amdhsa_dx10_clamp 1
		.amdhsa_ieee_mode 1
		.amdhsa_fp16_overflow 0
		.amdhsa_workgroup_processor_mode 1
		.amdhsa_memory_ordered 1
		.amdhsa_forward_progress 1
		.amdhsa_shared_vgpr_count 0
		.amdhsa_exception_fp_ieee_invalid_op 0
		.amdhsa_exception_fp_denorm_src 0
		.amdhsa_exception_fp_ieee_div_zero 0
		.amdhsa_exception_fp_ieee_overflow 0
		.amdhsa_exception_fp_ieee_underflow 0
		.amdhsa_exception_fp_ieee_inexact 0
		.amdhsa_exception_int_div_zero 0
	.end_amdhsa_kernel
	.section	.text._ZN7rocprim17ROCPRIM_400000_NS6detail17trampoline_kernelINS0_14default_configENS1_21merge_config_selectorINS0_5tupleIJffEEENS0_10empty_typeEEEZNS1_10merge_implIS3_NS0_12zip_iteratorINS5_IJN6thrust23THRUST_200600_302600_NS6detail15normal_iteratorINSC_10device_ptrIKfEEEESI_EEEEESK_NSA_INS5_IJNSE_INSF_IfEEEESM_EEEEEPS7_SP_SP_NSC_11hip_rocprim7__merge17predicate_wrapperIffNSC_4lessIfEEEEEE10hipError_tPvRmT0_T1_T2_T3_T4_T5_mmT6_P12ihipStream_tbEUlT_E0_NS1_11comp_targetILNS1_3genE0ELNS1_11target_archE4294967295ELNS1_3gpuE0ELNS1_3repE0EEENS1_30default_config_static_selectorELNS0_4arch9wavefront6targetE0EEEvS10_,"axG",@progbits,_ZN7rocprim17ROCPRIM_400000_NS6detail17trampoline_kernelINS0_14default_configENS1_21merge_config_selectorINS0_5tupleIJffEEENS0_10empty_typeEEEZNS1_10merge_implIS3_NS0_12zip_iteratorINS5_IJN6thrust23THRUST_200600_302600_NS6detail15normal_iteratorINSC_10device_ptrIKfEEEESI_EEEEESK_NSA_INS5_IJNSE_INSF_IfEEEESM_EEEEEPS7_SP_SP_NSC_11hip_rocprim7__merge17predicate_wrapperIffNSC_4lessIfEEEEEE10hipError_tPvRmT0_T1_T2_T3_T4_T5_mmT6_P12ihipStream_tbEUlT_E0_NS1_11comp_targetILNS1_3genE0ELNS1_11target_archE4294967295ELNS1_3gpuE0ELNS1_3repE0EEENS1_30default_config_static_selectorELNS0_4arch9wavefront6targetE0EEEvS10_,comdat
.Lfunc_end68:
	.size	_ZN7rocprim17ROCPRIM_400000_NS6detail17trampoline_kernelINS0_14default_configENS1_21merge_config_selectorINS0_5tupleIJffEEENS0_10empty_typeEEEZNS1_10merge_implIS3_NS0_12zip_iteratorINS5_IJN6thrust23THRUST_200600_302600_NS6detail15normal_iteratorINSC_10device_ptrIKfEEEESI_EEEEESK_NSA_INS5_IJNSE_INSF_IfEEEESM_EEEEEPS7_SP_SP_NSC_11hip_rocprim7__merge17predicate_wrapperIffNSC_4lessIfEEEEEE10hipError_tPvRmT0_T1_T2_T3_T4_T5_mmT6_P12ihipStream_tbEUlT_E0_NS1_11comp_targetILNS1_3genE0ELNS1_11target_archE4294967295ELNS1_3gpuE0ELNS1_3repE0EEENS1_30default_config_static_selectorELNS0_4arch9wavefront6targetE0EEEvS10_, .Lfunc_end68-_ZN7rocprim17ROCPRIM_400000_NS6detail17trampoline_kernelINS0_14default_configENS1_21merge_config_selectorINS0_5tupleIJffEEENS0_10empty_typeEEEZNS1_10merge_implIS3_NS0_12zip_iteratorINS5_IJN6thrust23THRUST_200600_302600_NS6detail15normal_iteratorINSC_10device_ptrIKfEEEESI_EEEEESK_NSA_INS5_IJNSE_INSF_IfEEEESM_EEEEEPS7_SP_SP_NSC_11hip_rocprim7__merge17predicate_wrapperIffNSC_4lessIfEEEEEE10hipError_tPvRmT0_T1_T2_T3_T4_T5_mmT6_P12ihipStream_tbEUlT_E0_NS1_11comp_targetILNS1_3genE0ELNS1_11target_archE4294967295ELNS1_3gpuE0ELNS1_3repE0EEENS1_30default_config_static_selectorELNS0_4arch9wavefront6targetE0EEEvS10_
                                        ; -- End function
	.set _ZN7rocprim17ROCPRIM_400000_NS6detail17trampoline_kernelINS0_14default_configENS1_21merge_config_selectorINS0_5tupleIJffEEENS0_10empty_typeEEEZNS1_10merge_implIS3_NS0_12zip_iteratorINS5_IJN6thrust23THRUST_200600_302600_NS6detail15normal_iteratorINSC_10device_ptrIKfEEEESI_EEEEESK_NSA_INS5_IJNSE_INSF_IfEEEESM_EEEEEPS7_SP_SP_NSC_11hip_rocprim7__merge17predicate_wrapperIffNSC_4lessIfEEEEEE10hipError_tPvRmT0_T1_T2_T3_T4_T5_mmT6_P12ihipStream_tbEUlT_E0_NS1_11comp_targetILNS1_3genE0ELNS1_11target_archE4294967295ELNS1_3gpuE0ELNS1_3repE0EEENS1_30default_config_static_selectorELNS0_4arch9wavefront6targetE0EEEvS10_.num_vgpr, 0
	.set _ZN7rocprim17ROCPRIM_400000_NS6detail17trampoline_kernelINS0_14default_configENS1_21merge_config_selectorINS0_5tupleIJffEEENS0_10empty_typeEEEZNS1_10merge_implIS3_NS0_12zip_iteratorINS5_IJN6thrust23THRUST_200600_302600_NS6detail15normal_iteratorINSC_10device_ptrIKfEEEESI_EEEEESK_NSA_INS5_IJNSE_INSF_IfEEEESM_EEEEEPS7_SP_SP_NSC_11hip_rocprim7__merge17predicate_wrapperIffNSC_4lessIfEEEEEE10hipError_tPvRmT0_T1_T2_T3_T4_T5_mmT6_P12ihipStream_tbEUlT_E0_NS1_11comp_targetILNS1_3genE0ELNS1_11target_archE4294967295ELNS1_3gpuE0ELNS1_3repE0EEENS1_30default_config_static_selectorELNS0_4arch9wavefront6targetE0EEEvS10_.num_agpr, 0
	.set _ZN7rocprim17ROCPRIM_400000_NS6detail17trampoline_kernelINS0_14default_configENS1_21merge_config_selectorINS0_5tupleIJffEEENS0_10empty_typeEEEZNS1_10merge_implIS3_NS0_12zip_iteratorINS5_IJN6thrust23THRUST_200600_302600_NS6detail15normal_iteratorINSC_10device_ptrIKfEEEESI_EEEEESK_NSA_INS5_IJNSE_INSF_IfEEEESM_EEEEEPS7_SP_SP_NSC_11hip_rocprim7__merge17predicate_wrapperIffNSC_4lessIfEEEEEE10hipError_tPvRmT0_T1_T2_T3_T4_T5_mmT6_P12ihipStream_tbEUlT_E0_NS1_11comp_targetILNS1_3genE0ELNS1_11target_archE4294967295ELNS1_3gpuE0ELNS1_3repE0EEENS1_30default_config_static_selectorELNS0_4arch9wavefront6targetE0EEEvS10_.numbered_sgpr, 0
	.set _ZN7rocprim17ROCPRIM_400000_NS6detail17trampoline_kernelINS0_14default_configENS1_21merge_config_selectorINS0_5tupleIJffEEENS0_10empty_typeEEEZNS1_10merge_implIS3_NS0_12zip_iteratorINS5_IJN6thrust23THRUST_200600_302600_NS6detail15normal_iteratorINSC_10device_ptrIKfEEEESI_EEEEESK_NSA_INS5_IJNSE_INSF_IfEEEESM_EEEEEPS7_SP_SP_NSC_11hip_rocprim7__merge17predicate_wrapperIffNSC_4lessIfEEEEEE10hipError_tPvRmT0_T1_T2_T3_T4_T5_mmT6_P12ihipStream_tbEUlT_E0_NS1_11comp_targetILNS1_3genE0ELNS1_11target_archE4294967295ELNS1_3gpuE0ELNS1_3repE0EEENS1_30default_config_static_selectorELNS0_4arch9wavefront6targetE0EEEvS10_.num_named_barrier, 0
	.set _ZN7rocprim17ROCPRIM_400000_NS6detail17trampoline_kernelINS0_14default_configENS1_21merge_config_selectorINS0_5tupleIJffEEENS0_10empty_typeEEEZNS1_10merge_implIS3_NS0_12zip_iteratorINS5_IJN6thrust23THRUST_200600_302600_NS6detail15normal_iteratorINSC_10device_ptrIKfEEEESI_EEEEESK_NSA_INS5_IJNSE_INSF_IfEEEESM_EEEEEPS7_SP_SP_NSC_11hip_rocprim7__merge17predicate_wrapperIffNSC_4lessIfEEEEEE10hipError_tPvRmT0_T1_T2_T3_T4_T5_mmT6_P12ihipStream_tbEUlT_E0_NS1_11comp_targetILNS1_3genE0ELNS1_11target_archE4294967295ELNS1_3gpuE0ELNS1_3repE0EEENS1_30default_config_static_selectorELNS0_4arch9wavefront6targetE0EEEvS10_.private_seg_size, 0
	.set _ZN7rocprim17ROCPRIM_400000_NS6detail17trampoline_kernelINS0_14default_configENS1_21merge_config_selectorINS0_5tupleIJffEEENS0_10empty_typeEEEZNS1_10merge_implIS3_NS0_12zip_iteratorINS5_IJN6thrust23THRUST_200600_302600_NS6detail15normal_iteratorINSC_10device_ptrIKfEEEESI_EEEEESK_NSA_INS5_IJNSE_INSF_IfEEEESM_EEEEEPS7_SP_SP_NSC_11hip_rocprim7__merge17predicate_wrapperIffNSC_4lessIfEEEEEE10hipError_tPvRmT0_T1_T2_T3_T4_T5_mmT6_P12ihipStream_tbEUlT_E0_NS1_11comp_targetILNS1_3genE0ELNS1_11target_archE4294967295ELNS1_3gpuE0ELNS1_3repE0EEENS1_30default_config_static_selectorELNS0_4arch9wavefront6targetE0EEEvS10_.uses_vcc, 0
	.set _ZN7rocprim17ROCPRIM_400000_NS6detail17trampoline_kernelINS0_14default_configENS1_21merge_config_selectorINS0_5tupleIJffEEENS0_10empty_typeEEEZNS1_10merge_implIS3_NS0_12zip_iteratorINS5_IJN6thrust23THRUST_200600_302600_NS6detail15normal_iteratorINSC_10device_ptrIKfEEEESI_EEEEESK_NSA_INS5_IJNSE_INSF_IfEEEESM_EEEEEPS7_SP_SP_NSC_11hip_rocprim7__merge17predicate_wrapperIffNSC_4lessIfEEEEEE10hipError_tPvRmT0_T1_T2_T3_T4_T5_mmT6_P12ihipStream_tbEUlT_E0_NS1_11comp_targetILNS1_3genE0ELNS1_11target_archE4294967295ELNS1_3gpuE0ELNS1_3repE0EEENS1_30default_config_static_selectorELNS0_4arch9wavefront6targetE0EEEvS10_.uses_flat_scratch, 0
	.set _ZN7rocprim17ROCPRIM_400000_NS6detail17trampoline_kernelINS0_14default_configENS1_21merge_config_selectorINS0_5tupleIJffEEENS0_10empty_typeEEEZNS1_10merge_implIS3_NS0_12zip_iteratorINS5_IJN6thrust23THRUST_200600_302600_NS6detail15normal_iteratorINSC_10device_ptrIKfEEEESI_EEEEESK_NSA_INS5_IJNSE_INSF_IfEEEESM_EEEEEPS7_SP_SP_NSC_11hip_rocprim7__merge17predicate_wrapperIffNSC_4lessIfEEEEEE10hipError_tPvRmT0_T1_T2_T3_T4_T5_mmT6_P12ihipStream_tbEUlT_E0_NS1_11comp_targetILNS1_3genE0ELNS1_11target_archE4294967295ELNS1_3gpuE0ELNS1_3repE0EEENS1_30default_config_static_selectorELNS0_4arch9wavefront6targetE0EEEvS10_.has_dyn_sized_stack, 0
	.set _ZN7rocprim17ROCPRIM_400000_NS6detail17trampoline_kernelINS0_14default_configENS1_21merge_config_selectorINS0_5tupleIJffEEENS0_10empty_typeEEEZNS1_10merge_implIS3_NS0_12zip_iteratorINS5_IJN6thrust23THRUST_200600_302600_NS6detail15normal_iteratorINSC_10device_ptrIKfEEEESI_EEEEESK_NSA_INS5_IJNSE_INSF_IfEEEESM_EEEEEPS7_SP_SP_NSC_11hip_rocprim7__merge17predicate_wrapperIffNSC_4lessIfEEEEEE10hipError_tPvRmT0_T1_T2_T3_T4_T5_mmT6_P12ihipStream_tbEUlT_E0_NS1_11comp_targetILNS1_3genE0ELNS1_11target_archE4294967295ELNS1_3gpuE0ELNS1_3repE0EEENS1_30default_config_static_selectorELNS0_4arch9wavefront6targetE0EEEvS10_.has_recursion, 0
	.set _ZN7rocprim17ROCPRIM_400000_NS6detail17trampoline_kernelINS0_14default_configENS1_21merge_config_selectorINS0_5tupleIJffEEENS0_10empty_typeEEEZNS1_10merge_implIS3_NS0_12zip_iteratorINS5_IJN6thrust23THRUST_200600_302600_NS6detail15normal_iteratorINSC_10device_ptrIKfEEEESI_EEEEESK_NSA_INS5_IJNSE_INSF_IfEEEESM_EEEEEPS7_SP_SP_NSC_11hip_rocprim7__merge17predicate_wrapperIffNSC_4lessIfEEEEEE10hipError_tPvRmT0_T1_T2_T3_T4_T5_mmT6_P12ihipStream_tbEUlT_E0_NS1_11comp_targetILNS1_3genE0ELNS1_11target_archE4294967295ELNS1_3gpuE0ELNS1_3repE0EEENS1_30default_config_static_selectorELNS0_4arch9wavefront6targetE0EEEvS10_.has_indirect_call, 0
	.section	.AMDGPU.csdata,"",@progbits
; Kernel info:
; codeLenInByte = 0
; TotalNumSgprs: 0
; NumVgprs: 0
; ScratchSize: 0
; MemoryBound: 0
; FloatMode: 240
; IeeeMode: 1
; LDSByteSize: 0 bytes/workgroup (compile time only)
; SGPRBlocks: 0
; VGPRBlocks: 0
; NumSGPRsForWavesPerEU: 1
; NumVGPRsForWavesPerEU: 1
; Occupancy: 16
; WaveLimiterHint : 0
; COMPUTE_PGM_RSRC2:SCRATCH_EN: 0
; COMPUTE_PGM_RSRC2:USER_SGPR: 6
; COMPUTE_PGM_RSRC2:TRAP_HANDLER: 0
; COMPUTE_PGM_RSRC2:TGID_X_EN: 1
; COMPUTE_PGM_RSRC2:TGID_Y_EN: 0
; COMPUTE_PGM_RSRC2:TGID_Z_EN: 0
; COMPUTE_PGM_RSRC2:TIDIG_COMP_CNT: 0
	.section	.text._ZN7rocprim17ROCPRIM_400000_NS6detail17trampoline_kernelINS0_14default_configENS1_21merge_config_selectorINS0_5tupleIJffEEENS0_10empty_typeEEEZNS1_10merge_implIS3_NS0_12zip_iteratorINS5_IJN6thrust23THRUST_200600_302600_NS6detail15normal_iteratorINSC_10device_ptrIKfEEEESI_EEEEESK_NSA_INS5_IJNSE_INSF_IfEEEESM_EEEEEPS7_SP_SP_NSC_11hip_rocprim7__merge17predicate_wrapperIffNSC_4lessIfEEEEEE10hipError_tPvRmT0_T1_T2_T3_T4_T5_mmT6_P12ihipStream_tbEUlT_E0_NS1_11comp_targetILNS1_3genE5ELNS1_11target_archE942ELNS1_3gpuE9ELNS1_3repE0EEENS1_30default_config_static_selectorELNS0_4arch9wavefront6targetE0EEEvS10_,"axG",@progbits,_ZN7rocprim17ROCPRIM_400000_NS6detail17trampoline_kernelINS0_14default_configENS1_21merge_config_selectorINS0_5tupleIJffEEENS0_10empty_typeEEEZNS1_10merge_implIS3_NS0_12zip_iteratorINS5_IJN6thrust23THRUST_200600_302600_NS6detail15normal_iteratorINSC_10device_ptrIKfEEEESI_EEEEESK_NSA_INS5_IJNSE_INSF_IfEEEESM_EEEEEPS7_SP_SP_NSC_11hip_rocprim7__merge17predicate_wrapperIffNSC_4lessIfEEEEEE10hipError_tPvRmT0_T1_T2_T3_T4_T5_mmT6_P12ihipStream_tbEUlT_E0_NS1_11comp_targetILNS1_3genE5ELNS1_11target_archE942ELNS1_3gpuE9ELNS1_3repE0EEENS1_30default_config_static_selectorELNS0_4arch9wavefront6targetE0EEEvS10_,comdat
	.protected	_ZN7rocprim17ROCPRIM_400000_NS6detail17trampoline_kernelINS0_14default_configENS1_21merge_config_selectorINS0_5tupleIJffEEENS0_10empty_typeEEEZNS1_10merge_implIS3_NS0_12zip_iteratorINS5_IJN6thrust23THRUST_200600_302600_NS6detail15normal_iteratorINSC_10device_ptrIKfEEEESI_EEEEESK_NSA_INS5_IJNSE_INSF_IfEEEESM_EEEEEPS7_SP_SP_NSC_11hip_rocprim7__merge17predicate_wrapperIffNSC_4lessIfEEEEEE10hipError_tPvRmT0_T1_T2_T3_T4_T5_mmT6_P12ihipStream_tbEUlT_E0_NS1_11comp_targetILNS1_3genE5ELNS1_11target_archE942ELNS1_3gpuE9ELNS1_3repE0EEENS1_30default_config_static_selectorELNS0_4arch9wavefront6targetE0EEEvS10_ ; -- Begin function _ZN7rocprim17ROCPRIM_400000_NS6detail17trampoline_kernelINS0_14default_configENS1_21merge_config_selectorINS0_5tupleIJffEEENS0_10empty_typeEEEZNS1_10merge_implIS3_NS0_12zip_iteratorINS5_IJN6thrust23THRUST_200600_302600_NS6detail15normal_iteratorINSC_10device_ptrIKfEEEESI_EEEEESK_NSA_INS5_IJNSE_INSF_IfEEEESM_EEEEEPS7_SP_SP_NSC_11hip_rocprim7__merge17predicate_wrapperIffNSC_4lessIfEEEEEE10hipError_tPvRmT0_T1_T2_T3_T4_T5_mmT6_P12ihipStream_tbEUlT_E0_NS1_11comp_targetILNS1_3genE5ELNS1_11target_archE942ELNS1_3gpuE9ELNS1_3repE0EEENS1_30default_config_static_selectorELNS0_4arch9wavefront6targetE0EEEvS10_
	.globl	_ZN7rocprim17ROCPRIM_400000_NS6detail17trampoline_kernelINS0_14default_configENS1_21merge_config_selectorINS0_5tupleIJffEEENS0_10empty_typeEEEZNS1_10merge_implIS3_NS0_12zip_iteratorINS5_IJN6thrust23THRUST_200600_302600_NS6detail15normal_iteratorINSC_10device_ptrIKfEEEESI_EEEEESK_NSA_INS5_IJNSE_INSF_IfEEEESM_EEEEEPS7_SP_SP_NSC_11hip_rocprim7__merge17predicate_wrapperIffNSC_4lessIfEEEEEE10hipError_tPvRmT0_T1_T2_T3_T4_T5_mmT6_P12ihipStream_tbEUlT_E0_NS1_11comp_targetILNS1_3genE5ELNS1_11target_archE942ELNS1_3gpuE9ELNS1_3repE0EEENS1_30default_config_static_selectorELNS0_4arch9wavefront6targetE0EEEvS10_
	.p2align	8
	.type	_ZN7rocprim17ROCPRIM_400000_NS6detail17trampoline_kernelINS0_14default_configENS1_21merge_config_selectorINS0_5tupleIJffEEENS0_10empty_typeEEEZNS1_10merge_implIS3_NS0_12zip_iteratorINS5_IJN6thrust23THRUST_200600_302600_NS6detail15normal_iteratorINSC_10device_ptrIKfEEEESI_EEEEESK_NSA_INS5_IJNSE_INSF_IfEEEESM_EEEEEPS7_SP_SP_NSC_11hip_rocprim7__merge17predicate_wrapperIffNSC_4lessIfEEEEEE10hipError_tPvRmT0_T1_T2_T3_T4_T5_mmT6_P12ihipStream_tbEUlT_E0_NS1_11comp_targetILNS1_3genE5ELNS1_11target_archE942ELNS1_3gpuE9ELNS1_3repE0EEENS1_30default_config_static_selectorELNS0_4arch9wavefront6targetE0EEEvS10_,@function
_ZN7rocprim17ROCPRIM_400000_NS6detail17trampoline_kernelINS0_14default_configENS1_21merge_config_selectorINS0_5tupleIJffEEENS0_10empty_typeEEEZNS1_10merge_implIS3_NS0_12zip_iteratorINS5_IJN6thrust23THRUST_200600_302600_NS6detail15normal_iteratorINSC_10device_ptrIKfEEEESI_EEEEESK_NSA_INS5_IJNSE_INSF_IfEEEESM_EEEEEPS7_SP_SP_NSC_11hip_rocprim7__merge17predicate_wrapperIffNSC_4lessIfEEEEEE10hipError_tPvRmT0_T1_T2_T3_T4_T5_mmT6_P12ihipStream_tbEUlT_E0_NS1_11comp_targetILNS1_3genE5ELNS1_11target_archE942ELNS1_3gpuE9ELNS1_3repE0EEENS1_30default_config_static_selectorELNS0_4arch9wavefront6targetE0EEEvS10_: ; @_ZN7rocprim17ROCPRIM_400000_NS6detail17trampoline_kernelINS0_14default_configENS1_21merge_config_selectorINS0_5tupleIJffEEENS0_10empty_typeEEEZNS1_10merge_implIS3_NS0_12zip_iteratorINS5_IJN6thrust23THRUST_200600_302600_NS6detail15normal_iteratorINSC_10device_ptrIKfEEEESI_EEEEESK_NSA_INS5_IJNSE_INSF_IfEEEESM_EEEEEPS7_SP_SP_NSC_11hip_rocprim7__merge17predicate_wrapperIffNSC_4lessIfEEEEEE10hipError_tPvRmT0_T1_T2_T3_T4_T5_mmT6_P12ihipStream_tbEUlT_E0_NS1_11comp_targetILNS1_3genE5ELNS1_11target_archE942ELNS1_3gpuE9ELNS1_3repE0EEENS1_30default_config_static_selectorELNS0_4arch9wavefront6targetE0EEEvS10_
; %bb.0:
	.section	.rodata,"a",@progbits
	.p2align	6, 0x0
	.amdhsa_kernel _ZN7rocprim17ROCPRIM_400000_NS6detail17trampoline_kernelINS0_14default_configENS1_21merge_config_selectorINS0_5tupleIJffEEENS0_10empty_typeEEEZNS1_10merge_implIS3_NS0_12zip_iteratorINS5_IJN6thrust23THRUST_200600_302600_NS6detail15normal_iteratorINSC_10device_ptrIKfEEEESI_EEEEESK_NSA_INS5_IJNSE_INSF_IfEEEESM_EEEEEPS7_SP_SP_NSC_11hip_rocprim7__merge17predicate_wrapperIffNSC_4lessIfEEEEEE10hipError_tPvRmT0_T1_T2_T3_T4_T5_mmT6_P12ihipStream_tbEUlT_E0_NS1_11comp_targetILNS1_3genE5ELNS1_11target_archE942ELNS1_3gpuE9ELNS1_3repE0EEENS1_30default_config_static_selectorELNS0_4arch9wavefront6targetE0EEEvS10_
		.amdhsa_group_segment_fixed_size 0
		.amdhsa_private_segment_fixed_size 0
		.amdhsa_kernarg_size 112
		.amdhsa_user_sgpr_count 6
		.amdhsa_user_sgpr_private_segment_buffer 1
		.amdhsa_user_sgpr_dispatch_ptr 0
		.amdhsa_user_sgpr_queue_ptr 0
		.amdhsa_user_sgpr_kernarg_segment_ptr 1
		.amdhsa_user_sgpr_dispatch_id 0
		.amdhsa_user_sgpr_flat_scratch_init 0
		.amdhsa_user_sgpr_private_segment_size 0
		.amdhsa_wavefront_size32 1
		.amdhsa_uses_dynamic_stack 0
		.amdhsa_system_sgpr_private_segment_wavefront_offset 0
		.amdhsa_system_sgpr_workgroup_id_x 1
		.amdhsa_system_sgpr_workgroup_id_y 0
		.amdhsa_system_sgpr_workgroup_id_z 0
		.amdhsa_system_sgpr_workgroup_info 0
		.amdhsa_system_vgpr_workitem_id 0
		.amdhsa_next_free_vgpr 1
		.amdhsa_next_free_sgpr 1
		.amdhsa_reserve_vcc 0
		.amdhsa_reserve_flat_scratch 0
		.amdhsa_float_round_mode_32 0
		.amdhsa_float_round_mode_16_64 0
		.amdhsa_float_denorm_mode_32 3
		.amdhsa_float_denorm_mode_16_64 3
		.amdhsa_dx10_clamp 1
		.amdhsa_ieee_mode 1
		.amdhsa_fp16_overflow 0
		.amdhsa_workgroup_processor_mode 1
		.amdhsa_memory_ordered 1
		.amdhsa_forward_progress 1
		.amdhsa_shared_vgpr_count 0
		.amdhsa_exception_fp_ieee_invalid_op 0
		.amdhsa_exception_fp_denorm_src 0
		.amdhsa_exception_fp_ieee_div_zero 0
		.amdhsa_exception_fp_ieee_overflow 0
		.amdhsa_exception_fp_ieee_underflow 0
		.amdhsa_exception_fp_ieee_inexact 0
		.amdhsa_exception_int_div_zero 0
	.end_amdhsa_kernel
	.section	.text._ZN7rocprim17ROCPRIM_400000_NS6detail17trampoline_kernelINS0_14default_configENS1_21merge_config_selectorINS0_5tupleIJffEEENS0_10empty_typeEEEZNS1_10merge_implIS3_NS0_12zip_iteratorINS5_IJN6thrust23THRUST_200600_302600_NS6detail15normal_iteratorINSC_10device_ptrIKfEEEESI_EEEEESK_NSA_INS5_IJNSE_INSF_IfEEEESM_EEEEEPS7_SP_SP_NSC_11hip_rocprim7__merge17predicate_wrapperIffNSC_4lessIfEEEEEE10hipError_tPvRmT0_T1_T2_T3_T4_T5_mmT6_P12ihipStream_tbEUlT_E0_NS1_11comp_targetILNS1_3genE5ELNS1_11target_archE942ELNS1_3gpuE9ELNS1_3repE0EEENS1_30default_config_static_selectorELNS0_4arch9wavefront6targetE0EEEvS10_,"axG",@progbits,_ZN7rocprim17ROCPRIM_400000_NS6detail17trampoline_kernelINS0_14default_configENS1_21merge_config_selectorINS0_5tupleIJffEEENS0_10empty_typeEEEZNS1_10merge_implIS3_NS0_12zip_iteratorINS5_IJN6thrust23THRUST_200600_302600_NS6detail15normal_iteratorINSC_10device_ptrIKfEEEESI_EEEEESK_NSA_INS5_IJNSE_INSF_IfEEEESM_EEEEEPS7_SP_SP_NSC_11hip_rocprim7__merge17predicate_wrapperIffNSC_4lessIfEEEEEE10hipError_tPvRmT0_T1_T2_T3_T4_T5_mmT6_P12ihipStream_tbEUlT_E0_NS1_11comp_targetILNS1_3genE5ELNS1_11target_archE942ELNS1_3gpuE9ELNS1_3repE0EEENS1_30default_config_static_selectorELNS0_4arch9wavefront6targetE0EEEvS10_,comdat
.Lfunc_end69:
	.size	_ZN7rocprim17ROCPRIM_400000_NS6detail17trampoline_kernelINS0_14default_configENS1_21merge_config_selectorINS0_5tupleIJffEEENS0_10empty_typeEEEZNS1_10merge_implIS3_NS0_12zip_iteratorINS5_IJN6thrust23THRUST_200600_302600_NS6detail15normal_iteratorINSC_10device_ptrIKfEEEESI_EEEEESK_NSA_INS5_IJNSE_INSF_IfEEEESM_EEEEEPS7_SP_SP_NSC_11hip_rocprim7__merge17predicate_wrapperIffNSC_4lessIfEEEEEE10hipError_tPvRmT0_T1_T2_T3_T4_T5_mmT6_P12ihipStream_tbEUlT_E0_NS1_11comp_targetILNS1_3genE5ELNS1_11target_archE942ELNS1_3gpuE9ELNS1_3repE0EEENS1_30default_config_static_selectorELNS0_4arch9wavefront6targetE0EEEvS10_, .Lfunc_end69-_ZN7rocprim17ROCPRIM_400000_NS6detail17trampoline_kernelINS0_14default_configENS1_21merge_config_selectorINS0_5tupleIJffEEENS0_10empty_typeEEEZNS1_10merge_implIS3_NS0_12zip_iteratorINS5_IJN6thrust23THRUST_200600_302600_NS6detail15normal_iteratorINSC_10device_ptrIKfEEEESI_EEEEESK_NSA_INS5_IJNSE_INSF_IfEEEESM_EEEEEPS7_SP_SP_NSC_11hip_rocprim7__merge17predicate_wrapperIffNSC_4lessIfEEEEEE10hipError_tPvRmT0_T1_T2_T3_T4_T5_mmT6_P12ihipStream_tbEUlT_E0_NS1_11comp_targetILNS1_3genE5ELNS1_11target_archE942ELNS1_3gpuE9ELNS1_3repE0EEENS1_30default_config_static_selectorELNS0_4arch9wavefront6targetE0EEEvS10_
                                        ; -- End function
	.set _ZN7rocprim17ROCPRIM_400000_NS6detail17trampoline_kernelINS0_14default_configENS1_21merge_config_selectorINS0_5tupleIJffEEENS0_10empty_typeEEEZNS1_10merge_implIS3_NS0_12zip_iteratorINS5_IJN6thrust23THRUST_200600_302600_NS6detail15normal_iteratorINSC_10device_ptrIKfEEEESI_EEEEESK_NSA_INS5_IJNSE_INSF_IfEEEESM_EEEEEPS7_SP_SP_NSC_11hip_rocprim7__merge17predicate_wrapperIffNSC_4lessIfEEEEEE10hipError_tPvRmT0_T1_T2_T3_T4_T5_mmT6_P12ihipStream_tbEUlT_E0_NS1_11comp_targetILNS1_3genE5ELNS1_11target_archE942ELNS1_3gpuE9ELNS1_3repE0EEENS1_30default_config_static_selectorELNS0_4arch9wavefront6targetE0EEEvS10_.num_vgpr, 0
	.set _ZN7rocprim17ROCPRIM_400000_NS6detail17trampoline_kernelINS0_14default_configENS1_21merge_config_selectorINS0_5tupleIJffEEENS0_10empty_typeEEEZNS1_10merge_implIS3_NS0_12zip_iteratorINS5_IJN6thrust23THRUST_200600_302600_NS6detail15normal_iteratorINSC_10device_ptrIKfEEEESI_EEEEESK_NSA_INS5_IJNSE_INSF_IfEEEESM_EEEEEPS7_SP_SP_NSC_11hip_rocprim7__merge17predicate_wrapperIffNSC_4lessIfEEEEEE10hipError_tPvRmT0_T1_T2_T3_T4_T5_mmT6_P12ihipStream_tbEUlT_E0_NS1_11comp_targetILNS1_3genE5ELNS1_11target_archE942ELNS1_3gpuE9ELNS1_3repE0EEENS1_30default_config_static_selectorELNS0_4arch9wavefront6targetE0EEEvS10_.num_agpr, 0
	.set _ZN7rocprim17ROCPRIM_400000_NS6detail17trampoline_kernelINS0_14default_configENS1_21merge_config_selectorINS0_5tupleIJffEEENS0_10empty_typeEEEZNS1_10merge_implIS3_NS0_12zip_iteratorINS5_IJN6thrust23THRUST_200600_302600_NS6detail15normal_iteratorINSC_10device_ptrIKfEEEESI_EEEEESK_NSA_INS5_IJNSE_INSF_IfEEEESM_EEEEEPS7_SP_SP_NSC_11hip_rocprim7__merge17predicate_wrapperIffNSC_4lessIfEEEEEE10hipError_tPvRmT0_T1_T2_T3_T4_T5_mmT6_P12ihipStream_tbEUlT_E0_NS1_11comp_targetILNS1_3genE5ELNS1_11target_archE942ELNS1_3gpuE9ELNS1_3repE0EEENS1_30default_config_static_selectorELNS0_4arch9wavefront6targetE0EEEvS10_.numbered_sgpr, 0
	.set _ZN7rocprim17ROCPRIM_400000_NS6detail17trampoline_kernelINS0_14default_configENS1_21merge_config_selectorINS0_5tupleIJffEEENS0_10empty_typeEEEZNS1_10merge_implIS3_NS0_12zip_iteratorINS5_IJN6thrust23THRUST_200600_302600_NS6detail15normal_iteratorINSC_10device_ptrIKfEEEESI_EEEEESK_NSA_INS5_IJNSE_INSF_IfEEEESM_EEEEEPS7_SP_SP_NSC_11hip_rocprim7__merge17predicate_wrapperIffNSC_4lessIfEEEEEE10hipError_tPvRmT0_T1_T2_T3_T4_T5_mmT6_P12ihipStream_tbEUlT_E0_NS1_11comp_targetILNS1_3genE5ELNS1_11target_archE942ELNS1_3gpuE9ELNS1_3repE0EEENS1_30default_config_static_selectorELNS0_4arch9wavefront6targetE0EEEvS10_.num_named_barrier, 0
	.set _ZN7rocprim17ROCPRIM_400000_NS6detail17trampoline_kernelINS0_14default_configENS1_21merge_config_selectorINS0_5tupleIJffEEENS0_10empty_typeEEEZNS1_10merge_implIS3_NS0_12zip_iteratorINS5_IJN6thrust23THRUST_200600_302600_NS6detail15normal_iteratorINSC_10device_ptrIKfEEEESI_EEEEESK_NSA_INS5_IJNSE_INSF_IfEEEESM_EEEEEPS7_SP_SP_NSC_11hip_rocprim7__merge17predicate_wrapperIffNSC_4lessIfEEEEEE10hipError_tPvRmT0_T1_T2_T3_T4_T5_mmT6_P12ihipStream_tbEUlT_E0_NS1_11comp_targetILNS1_3genE5ELNS1_11target_archE942ELNS1_3gpuE9ELNS1_3repE0EEENS1_30default_config_static_selectorELNS0_4arch9wavefront6targetE0EEEvS10_.private_seg_size, 0
	.set _ZN7rocprim17ROCPRIM_400000_NS6detail17trampoline_kernelINS0_14default_configENS1_21merge_config_selectorINS0_5tupleIJffEEENS0_10empty_typeEEEZNS1_10merge_implIS3_NS0_12zip_iteratorINS5_IJN6thrust23THRUST_200600_302600_NS6detail15normal_iteratorINSC_10device_ptrIKfEEEESI_EEEEESK_NSA_INS5_IJNSE_INSF_IfEEEESM_EEEEEPS7_SP_SP_NSC_11hip_rocprim7__merge17predicate_wrapperIffNSC_4lessIfEEEEEE10hipError_tPvRmT0_T1_T2_T3_T4_T5_mmT6_P12ihipStream_tbEUlT_E0_NS1_11comp_targetILNS1_3genE5ELNS1_11target_archE942ELNS1_3gpuE9ELNS1_3repE0EEENS1_30default_config_static_selectorELNS0_4arch9wavefront6targetE0EEEvS10_.uses_vcc, 0
	.set _ZN7rocprim17ROCPRIM_400000_NS6detail17trampoline_kernelINS0_14default_configENS1_21merge_config_selectorINS0_5tupleIJffEEENS0_10empty_typeEEEZNS1_10merge_implIS3_NS0_12zip_iteratorINS5_IJN6thrust23THRUST_200600_302600_NS6detail15normal_iteratorINSC_10device_ptrIKfEEEESI_EEEEESK_NSA_INS5_IJNSE_INSF_IfEEEESM_EEEEEPS7_SP_SP_NSC_11hip_rocprim7__merge17predicate_wrapperIffNSC_4lessIfEEEEEE10hipError_tPvRmT0_T1_T2_T3_T4_T5_mmT6_P12ihipStream_tbEUlT_E0_NS1_11comp_targetILNS1_3genE5ELNS1_11target_archE942ELNS1_3gpuE9ELNS1_3repE0EEENS1_30default_config_static_selectorELNS0_4arch9wavefront6targetE0EEEvS10_.uses_flat_scratch, 0
	.set _ZN7rocprim17ROCPRIM_400000_NS6detail17trampoline_kernelINS0_14default_configENS1_21merge_config_selectorINS0_5tupleIJffEEENS0_10empty_typeEEEZNS1_10merge_implIS3_NS0_12zip_iteratorINS5_IJN6thrust23THRUST_200600_302600_NS6detail15normal_iteratorINSC_10device_ptrIKfEEEESI_EEEEESK_NSA_INS5_IJNSE_INSF_IfEEEESM_EEEEEPS7_SP_SP_NSC_11hip_rocprim7__merge17predicate_wrapperIffNSC_4lessIfEEEEEE10hipError_tPvRmT0_T1_T2_T3_T4_T5_mmT6_P12ihipStream_tbEUlT_E0_NS1_11comp_targetILNS1_3genE5ELNS1_11target_archE942ELNS1_3gpuE9ELNS1_3repE0EEENS1_30default_config_static_selectorELNS0_4arch9wavefront6targetE0EEEvS10_.has_dyn_sized_stack, 0
	.set _ZN7rocprim17ROCPRIM_400000_NS6detail17trampoline_kernelINS0_14default_configENS1_21merge_config_selectorINS0_5tupleIJffEEENS0_10empty_typeEEEZNS1_10merge_implIS3_NS0_12zip_iteratorINS5_IJN6thrust23THRUST_200600_302600_NS6detail15normal_iteratorINSC_10device_ptrIKfEEEESI_EEEEESK_NSA_INS5_IJNSE_INSF_IfEEEESM_EEEEEPS7_SP_SP_NSC_11hip_rocprim7__merge17predicate_wrapperIffNSC_4lessIfEEEEEE10hipError_tPvRmT0_T1_T2_T3_T4_T5_mmT6_P12ihipStream_tbEUlT_E0_NS1_11comp_targetILNS1_3genE5ELNS1_11target_archE942ELNS1_3gpuE9ELNS1_3repE0EEENS1_30default_config_static_selectorELNS0_4arch9wavefront6targetE0EEEvS10_.has_recursion, 0
	.set _ZN7rocprim17ROCPRIM_400000_NS6detail17trampoline_kernelINS0_14default_configENS1_21merge_config_selectorINS0_5tupleIJffEEENS0_10empty_typeEEEZNS1_10merge_implIS3_NS0_12zip_iteratorINS5_IJN6thrust23THRUST_200600_302600_NS6detail15normal_iteratorINSC_10device_ptrIKfEEEESI_EEEEESK_NSA_INS5_IJNSE_INSF_IfEEEESM_EEEEEPS7_SP_SP_NSC_11hip_rocprim7__merge17predicate_wrapperIffNSC_4lessIfEEEEEE10hipError_tPvRmT0_T1_T2_T3_T4_T5_mmT6_P12ihipStream_tbEUlT_E0_NS1_11comp_targetILNS1_3genE5ELNS1_11target_archE942ELNS1_3gpuE9ELNS1_3repE0EEENS1_30default_config_static_selectorELNS0_4arch9wavefront6targetE0EEEvS10_.has_indirect_call, 0
	.section	.AMDGPU.csdata,"",@progbits
; Kernel info:
; codeLenInByte = 0
; TotalNumSgprs: 0
; NumVgprs: 0
; ScratchSize: 0
; MemoryBound: 0
; FloatMode: 240
; IeeeMode: 1
; LDSByteSize: 0 bytes/workgroup (compile time only)
; SGPRBlocks: 0
; VGPRBlocks: 0
; NumSGPRsForWavesPerEU: 1
; NumVGPRsForWavesPerEU: 1
; Occupancy: 16
; WaveLimiterHint : 0
; COMPUTE_PGM_RSRC2:SCRATCH_EN: 0
; COMPUTE_PGM_RSRC2:USER_SGPR: 6
; COMPUTE_PGM_RSRC2:TRAP_HANDLER: 0
; COMPUTE_PGM_RSRC2:TGID_X_EN: 1
; COMPUTE_PGM_RSRC2:TGID_Y_EN: 0
; COMPUTE_PGM_RSRC2:TGID_Z_EN: 0
; COMPUTE_PGM_RSRC2:TIDIG_COMP_CNT: 0
	.section	.text._ZN7rocprim17ROCPRIM_400000_NS6detail17trampoline_kernelINS0_14default_configENS1_21merge_config_selectorINS0_5tupleIJffEEENS0_10empty_typeEEEZNS1_10merge_implIS3_NS0_12zip_iteratorINS5_IJN6thrust23THRUST_200600_302600_NS6detail15normal_iteratorINSC_10device_ptrIKfEEEESI_EEEEESK_NSA_INS5_IJNSE_INSF_IfEEEESM_EEEEEPS7_SP_SP_NSC_11hip_rocprim7__merge17predicate_wrapperIffNSC_4lessIfEEEEEE10hipError_tPvRmT0_T1_T2_T3_T4_T5_mmT6_P12ihipStream_tbEUlT_E0_NS1_11comp_targetILNS1_3genE4ELNS1_11target_archE910ELNS1_3gpuE8ELNS1_3repE0EEENS1_30default_config_static_selectorELNS0_4arch9wavefront6targetE0EEEvS10_,"axG",@progbits,_ZN7rocprim17ROCPRIM_400000_NS6detail17trampoline_kernelINS0_14default_configENS1_21merge_config_selectorINS0_5tupleIJffEEENS0_10empty_typeEEEZNS1_10merge_implIS3_NS0_12zip_iteratorINS5_IJN6thrust23THRUST_200600_302600_NS6detail15normal_iteratorINSC_10device_ptrIKfEEEESI_EEEEESK_NSA_INS5_IJNSE_INSF_IfEEEESM_EEEEEPS7_SP_SP_NSC_11hip_rocprim7__merge17predicate_wrapperIffNSC_4lessIfEEEEEE10hipError_tPvRmT0_T1_T2_T3_T4_T5_mmT6_P12ihipStream_tbEUlT_E0_NS1_11comp_targetILNS1_3genE4ELNS1_11target_archE910ELNS1_3gpuE8ELNS1_3repE0EEENS1_30default_config_static_selectorELNS0_4arch9wavefront6targetE0EEEvS10_,comdat
	.protected	_ZN7rocprim17ROCPRIM_400000_NS6detail17trampoline_kernelINS0_14default_configENS1_21merge_config_selectorINS0_5tupleIJffEEENS0_10empty_typeEEEZNS1_10merge_implIS3_NS0_12zip_iteratorINS5_IJN6thrust23THRUST_200600_302600_NS6detail15normal_iteratorINSC_10device_ptrIKfEEEESI_EEEEESK_NSA_INS5_IJNSE_INSF_IfEEEESM_EEEEEPS7_SP_SP_NSC_11hip_rocprim7__merge17predicate_wrapperIffNSC_4lessIfEEEEEE10hipError_tPvRmT0_T1_T2_T3_T4_T5_mmT6_P12ihipStream_tbEUlT_E0_NS1_11comp_targetILNS1_3genE4ELNS1_11target_archE910ELNS1_3gpuE8ELNS1_3repE0EEENS1_30default_config_static_selectorELNS0_4arch9wavefront6targetE0EEEvS10_ ; -- Begin function _ZN7rocprim17ROCPRIM_400000_NS6detail17trampoline_kernelINS0_14default_configENS1_21merge_config_selectorINS0_5tupleIJffEEENS0_10empty_typeEEEZNS1_10merge_implIS3_NS0_12zip_iteratorINS5_IJN6thrust23THRUST_200600_302600_NS6detail15normal_iteratorINSC_10device_ptrIKfEEEESI_EEEEESK_NSA_INS5_IJNSE_INSF_IfEEEESM_EEEEEPS7_SP_SP_NSC_11hip_rocprim7__merge17predicate_wrapperIffNSC_4lessIfEEEEEE10hipError_tPvRmT0_T1_T2_T3_T4_T5_mmT6_P12ihipStream_tbEUlT_E0_NS1_11comp_targetILNS1_3genE4ELNS1_11target_archE910ELNS1_3gpuE8ELNS1_3repE0EEENS1_30default_config_static_selectorELNS0_4arch9wavefront6targetE0EEEvS10_
	.globl	_ZN7rocprim17ROCPRIM_400000_NS6detail17trampoline_kernelINS0_14default_configENS1_21merge_config_selectorINS0_5tupleIJffEEENS0_10empty_typeEEEZNS1_10merge_implIS3_NS0_12zip_iteratorINS5_IJN6thrust23THRUST_200600_302600_NS6detail15normal_iteratorINSC_10device_ptrIKfEEEESI_EEEEESK_NSA_INS5_IJNSE_INSF_IfEEEESM_EEEEEPS7_SP_SP_NSC_11hip_rocprim7__merge17predicate_wrapperIffNSC_4lessIfEEEEEE10hipError_tPvRmT0_T1_T2_T3_T4_T5_mmT6_P12ihipStream_tbEUlT_E0_NS1_11comp_targetILNS1_3genE4ELNS1_11target_archE910ELNS1_3gpuE8ELNS1_3repE0EEENS1_30default_config_static_selectorELNS0_4arch9wavefront6targetE0EEEvS10_
	.p2align	8
	.type	_ZN7rocprim17ROCPRIM_400000_NS6detail17trampoline_kernelINS0_14default_configENS1_21merge_config_selectorINS0_5tupleIJffEEENS0_10empty_typeEEEZNS1_10merge_implIS3_NS0_12zip_iteratorINS5_IJN6thrust23THRUST_200600_302600_NS6detail15normal_iteratorINSC_10device_ptrIKfEEEESI_EEEEESK_NSA_INS5_IJNSE_INSF_IfEEEESM_EEEEEPS7_SP_SP_NSC_11hip_rocprim7__merge17predicate_wrapperIffNSC_4lessIfEEEEEE10hipError_tPvRmT0_T1_T2_T3_T4_T5_mmT6_P12ihipStream_tbEUlT_E0_NS1_11comp_targetILNS1_3genE4ELNS1_11target_archE910ELNS1_3gpuE8ELNS1_3repE0EEENS1_30default_config_static_selectorELNS0_4arch9wavefront6targetE0EEEvS10_,@function
_ZN7rocprim17ROCPRIM_400000_NS6detail17trampoline_kernelINS0_14default_configENS1_21merge_config_selectorINS0_5tupleIJffEEENS0_10empty_typeEEEZNS1_10merge_implIS3_NS0_12zip_iteratorINS5_IJN6thrust23THRUST_200600_302600_NS6detail15normal_iteratorINSC_10device_ptrIKfEEEESI_EEEEESK_NSA_INS5_IJNSE_INSF_IfEEEESM_EEEEEPS7_SP_SP_NSC_11hip_rocprim7__merge17predicate_wrapperIffNSC_4lessIfEEEEEE10hipError_tPvRmT0_T1_T2_T3_T4_T5_mmT6_P12ihipStream_tbEUlT_E0_NS1_11comp_targetILNS1_3genE4ELNS1_11target_archE910ELNS1_3gpuE8ELNS1_3repE0EEENS1_30default_config_static_selectorELNS0_4arch9wavefront6targetE0EEEvS10_: ; @_ZN7rocprim17ROCPRIM_400000_NS6detail17trampoline_kernelINS0_14default_configENS1_21merge_config_selectorINS0_5tupleIJffEEENS0_10empty_typeEEEZNS1_10merge_implIS3_NS0_12zip_iteratorINS5_IJN6thrust23THRUST_200600_302600_NS6detail15normal_iteratorINSC_10device_ptrIKfEEEESI_EEEEESK_NSA_INS5_IJNSE_INSF_IfEEEESM_EEEEEPS7_SP_SP_NSC_11hip_rocprim7__merge17predicate_wrapperIffNSC_4lessIfEEEEEE10hipError_tPvRmT0_T1_T2_T3_T4_T5_mmT6_P12ihipStream_tbEUlT_E0_NS1_11comp_targetILNS1_3genE4ELNS1_11target_archE910ELNS1_3gpuE8ELNS1_3repE0EEENS1_30default_config_static_selectorELNS0_4arch9wavefront6targetE0EEEvS10_
; %bb.0:
	.section	.rodata,"a",@progbits
	.p2align	6, 0x0
	.amdhsa_kernel _ZN7rocprim17ROCPRIM_400000_NS6detail17trampoline_kernelINS0_14default_configENS1_21merge_config_selectorINS0_5tupleIJffEEENS0_10empty_typeEEEZNS1_10merge_implIS3_NS0_12zip_iteratorINS5_IJN6thrust23THRUST_200600_302600_NS6detail15normal_iteratorINSC_10device_ptrIKfEEEESI_EEEEESK_NSA_INS5_IJNSE_INSF_IfEEEESM_EEEEEPS7_SP_SP_NSC_11hip_rocprim7__merge17predicate_wrapperIffNSC_4lessIfEEEEEE10hipError_tPvRmT0_T1_T2_T3_T4_T5_mmT6_P12ihipStream_tbEUlT_E0_NS1_11comp_targetILNS1_3genE4ELNS1_11target_archE910ELNS1_3gpuE8ELNS1_3repE0EEENS1_30default_config_static_selectorELNS0_4arch9wavefront6targetE0EEEvS10_
		.amdhsa_group_segment_fixed_size 0
		.amdhsa_private_segment_fixed_size 0
		.amdhsa_kernarg_size 112
		.amdhsa_user_sgpr_count 6
		.amdhsa_user_sgpr_private_segment_buffer 1
		.amdhsa_user_sgpr_dispatch_ptr 0
		.amdhsa_user_sgpr_queue_ptr 0
		.amdhsa_user_sgpr_kernarg_segment_ptr 1
		.amdhsa_user_sgpr_dispatch_id 0
		.amdhsa_user_sgpr_flat_scratch_init 0
		.amdhsa_user_sgpr_private_segment_size 0
		.amdhsa_wavefront_size32 1
		.amdhsa_uses_dynamic_stack 0
		.amdhsa_system_sgpr_private_segment_wavefront_offset 0
		.amdhsa_system_sgpr_workgroup_id_x 1
		.amdhsa_system_sgpr_workgroup_id_y 0
		.amdhsa_system_sgpr_workgroup_id_z 0
		.amdhsa_system_sgpr_workgroup_info 0
		.amdhsa_system_vgpr_workitem_id 0
		.amdhsa_next_free_vgpr 1
		.amdhsa_next_free_sgpr 1
		.amdhsa_reserve_vcc 0
		.amdhsa_reserve_flat_scratch 0
		.amdhsa_float_round_mode_32 0
		.amdhsa_float_round_mode_16_64 0
		.amdhsa_float_denorm_mode_32 3
		.amdhsa_float_denorm_mode_16_64 3
		.amdhsa_dx10_clamp 1
		.amdhsa_ieee_mode 1
		.amdhsa_fp16_overflow 0
		.amdhsa_workgroup_processor_mode 1
		.amdhsa_memory_ordered 1
		.amdhsa_forward_progress 1
		.amdhsa_shared_vgpr_count 0
		.amdhsa_exception_fp_ieee_invalid_op 0
		.amdhsa_exception_fp_denorm_src 0
		.amdhsa_exception_fp_ieee_div_zero 0
		.amdhsa_exception_fp_ieee_overflow 0
		.amdhsa_exception_fp_ieee_underflow 0
		.amdhsa_exception_fp_ieee_inexact 0
		.amdhsa_exception_int_div_zero 0
	.end_amdhsa_kernel
	.section	.text._ZN7rocprim17ROCPRIM_400000_NS6detail17trampoline_kernelINS0_14default_configENS1_21merge_config_selectorINS0_5tupleIJffEEENS0_10empty_typeEEEZNS1_10merge_implIS3_NS0_12zip_iteratorINS5_IJN6thrust23THRUST_200600_302600_NS6detail15normal_iteratorINSC_10device_ptrIKfEEEESI_EEEEESK_NSA_INS5_IJNSE_INSF_IfEEEESM_EEEEEPS7_SP_SP_NSC_11hip_rocprim7__merge17predicate_wrapperIffNSC_4lessIfEEEEEE10hipError_tPvRmT0_T1_T2_T3_T4_T5_mmT6_P12ihipStream_tbEUlT_E0_NS1_11comp_targetILNS1_3genE4ELNS1_11target_archE910ELNS1_3gpuE8ELNS1_3repE0EEENS1_30default_config_static_selectorELNS0_4arch9wavefront6targetE0EEEvS10_,"axG",@progbits,_ZN7rocprim17ROCPRIM_400000_NS6detail17trampoline_kernelINS0_14default_configENS1_21merge_config_selectorINS0_5tupleIJffEEENS0_10empty_typeEEEZNS1_10merge_implIS3_NS0_12zip_iteratorINS5_IJN6thrust23THRUST_200600_302600_NS6detail15normal_iteratorINSC_10device_ptrIKfEEEESI_EEEEESK_NSA_INS5_IJNSE_INSF_IfEEEESM_EEEEEPS7_SP_SP_NSC_11hip_rocprim7__merge17predicate_wrapperIffNSC_4lessIfEEEEEE10hipError_tPvRmT0_T1_T2_T3_T4_T5_mmT6_P12ihipStream_tbEUlT_E0_NS1_11comp_targetILNS1_3genE4ELNS1_11target_archE910ELNS1_3gpuE8ELNS1_3repE0EEENS1_30default_config_static_selectorELNS0_4arch9wavefront6targetE0EEEvS10_,comdat
.Lfunc_end70:
	.size	_ZN7rocprim17ROCPRIM_400000_NS6detail17trampoline_kernelINS0_14default_configENS1_21merge_config_selectorINS0_5tupleIJffEEENS0_10empty_typeEEEZNS1_10merge_implIS3_NS0_12zip_iteratorINS5_IJN6thrust23THRUST_200600_302600_NS6detail15normal_iteratorINSC_10device_ptrIKfEEEESI_EEEEESK_NSA_INS5_IJNSE_INSF_IfEEEESM_EEEEEPS7_SP_SP_NSC_11hip_rocprim7__merge17predicate_wrapperIffNSC_4lessIfEEEEEE10hipError_tPvRmT0_T1_T2_T3_T4_T5_mmT6_P12ihipStream_tbEUlT_E0_NS1_11comp_targetILNS1_3genE4ELNS1_11target_archE910ELNS1_3gpuE8ELNS1_3repE0EEENS1_30default_config_static_selectorELNS0_4arch9wavefront6targetE0EEEvS10_, .Lfunc_end70-_ZN7rocprim17ROCPRIM_400000_NS6detail17trampoline_kernelINS0_14default_configENS1_21merge_config_selectorINS0_5tupleIJffEEENS0_10empty_typeEEEZNS1_10merge_implIS3_NS0_12zip_iteratorINS5_IJN6thrust23THRUST_200600_302600_NS6detail15normal_iteratorINSC_10device_ptrIKfEEEESI_EEEEESK_NSA_INS5_IJNSE_INSF_IfEEEESM_EEEEEPS7_SP_SP_NSC_11hip_rocprim7__merge17predicate_wrapperIffNSC_4lessIfEEEEEE10hipError_tPvRmT0_T1_T2_T3_T4_T5_mmT6_P12ihipStream_tbEUlT_E0_NS1_11comp_targetILNS1_3genE4ELNS1_11target_archE910ELNS1_3gpuE8ELNS1_3repE0EEENS1_30default_config_static_selectorELNS0_4arch9wavefront6targetE0EEEvS10_
                                        ; -- End function
	.set _ZN7rocprim17ROCPRIM_400000_NS6detail17trampoline_kernelINS0_14default_configENS1_21merge_config_selectorINS0_5tupleIJffEEENS0_10empty_typeEEEZNS1_10merge_implIS3_NS0_12zip_iteratorINS5_IJN6thrust23THRUST_200600_302600_NS6detail15normal_iteratorINSC_10device_ptrIKfEEEESI_EEEEESK_NSA_INS5_IJNSE_INSF_IfEEEESM_EEEEEPS7_SP_SP_NSC_11hip_rocprim7__merge17predicate_wrapperIffNSC_4lessIfEEEEEE10hipError_tPvRmT0_T1_T2_T3_T4_T5_mmT6_P12ihipStream_tbEUlT_E0_NS1_11comp_targetILNS1_3genE4ELNS1_11target_archE910ELNS1_3gpuE8ELNS1_3repE0EEENS1_30default_config_static_selectorELNS0_4arch9wavefront6targetE0EEEvS10_.num_vgpr, 0
	.set _ZN7rocprim17ROCPRIM_400000_NS6detail17trampoline_kernelINS0_14default_configENS1_21merge_config_selectorINS0_5tupleIJffEEENS0_10empty_typeEEEZNS1_10merge_implIS3_NS0_12zip_iteratorINS5_IJN6thrust23THRUST_200600_302600_NS6detail15normal_iteratorINSC_10device_ptrIKfEEEESI_EEEEESK_NSA_INS5_IJNSE_INSF_IfEEEESM_EEEEEPS7_SP_SP_NSC_11hip_rocprim7__merge17predicate_wrapperIffNSC_4lessIfEEEEEE10hipError_tPvRmT0_T1_T2_T3_T4_T5_mmT6_P12ihipStream_tbEUlT_E0_NS1_11comp_targetILNS1_3genE4ELNS1_11target_archE910ELNS1_3gpuE8ELNS1_3repE0EEENS1_30default_config_static_selectorELNS0_4arch9wavefront6targetE0EEEvS10_.num_agpr, 0
	.set _ZN7rocprim17ROCPRIM_400000_NS6detail17trampoline_kernelINS0_14default_configENS1_21merge_config_selectorINS0_5tupleIJffEEENS0_10empty_typeEEEZNS1_10merge_implIS3_NS0_12zip_iteratorINS5_IJN6thrust23THRUST_200600_302600_NS6detail15normal_iteratorINSC_10device_ptrIKfEEEESI_EEEEESK_NSA_INS5_IJNSE_INSF_IfEEEESM_EEEEEPS7_SP_SP_NSC_11hip_rocprim7__merge17predicate_wrapperIffNSC_4lessIfEEEEEE10hipError_tPvRmT0_T1_T2_T3_T4_T5_mmT6_P12ihipStream_tbEUlT_E0_NS1_11comp_targetILNS1_3genE4ELNS1_11target_archE910ELNS1_3gpuE8ELNS1_3repE0EEENS1_30default_config_static_selectorELNS0_4arch9wavefront6targetE0EEEvS10_.numbered_sgpr, 0
	.set _ZN7rocprim17ROCPRIM_400000_NS6detail17trampoline_kernelINS0_14default_configENS1_21merge_config_selectorINS0_5tupleIJffEEENS0_10empty_typeEEEZNS1_10merge_implIS3_NS0_12zip_iteratorINS5_IJN6thrust23THRUST_200600_302600_NS6detail15normal_iteratorINSC_10device_ptrIKfEEEESI_EEEEESK_NSA_INS5_IJNSE_INSF_IfEEEESM_EEEEEPS7_SP_SP_NSC_11hip_rocprim7__merge17predicate_wrapperIffNSC_4lessIfEEEEEE10hipError_tPvRmT0_T1_T2_T3_T4_T5_mmT6_P12ihipStream_tbEUlT_E0_NS1_11comp_targetILNS1_3genE4ELNS1_11target_archE910ELNS1_3gpuE8ELNS1_3repE0EEENS1_30default_config_static_selectorELNS0_4arch9wavefront6targetE0EEEvS10_.num_named_barrier, 0
	.set _ZN7rocprim17ROCPRIM_400000_NS6detail17trampoline_kernelINS0_14default_configENS1_21merge_config_selectorINS0_5tupleIJffEEENS0_10empty_typeEEEZNS1_10merge_implIS3_NS0_12zip_iteratorINS5_IJN6thrust23THRUST_200600_302600_NS6detail15normal_iteratorINSC_10device_ptrIKfEEEESI_EEEEESK_NSA_INS5_IJNSE_INSF_IfEEEESM_EEEEEPS7_SP_SP_NSC_11hip_rocprim7__merge17predicate_wrapperIffNSC_4lessIfEEEEEE10hipError_tPvRmT0_T1_T2_T3_T4_T5_mmT6_P12ihipStream_tbEUlT_E0_NS1_11comp_targetILNS1_3genE4ELNS1_11target_archE910ELNS1_3gpuE8ELNS1_3repE0EEENS1_30default_config_static_selectorELNS0_4arch9wavefront6targetE0EEEvS10_.private_seg_size, 0
	.set _ZN7rocprim17ROCPRIM_400000_NS6detail17trampoline_kernelINS0_14default_configENS1_21merge_config_selectorINS0_5tupleIJffEEENS0_10empty_typeEEEZNS1_10merge_implIS3_NS0_12zip_iteratorINS5_IJN6thrust23THRUST_200600_302600_NS6detail15normal_iteratorINSC_10device_ptrIKfEEEESI_EEEEESK_NSA_INS5_IJNSE_INSF_IfEEEESM_EEEEEPS7_SP_SP_NSC_11hip_rocprim7__merge17predicate_wrapperIffNSC_4lessIfEEEEEE10hipError_tPvRmT0_T1_T2_T3_T4_T5_mmT6_P12ihipStream_tbEUlT_E0_NS1_11comp_targetILNS1_3genE4ELNS1_11target_archE910ELNS1_3gpuE8ELNS1_3repE0EEENS1_30default_config_static_selectorELNS0_4arch9wavefront6targetE0EEEvS10_.uses_vcc, 0
	.set _ZN7rocprim17ROCPRIM_400000_NS6detail17trampoline_kernelINS0_14default_configENS1_21merge_config_selectorINS0_5tupleIJffEEENS0_10empty_typeEEEZNS1_10merge_implIS3_NS0_12zip_iteratorINS5_IJN6thrust23THRUST_200600_302600_NS6detail15normal_iteratorINSC_10device_ptrIKfEEEESI_EEEEESK_NSA_INS5_IJNSE_INSF_IfEEEESM_EEEEEPS7_SP_SP_NSC_11hip_rocprim7__merge17predicate_wrapperIffNSC_4lessIfEEEEEE10hipError_tPvRmT0_T1_T2_T3_T4_T5_mmT6_P12ihipStream_tbEUlT_E0_NS1_11comp_targetILNS1_3genE4ELNS1_11target_archE910ELNS1_3gpuE8ELNS1_3repE0EEENS1_30default_config_static_selectorELNS0_4arch9wavefront6targetE0EEEvS10_.uses_flat_scratch, 0
	.set _ZN7rocprim17ROCPRIM_400000_NS6detail17trampoline_kernelINS0_14default_configENS1_21merge_config_selectorINS0_5tupleIJffEEENS0_10empty_typeEEEZNS1_10merge_implIS3_NS0_12zip_iteratorINS5_IJN6thrust23THRUST_200600_302600_NS6detail15normal_iteratorINSC_10device_ptrIKfEEEESI_EEEEESK_NSA_INS5_IJNSE_INSF_IfEEEESM_EEEEEPS7_SP_SP_NSC_11hip_rocprim7__merge17predicate_wrapperIffNSC_4lessIfEEEEEE10hipError_tPvRmT0_T1_T2_T3_T4_T5_mmT6_P12ihipStream_tbEUlT_E0_NS1_11comp_targetILNS1_3genE4ELNS1_11target_archE910ELNS1_3gpuE8ELNS1_3repE0EEENS1_30default_config_static_selectorELNS0_4arch9wavefront6targetE0EEEvS10_.has_dyn_sized_stack, 0
	.set _ZN7rocprim17ROCPRIM_400000_NS6detail17trampoline_kernelINS0_14default_configENS1_21merge_config_selectorINS0_5tupleIJffEEENS0_10empty_typeEEEZNS1_10merge_implIS3_NS0_12zip_iteratorINS5_IJN6thrust23THRUST_200600_302600_NS6detail15normal_iteratorINSC_10device_ptrIKfEEEESI_EEEEESK_NSA_INS5_IJNSE_INSF_IfEEEESM_EEEEEPS7_SP_SP_NSC_11hip_rocprim7__merge17predicate_wrapperIffNSC_4lessIfEEEEEE10hipError_tPvRmT0_T1_T2_T3_T4_T5_mmT6_P12ihipStream_tbEUlT_E0_NS1_11comp_targetILNS1_3genE4ELNS1_11target_archE910ELNS1_3gpuE8ELNS1_3repE0EEENS1_30default_config_static_selectorELNS0_4arch9wavefront6targetE0EEEvS10_.has_recursion, 0
	.set _ZN7rocprim17ROCPRIM_400000_NS6detail17trampoline_kernelINS0_14default_configENS1_21merge_config_selectorINS0_5tupleIJffEEENS0_10empty_typeEEEZNS1_10merge_implIS3_NS0_12zip_iteratorINS5_IJN6thrust23THRUST_200600_302600_NS6detail15normal_iteratorINSC_10device_ptrIKfEEEESI_EEEEESK_NSA_INS5_IJNSE_INSF_IfEEEESM_EEEEEPS7_SP_SP_NSC_11hip_rocprim7__merge17predicate_wrapperIffNSC_4lessIfEEEEEE10hipError_tPvRmT0_T1_T2_T3_T4_T5_mmT6_P12ihipStream_tbEUlT_E0_NS1_11comp_targetILNS1_3genE4ELNS1_11target_archE910ELNS1_3gpuE8ELNS1_3repE0EEENS1_30default_config_static_selectorELNS0_4arch9wavefront6targetE0EEEvS10_.has_indirect_call, 0
	.section	.AMDGPU.csdata,"",@progbits
; Kernel info:
; codeLenInByte = 0
; TotalNumSgprs: 0
; NumVgprs: 0
; ScratchSize: 0
; MemoryBound: 0
; FloatMode: 240
; IeeeMode: 1
; LDSByteSize: 0 bytes/workgroup (compile time only)
; SGPRBlocks: 0
; VGPRBlocks: 0
; NumSGPRsForWavesPerEU: 1
; NumVGPRsForWavesPerEU: 1
; Occupancy: 16
; WaveLimiterHint : 0
; COMPUTE_PGM_RSRC2:SCRATCH_EN: 0
; COMPUTE_PGM_RSRC2:USER_SGPR: 6
; COMPUTE_PGM_RSRC2:TRAP_HANDLER: 0
; COMPUTE_PGM_RSRC2:TGID_X_EN: 1
; COMPUTE_PGM_RSRC2:TGID_Y_EN: 0
; COMPUTE_PGM_RSRC2:TGID_Z_EN: 0
; COMPUTE_PGM_RSRC2:TIDIG_COMP_CNT: 0
	.section	.text._ZN7rocprim17ROCPRIM_400000_NS6detail17trampoline_kernelINS0_14default_configENS1_21merge_config_selectorINS0_5tupleIJffEEENS0_10empty_typeEEEZNS1_10merge_implIS3_NS0_12zip_iteratorINS5_IJN6thrust23THRUST_200600_302600_NS6detail15normal_iteratorINSC_10device_ptrIKfEEEESI_EEEEESK_NSA_INS5_IJNSE_INSF_IfEEEESM_EEEEEPS7_SP_SP_NSC_11hip_rocprim7__merge17predicate_wrapperIffNSC_4lessIfEEEEEE10hipError_tPvRmT0_T1_T2_T3_T4_T5_mmT6_P12ihipStream_tbEUlT_E0_NS1_11comp_targetILNS1_3genE3ELNS1_11target_archE908ELNS1_3gpuE7ELNS1_3repE0EEENS1_30default_config_static_selectorELNS0_4arch9wavefront6targetE0EEEvS10_,"axG",@progbits,_ZN7rocprim17ROCPRIM_400000_NS6detail17trampoline_kernelINS0_14default_configENS1_21merge_config_selectorINS0_5tupleIJffEEENS0_10empty_typeEEEZNS1_10merge_implIS3_NS0_12zip_iteratorINS5_IJN6thrust23THRUST_200600_302600_NS6detail15normal_iteratorINSC_10device_ptrIKfEEEESI_EEEEESK_NSA_INS5_IJNSE_INSF_IfEEEESM_EEEEEPS7_SP_SP_NSC_11hip_rocprim7__merge17predicate_wrapperIffNSC_4lessIfEEEEEE10hipError_tPvRmT0_T1_T2_T3_T4_T5_mmT6_P12ihipStream_tbEUlT_E0_NS1_11comp_targetILNS1_3genE3ELNS1_11target_archE908ELNS1_3gpuE7ELNS1_3repE0EEENS1_30default_config_static_selectorELNS0_4arch9wavefront6targetE0EEEvS10_,comdat
	.protected	_ZN7rocprim17ROCPRIM_400000_NS6detail17trampoline_kernelINS0_14default_configENS1_21merge_config_selectorINS0_5tupleIJffEEENS0_10empty_typeEEEZNS1_10merge_implIS3_NS0_12zip_iteratorINS5_IJN6thrust23THRUST_200600_302600_NS6detail15normal_iteratorINSC_10device_ptrIKfEEEESI_EEEEESK_NSA_INS5_IJNSE_INSF_IfEEEESM_EEEEEPS7_SP_SP_NSC_11hip_rocprim7__merge17predicate_wrapperIffNSC_4lessIfEEEEEE10hipError_tPvRmT0_T1_T2_T3_T4_T5_mmT6_P12ihipStream_tbEUlT_E0_NS1_11comp_targetILNS1_3genE3ELNS1_11target_archE908ELNS1_3gpuE7ELNS1_3repE0EEENS1_30default_config_static_selectorELNS0_4arch9wavefront6targetE0EEEvS10_ ; -- Begin function _ZN7rocprim17ROCPRIM_400000_NS6detail17trampoline_kernelINS0_14default_configENS1_21merge_config_selectorINS0_5tupleIJffEEENS0_10empty_typeEEEZNS1_10merge_implIS3_NS0_12zip_iteratorINS5_IJN6thrust23THRUST_200600_302600_NS6detail15normal_iteratorINSC_10device_ptrIKfEEEESI_EEEEESK_NSA_INS5_IJNSE_INSF_IfEEEESM_EEEEEPS7_SP_SP_NSC_11hip_rocprim7__merge17predicate_wrapperIffNSC_4lessIfEEEEEE10hipError_tPvRmT0_T1_T2_T3_T4_T5_mmT6_P12ihipStream_tbEUlT_E0_NS1_11comp_targetILNS1_3genE3ELNS1_11target_archE908ELNS1_3gpuE7ELNS1_3repE0EEENS1_30default_config_static_selectorELNS0_4arch9wavefront6targetE0EEEvS10_
	.globl	_ZN7rocprim17ROCPRIM_400000_NS6detail17trampoline_kernelINS0_14default_configENS1_21merge_config_selectorINS0_5tupleIJffEEENS0_10empty_typeEEEZNS1_10merge_implIS3_NS0_12zip_iteratorINS5_IJN6thrust23THRUST_200600_302600_NS6detail15normal_iteratorINSC_10device_ptrIKfEEEESI_EEEEESK_NSA_INS5_IJNSE_INSF_IfEEEESM_EEEEEPS7_SP_SP_NSC_11hip_rocprim7__merge17predicate_wrapperIffNSC_4lessIfEEEEEE10hipError_tPvRmT0_T1_T2_T3_T4_T5_mmT6_P12ihipStream_tbEUlT_E0_NS1_11comp_targetILNS1_3genE3ELNS1_11target_archE908ELNS1_3gpuE7ELNS1_3repE0EEENS1_30default_config_static_selectorELNS0_4arch9wavefront6targetE0EEEvS10_
	.p2align	8
	.type	_ZN7rocprim17ROCPRIM_400000_NS6detail17trampoline_kernelINS0_14default_configENS1_21merge_config_selectorINS0_5tupleIJffEEENS0_10empty_typeEEEZNS1_10merge_implIS3_NS0_12zip_iteratorINS5_IJN6thrust23THRUST_200600_302600_NS6detail15normal_iteratorINSC_10device_ptrIKfEEEESI_EEEEESK_NSA_INS5_IJNSE_INSF_IfEEEESM_EEEEEPS7_SP_SP_NSC_11hip_rocprim7__merge17predicate_wrapperIffNSC_4lessIfEEEEEE10hipError_tPvRmT0_T1_T2_T3_T4_T5_mmT6_P12ihipStream_tbEUlT_E0_NS1_11comp_targetILNS1_3genE3ELNS1_11target_archE908ELNS1_3gpuE7ELNS1_3repE0EEENS1_30default_config_static_selectorELNS0_4arch9wavefront6targetE0EEEvS10_,@function
_ZN7rocprim17ROCPRIM_400000_NS6detail17trampoline_kernelINS0_14default_configENS1_21merge_config_selectorINS0_5tupleIJffEEENS0_10empty_typeEEEZNS1_10merge_implIS3_NS0_12zip_iteratorINS5_IJN6thrust23THRUST_200600_302600_NS6detail15normal_iteratorINSC_10device_ptrIKfEEEESI_EEEEESK_NSA_INS5_IJNSE_INSF_IfEEEESM_EEEEEPS7_SP_SP_NSC_11hip_rocprim7__merge17predicate_wrapperIffNSC_4lessIfEEEEEE10hipError_tPvRmT0_T1_T2_T3_T4_T5_mmT6_P12ihipStream_tbEUlT_E0_NS1_11comp_targetILNS1_3genE3ELNS1_11target_archE908ELNS1_3gpuE7ELNS1_3repE0EEENS1_30default_config_static_selectorELNS0_4arch9wavefront6targetE0EEEvS10_: ; @_ZN7rocprim17ROCPRIM_400000_NS6detail17trampoline_kernelINS0_14default_configENS1_21merge_config_selectorINS0_5tupleIJffEEENS0_10empty_typeEEEZNS1_10merge_implIS3_NS0_12zip_iteratorINS5_IJN6thrust23THRUST_200600_302600_NS6detail15normal_iteratorINSC_10device_ptrIKfEEEESI_EEEEESK_NSA_INS5_IJNSE_INSF_IfEEEESM_EEEEEPS7_SP_SP_NSC_11hip_rocprim7__merge17predicate_wrapperIffNSC_4lessIfEEEEEE10hipError_tPvRmT0_T1_T2_T3_T4_T5_mmT6_P12ihipStream_tbEUlT_E0_NS1_11comp_targetILNS1_3genE3ELNS1_11target_archE908ELNS1_3gpuE7ELNS1_3repE0EEENS1_30default_config_static_selectorELNS0_4arch9wavefront6targetE0EEEvS10_
; %bb.0:
	.section	.rodata,"a",@progbits
	.p2align	6, 0x0
	.amdhsa_kernel _ZN7rocprim17ROCPRIM_400000_NS6detail17trampoline_kernelINS0_14default_configENS1_21merge_config_selectorINS0_5tupleIJffEEENS0_10empty_typeEEEZNS1_10merge_implIS3_NS0_12zip_iteratorINS5_IJN6thrust23THRUST_200600_302600_NS6detail15normal_iteratorINSC_10device_ptrIKfEEEESI_EEEEESK_NSA_INS5_IJNSE_INSF_IfEEEESM_EEEEEPS7_SP_SP_NSC_11hip_rocprim7__merge17predicate_wrapperIffNSC_4lessIfEEEEEE10hipError_tPvRmT0_T1_T2_T3_T4_T5_mmT6_P12ihipStream_tbEUlT_E0_NS1_11comp_targetILNS1_3genE3ELNS1_11target_archE908ELNS1_3gpuE7ELNS1_3repE0EEENS1_30default_config_static_selectorELNS0_4arch9wavefront6targetE0EEEvS10_
		.amdhsa_group_segment_fixed_size 0
		.amdhsa_private_segment_fixed_size 0
		.amdhsa_kernarg_size 112
		.amdhsa_user_sgpr_count 6
		.amdhsa_user_sgpr_private_segment_buffer 1
		.amdhsa_user_sgpr_dispatch_ptr 0
		.amdhsa_user_sgpr_queue_ptr 0
		.amdhsa_user_sgpr_kernarg_segment_ptr 1
		.amdhsa_user_sgpr_dispatch_id 0
		.amdhsa_user_sgpr_flat_scratch_init 0
		.amdhsa_user_sgpr_private_segment_size 0
		.amdhsa_wavefront_size32 1
		.amdhsa_uses_dynamic_stack 0
		.amdhsa_system_sgpr_private_segment_wavefront_offset 0
		.amdhsa_system_sgpr_workgroup_id_x 1
		.amdhsa_system_sgpr_workgroup_id_y 0
		.amdhsa_system_sgpr_workgroup_id_z 0
		.amdhsa_system_sgpr_workgroup_info 0
		.amdhsa_system_vgpr_workitem_id 0
		.amdhsa_next_free_vgpr 1
		.amdhsa_next_free_sgpr 1
		.amdhsa_reserve_vcc 0
		.amdhsa_reserve_flat_scratch 0
		.amdhsa_float_round_mode_32 0
		.amdhsa_float_round_mode_16_64 0
		.amdhsa_float_denorm_mode_32 3
		.amdhsa_float_denorm_mode_16_64 3
		.amdhsa_dx10_clamp 1
		.amdhsa_ieee_mode 1
		.amdhsa_fp16_overflow 0
		.amdhsa_workgroup_processor_mode 1
		.amdhsa_memory_ordered 1
		.amdhsa_forward_progress 1
		.amdhsa_shared_vgpr_count 0
		.amdhsa_exception_fp_ieee_invalid_op 0
		.amdhsa_exception_fp_denorm_src 0
		.amdhsa_exception_fp_ieee_div_zero 0
		.amdhsa_exception_fp_ieee_overflow 0
		.amdhsa_exception_fp_ieee_underflow 0
		.amdhsa_exception_fp_ieee_inexact 0
		.amdhsa_exception_int_div_zero 0
	.end_amdhsa_kernel
	.section	.text._ZN7rocprim17ROCPRIM_400000_NS6detail17trampoline_kernelINS0_14default_configENS1_21merge_config_selectorINS0_5tupleIJffEEENS0_10empty_typeEEEZNS1_10merge_implIS3_NS0_12zip_iteratorINS5_IJN6thrust23THRUST_200600_302600_NS6detail15normal_iteratorINSC_10device_ptrIKfEEEESI_EEEEESK_NSA_INS5_IJNSE_INSF_IfEEEESM_EEEEEPS7_SP_SP_NSC_11hip_rocprim7__merge17predicate_wrapperIffNSC_4lessIfEEEEEE10hipError_tPvRmT0_T1_T2_T3_T4_T5_mmT6_P12ihipStream_tbEUlT_E0_NS1_11comp_targetILNS1_3genE3ELNS1_11target_archE908ELNS1_3gpuE7ELNS1_3repE0EEENS1_30default_config_static_selectorELNS0_4arch9wavefront6targetE0EEEvS10_,"axG",@progbits,_ZN7rocprim17ROCPRIM_400000_NS6detail17trampoline_kernelINS0_14default_configENS1_21merge_config_selectorINS0_5tupleIJffEEENS0_10empty_typeEEEZNS1_10merge_implIS3_NS0_12zip_iteratorINS5_IJN6thrust23THRUST_200600_302600_NS6detail15normal_iteratorINSC_10device_ptrIKfEEEESI_EEEEESK_NSA_INS5_IJNSE_INSF_IfEEEESM_EEEEEPS7_SP_SP_NSC_11hip_rocprim7__merge17predicate_wrapperIffNSC_4lessIfEEEEEE10hipError_tPvRmT0_T1_T2_T3_T4_T5_mmT6_P12ihipStream_tbEUlT_E0_NS1_11comp_targetILNS1_3genE3ELNS1_11target_archE908ELNS1_3gpuE7ELNS1_3repE0EEENS1_30default_config_static_selectorELNS0_4arch9wavefront6targetE0EEEvS10_,comdat
.Lfunc_end71:
	.size	_ZN7rocprim17ROCPRIM_400000_NS6detail17trampoline_kernelINS0_14default_configENS1_21merge_config_selectorINS0_5tupleIJffEEENS0_10empty_typeEEEZNS1_10merge_implIS3_NS0_12zip_iteratorINS5_IJN6thrust23THRUST_200600_302600_NS6detail15normal_iteratorINSC_10device_ptrIKfEEEESI_EEEEESK_NSA_INS5_IJNSE_INSF_IfEEEESM_EEEEEPS7_SP_SP_NSC_11hip_rocprim7__merge17predicate_wrapperIffNSC_4lessIfEEEEEE10hipError_tPvRmT0_T1_T2_T3_T4_T5_mmT6_P12ihipStream_tbEUlT_E0_NS1_11comp_targetILNS1_3genE3ELNS1_11target_archE908ELNS1_3gpuE7ELNS1_3repE0EEENS1_30default_config_static_selectorELNS0_4arch9wavefront6targetE0EEEvS10_, .Lfunc_end71-_ZN7rocprim17ROCPRIM_400000_NS6detail17trampoline_kernelINS0_14default_configENS1_21merge_config_selectorINS0_5tupleIJffEEENS0_10empty_typeEEEZNS1_10merge_implIS3_NS0_12zip_iteratorINS5_IJN6thrust23THRUST_200600_302600_NS6detail15normal_iteratorINSC_10device_ptrIKfEEEESI_EEEEESK_NSA_INS5_IJNSE_INSF_IfEEEESM_EEEEEPS7_SP_SP_NSC_11hip_rocprim7__merge17predicate_wrapperIffNSC_4lessIfEEEEEE10hipError_tPvRmT0_T1_T2_T3_T4_T5_mmT6_P12ihipStream_tbEUlT_E0_NS1_11comp_targetILNS1_3genE3ELNS1_11target_archE908ELNS1_3gpuE7ELNS1_3repE0EEENS1_30default_config_static_selectorELNS0_4arch9wavefront6targetE0EEEvS10_
                                        ; -- End function
	.set _ZN7rocprim17ROCPRIM_400000_NS6detail17trampoline_kernelINS0_14default_configENS1_21merge_config_selectorINS0_5tupleIJffEEENS0_10empty_typeEEEZNS1_10merge_implIS3_NS0_12zip_iteratorINS5_IJN6thrust23THRUST_200600_302600_NS6detail15normal_iteratorINSC_10device_ptrIKfEEEESI_EEEEESK_NSA_INS5_IJNSE_INSF_IfEEEESM_EEEEEPS7_SP_SP_NSC_11hip_rocprim7__merge17predicate_wrapperIffNSC_4lessIfEEEEEE10hipError_tPvRmT0_T1_T2_T3_T4_T5_mmT6_P12ihipStream_tbEUlT_E0_NS1_11comp_targetILNS1_3genE3ELNS1_11target_archE908ELNS1_3gpuE7ELNS1_3repE0EEENS1_30default_config_static_selectorELNS0_4arch9wavefront6targetE0EEEvS10_.num_vgpr, 0
	.set _ZN7rocprim17ROCPRIM_400000_NS6detail17trampoline_kernelINS0_14default_configENS1_21merge_config_selectorINS0_5tupleIJffEEENS0_10empty_typeEEEZNS1_10merge_implIS3_NS0_12zip_iteratorINS5_IJN6thrust23THRUST_200600_302600_NS6detail15normal_iteratorINSC_10device_ptrIKfEEEESI_EEEEESK_NSA_INS5_IJNSE_INSF_IfEEEESM_EEEEEPS7_SP_SP_NSC_11hip_rocprim7__merge17predicate_wrapperIffNSC_4lessIfEEEEEE10hipError_tPvRmT0_T1_T2_T3_T4_T5_mmT6_P12ihipStream_tbEUlT_E0_NS1_11comp_targetILNS1_3genE3ELNS1_11target_archE908ELNS1_3gpuE7ELNS1_3repE0EEENS1_30default_config_static_selectorELNS0_4arch9wavefront6targetE0EEEvS10_.num_agpr, 0
	.set _ZN7rocprim17ROCPRIM_400000_NS6detail17trampoline_kernelINS0_14default_configENS1_21merge_config_selectorINS0_5tupleIJffEEENS0_10empty_typeEEEZNS1_10merge_implIS3_NS0_12zip_iteratorINS5_IJN6thrust23THRUST_200600_302600_NS6detail15normal_iteratorINSC_10device_ptrIKfEEEESI_EEEEESK_NSA_INS5_IJNSE_INSF_IfEEEESM_EEEEEPS7_SP_SP_NSC_11hip_rocprim7__merge17predicate_wrapperIffNSC_4lessIfEEEEEE10hipError_tPvRmT0_T1_T2_T3_T4_T5_mmT6_P12ihipStream_tbEUlT_E0_NS1_11comp_targetILNS1_3genE3ELNS1_11target_archE908ELNS1_3gpuE7ELNS1_3repE0EEENS1_30default_config_static_selectorELNS0_4arch9wavefront6targetE0EEEvS10_.numbered_sgpr, 0
	.set _ZN7rocprim17ROCPRIM_400000_NS6detail17trampoline_kernelINS0_14default_configENS1_21merge_config_selectorINS0_5tupleIJffEEENS0_10empty_typeEEEZNS1_10merge_implIS3_NS0_12zip_iteratorINS5_IJN6thrust23THRUST_200600_302600_NS6detail15normal_iteratorINSC_10device_ptrIKfEEEESI_EEEEESK_NSA_INS5_IJNSE_INSF_IfEEEESM_EEEEEPS7_SP_SP_NSC_11hip_rocprim7__merge17predicate_wrapperIffNSC_4lessIfEEEEEE10hipError_tPvRmT0_T1_T2_T3_T4_T5_mmT6_P12ihipStream_tbEUlT_E0_NS1_11comp_targetILNS1_3genE3ELNS1_11target_archE908ELNS1_3gpuE7ELNS1_3repE0EEENS1_30default_config_static_selectorELNS0_4arch9wavefront6targetE0EEEvS10_.num_named_barrier, 0
	.set _ZN7rocprim17ROCPRIM_400000_NS6detail17trampoline_kernelINS0_14default_configENS1_21merge_config_selectorINS0_5tupleIJffEEENS0_10empty_typeEEEZNS1_10merge_implIS3_NS0_12zip_iteratorINS5_IJN6thrust23THRUST_200600_302600_NS6detail15normal_iteratorINSC_10device_ptrIKfEEEESI_EEEEESK_NSA_INS5_IJNSE_INSF_IfEEEESM_EEEEEPS7_SP_SP_NSC_11hip_rocprim7__merge17predicate_wrapperIffNSC_4lessIfEEEEEE10hipError_tPvRmT0_T1_T2_T3_T4_T5_mmT6_P12ihipStream_tbEUlT_E0_NS1_11comp_targetILNS1_3genE3ELNS1_11target_archE908ELNS1_3gpuE7ELNS1_3repE0EEENS1_30default_config_static_selectorELNS0_4arch9wavefront6targetE0EEEvS10_.private_seg_size, 0
	.set _ZN7rocprim17ROCPRIM_400000_NS6detail17trampoline_kernelINS0_14default_configENS1_21merge_config_selectorINS0_5tupleIJffEEENS0_10empty_typeEEEZNS1_10merge_implIS3_NS0_12zip_iteratorINS5_IJN6thrust23THRUST_200600_302600_NS6detail15normal_iteratorINSC_10device_ptrIKfEEEESI_EEEEESK_NSA_INS5_IJNSE_INSF_IfEEEESM_EEEEEPS7_SP_SP_NSC_11hip_rocprim7__merge17predicate_wrapperIffNSC_4lessIfEEEEEE10hipError_tPvRmT0_T1_T2_T3_T4_T5_mmT6_P12ihipStream_tbEUlT_E0_NS1_11comp_targetILNS1_3genE3ELNS1_11target_archE908ELNS1_3gpuE7ELNS1_3repE0EEENS1_30default_config_static_selectorELNS0_4arch9wavefront6targetE0EEEvS10_.uses_vcc, 0
	.set _ZN7rocprim17ROCPRIM_400000_NS6detail17trampoline_kernelINS0_14default_configENS1_21merge_config_selectorINS0_5tupleIJffEEENS0_10empty_typeEEEZNS1_10merge_implIS3_NS0_12zip_iteratorINS5_IJN6thrust23THRUST_200600_302600_NS6detail15normal_iteratorINSC_10device_ptrIKfEEEESI_EEEEESK_NSA_INS5_IJNSE_INSF_IfEEEESM_EEEEEPS7_SP_SP_NSC_11hip_rocprim7__merge17predicate_wrapperIffNSC_4lessIfEEEEEE10hipError_tPvRmT0_T1_T2_T3_T4_T5_mmT6_P12ihipStream_tbEUlT_E0_NS1_11comp_targetILNS1_3genE3ELNS1_11target_archE908ELNS1_3gpuE7ELNS1_3repE0EEENS1_30default_config_static_selectorELNS0_4arch9wavefront6targetE0EEEvS10_.uses_flat_scratch, 0
	.set _ZN7rocprim17ROCPRIM_400000_NS6detail17trampoline_kernelINS0_14default_configENS1_21merge_config_selectorINS0_5tupleIJffEEENS0_10empty_typeEEEZNS1_10merge_implIS3_NS0_12zip_iteratorINS5_IJN6thrust23THRUST_200600_302600_NS6detail15normal_iteratorINSC_10device_ptrIKfEEEESI_EEEEESK_NSA_INS5_IJNSE_INSF_IfEEEESM_EEEEEPS7_SP_SP_NSC_11hip_rocprim7__merge17predicate_wrapperIffNSC_4lessIfEEEEEE10hipError_tPvRmT0_T1_T2_T3_T4_T5_mmT6_P12ihipStream_tbEUlT_E0_NS1_11comp_targetILNS1_3genE3ELNS1_11target_archE908ELNS1_3gpuE7ELNS1_3repE0EEENS1_30default_config_static_selectorELNS0_4arch9wavefront6targetE0EEEvS10_.has_dyn_sized_stack, 0
	.set _ZN7rocprim17ROCPRIM_400000_NS6detail17trampoline_kernelINS0_14default_configENS1_21merge_config_selectorINS0_5tupleIJffEEENS0_10empty_typeEEEZNS1_10merge_implIS3_NS0_12zip_iteratorINS5_IJN6thrust23THRUST_200600_302600_NS6detail15normal_iteratorINSC_10device_ptrIKfEEEESI_EEEEESK_NSA_INS5_IJNSE_INSF_IfEEEESM_EEEEEPS7_SP_SP_NSC_11hip_rocprim7__merge17predicate_wrapperIffNSC_4lessIfEEEEEE10hipError_tPvRmT0_T1_T2_T3_T4_T5_mmT6_P12ihipStream_tbEUlT_E0_NS1_11comp_targetILNS1_3genE3ELNS1_11target_archE908ELNS1_3gpuE7ELNS1_3repE0EEENS1_30default_config_static_selectorELNS0_4arch9wavefront6targetE0EEEvS10_.has_recursion, 0
	.set _ZN7rocprim17ROCPRIM_400000_NS6detail17trampoline_kernelINS0_14default_configENS1_21merge_config_selectorINS0_5tupleIJffEEENS0_10empty_typeEEEZNS1_10merge_implIS3_NS0_12zip_iteratorINS5_IJN6thrust23THRUST_200600_302600_NS6detail15normal_iteratorINSC_10device_ptrIKfEEEESI_EEEEESK_NSA_INS5_IJNSE_INSF_IfEEEESM_EEEEEPS7_SP_SP_NSC_11hip_rocprim7__merge17predicate_wrapperIffNSC_4lessIfEEEEEE10hipError_tPvRmT0_T1_T2_T3_T4_T5_mmT6_P12ihipStream_tbEUlT_E0_NS1_11comp_targetILNS1_3genE3ELNS1_11target_archE908ELNS1_3gpuE7ELNS1_3repE0EEENS1_30default_config_static_selectorELNS0_4arch9wavefront6targetE0EEEvS10_.has_indirect_call, 0
	.section	.AMDGPU.csdata,"",@progbits
; Kernel info:
; codeLenInByte = 0
; TotalNumSgprs: 0
; NumVgprs: 0
; ScratchSize: 0
; MemoryBound: 0
; FloatMode: 240
; IeeeMode: 1
; LDSByteSize: 0 bytes/workgroup (compile time only)
; SGPRBlocks: 0
; VGPRBlocks: 0
; NumSGPRsForWavesPerEU: 1
; NumVGPRsForWavesPerEU: 1
; Occupancy: 16
; WaveLimiterHint : 0
; COMPUTE_PGM_RSRC2:SCRATCH_EN: 0
; COMPUTE_PGM_RSRC2:USER_SGPR: 6
; COMPUTE_PGM_RSRC2:TRAP_HANDLER: 0
; COMPUTE_PGM_RSRC2:TGID_X_EN: 1
; COMPUTE_PGM_RSRC2:TGID_Y_EN: 0
; COMPUTE_PGM_RSRC2:TGID_Z_EN: 0
; COMPUTE_PGM_RSRC2:TIDIG_COMP_CNT: 0
	.section	.text._ZN7rocprim17ROCPRIM_400000_NS6detail17trampoline_kernelINS0_14default_configENS1_21merge_config_selectorINS0_5tupleIJffEEENS0_10empty_typeEEEZNS1_10merge_implIS3_NS0_12zip_iteratorINS5_IJN6thrust23THRUST_200600_302600_NS6detail15normal_iteratorINSC_10device_ptrIKfEEEESI_EEEEESK_NSA_INS5_IJNSE_INSF_IfEEEESM_EEEEEPS7_SP_SP_NSC_11hip_rocprim7__merge17predicate_wrapperIffNSC_4lessIfEEEEEE10hipError_tPvRmT0_T1_T2_T3_T4_T5_mmT6_P12ihipStream_tbEUlT_E0_NS1_11comp_targetILNS1_3genE2ELNS1_11target_archE906ELNS1_3gpuE6ELNS1_3repE0EEENS1_30default_config_static_selectorELNS0_4arch9wavefront6targetE0EEEvS10_,"axG",@progbits,_ZN7rocprim17ROCPRIM_400000_NS6detail17trampoline_kernelINS0_14default_configENS1_21merge_config_selectorINS0_5tupleIJffEEENS0_10empty_typeEEEZNS1_10merge_implIS3_NS0_12zip_iteratorINS5_IJN6thrust23THRUST_200600_302600_NS6detail15normal_iteratorINSC_10device_ptrIKfEEEESI_EEEEESK_NSA_INS5_IJNSE_INSF_IfEEEESM_EEEEEPS7_SP_SP_NSC_11hip_rocprim7__merge17predicate_wrapperIffNSC_4lessIfEEEEEE10hipError_tPvRmT0_T1_T2_T3_T4_T5_mmT6_P12ihipStream_tbEUlT_E0_NS1_11comp_targetILNS1_3genE2ELNS1_11target_archE906ELNS1_3gpuE6ELNS1_3repE0EEENS1_30default_config_static_selectorELNS0_4arch9wavefront6targetE0EEEvS10_,comdat
	.protected	_ZN7rocprim17ROCPRIM_400000_NS6detail17trampoline_kernelINS0_14default_configENS1_21merge_config_selectorINS0_5tupleIJffEEENS0_10empty_typeEEEZNS1_10merge_implIS3_NS0_12zip_iteratorINS5_IJN6thrust23THRUST_200600_302600_NS6detail15normal_iteratorINSC_10device_ptrIKfEEEESI_EEEEESK_NSA_INS5_IJNSE_INSF_IfEEEESM_EEEEEPS7_SP_SP_NSC_11hip_rocprim7__merge17predicate_wrapperIffNSC_4lessIfEEEEEE10hipError_tPvRmT0_T1_T2_T3_T4_T5_mmT6_P12ihipStream_tbEUlT_E0_NS1_11comp_targetILNS1_3genE2ELNS1_11target_archE906ELNS1_3gpuE6ELNS1_3repE0EEENS1_30default_config_static_selectorELNS0_4arch9wavefront6targetE0EEEvS10_ ; -- Begin function _ZN7rocprim17ROCPRIM_400000_NS6detail17trampoline_kernelINS0_14default_configENS1_21merge_config_selectorINS0_5tupleIJffEEENS0_10empty_typeEEEZNS1_10merge_implIS3_NS0_12zip_iteratorINS5_IJN6thrust23THRUST_200600_302600_NS6detail15normal_iteratorINSC_10device_ptrIKfEEEESI_EEEEESK_NSA_INS5_IJNSE_INSF_IfEEEESM_EEEEEPS7_SP_SP_NSC_11hip_rocprim7__merge17predicate_wrapperIffNSC_4lessIfEEEEEE10hipError_tPvRmT0_T1_T2_T3_T4_T5_mmT6_P12ihipStream_tbEUlT_E0_NS1_11comp_targetILNS1_3genE2ELNS1_11target_archE906ELNS1_3gpuE6ELNS1_3repE0EEENS1_30default_config_static_selectorELNS0_4arch9wavefront6targetE0EEEvS10_
	.globl	_ZN7rocprim17ROCPRIM_400000_NS6detail17trampoline_kernelINS0_14default_configENS1_21merge_config_selectorINS0_5tupleIJffEEENS0_10empty_typeEEEZNS1_10merge_implIS3_NS0_12zip_iteratorINS5_IJN6thrust23THRUST_200600_302600_NS6detail15normal_iteratorINSC_10device_ptrIKfEEEESI_EEEEESK_NSA_INS5_IJNSE_INSF_IfEEEESM_EEEEEPS7_SP_SP_NSC_11hip_rocprim7__merge17predicate_wrapperIffNSC_4lessIfEEEEEE10hipError_tPvRmT0_T1_T2_T3_T4_T5_mmT6_P12ihipStream_tbEUlT_E0_NS1_11comp_targetILNS1_3genE2ELNS1_11target_archE906ELNS1_3gpuE6ELNS1_3repE0EEENS1_30default_config_static_selectorELNS0_4arch9wavefront6targetE0EEEvS10_
	.p2align	8
	.type	_ZN7rocprim17ROCPRIM_400000_NS6detail17trampoline_kernelINS0_14default_configENS1_21merge_config_selectorINS0_5tupleIJffEEENS0_10empty_typeEEEZNS1_10merge_implIS3_NS0_12zip_iteratorINS5_IJN6thrust23THRUST_200600_302600_NS6detail15normal_iteratorINSC_10device_ptrIKfEEEESI_EEEEESK_NSA_INS5_IJNSE_INSF_IfEEEESM_EEEEEPS7_SP_SP_NSC_11hip_rocprim7__merge17predicate_wrapperIffNSC_4lessIfEEEEEE10hipError_tPvRmT0_T1_T2_T3_T4_T5_mmT6_P12ihipStream_tbEUlT_E0_NS1_11comp_targetILNS1_3genE2ELNS1_11target_archE906ELNS1_3gpuE6ELNS1_3repE0EEENS1_30default_config_static_selectorELNS0_4arch9wavefront6targetE0EEEvS10_,@function
_ZN7rocprim17ROCPRIM_400000_NS6detail17trampoline_kernelINS0_14default_configENS1_21merge_config_selectorINS0_5tupleIJffEEENS0_10empty_typeEEEZNS1_10merge_implIS3_NS0_12zip_iteratorINS5_IJN6thrust23THRUST_200600_302600_NS6detail15normal_iteratorINSC_10device_ptrIKfEEEESI_EEEEESK_NSA_INS5_IJNSE_INSF_IfEEEESM_EEEEEPS7_SP_SP_NSC_11hip_rocprim7__merge17predicate_wrapperIffNSC_4lessIfEEEEEE10hipError_tPvRmT0_T1_T2_T3_T4_T5_mmT6_P12ihipStream_tbEUlT_E0_NS1_11comp_targetILNS1_3genE2ELNS1_11target_archE906ELNS1_3gpuE6ELNS1_3repE0EEENS1_30default_config_static_selectorELNS0_4arch9wavefront6targetE0EEEvS10_: ; @_ZN7rocprim17ROCPRIM_400000_NS6detail17trampoline_kernelINS0_14default_configENS1_21merge_config_selectorINS0_5tupleIJffEEENS0_10empty_typeEEEZNS1_10merge_implIS3_NS0_12zip_iteratorINS5_IJN6thrust23THRUST_200600_302600_NS6detail15normal_iteratorINSC_10device_ptrIKfEEEESI_EEEEESK_NSA_INS5_IJNSE_INSF_IfEEEESM_EEEEEPS7_SP_SP_NSC_11hip_rocprim7__merge17predicate_wrapperIffNSC_4lessIfEEEEEE10hipError_tPvRmT0_T1_T2_T3_T4_T5_mmT6_P12ihipStream_tbEUlT_E0_NS1_11comp_targetILNS1_3genE2ELNS1_11target_archE906ELNS1_3gpuE6ELNS1_3repE0EEENS1_30default_config_static_selectorELNS0_4arch9wavefront6targetE0EEEvS10_
; %bb.0:
	.section	.rodata,"a",@progbits
	.p2align	6, 0x0
	.amdhsa_kernel _ZN7rocprim17ROCPRIM_400000_NS6detail17trampoline_kernelINS0_14default_configENS1_21merge_config_selectorINS0_5tupleIJffEEENS0_10empty_typeEEEZNS1_10merge_implIS3_NS0_12zip_iteratorINS5_IJN6thrust23THRUST_200600_302600_NS6detail15normal_iteratorINSC_10device_ptrIKfEEEESI_EEEEESK_NSA_INS5_IJNSE_INSF_IfEEEESM_EEEEEPS7_SP_SP_NSC_11hip_rocprim7__merge17predicate_wrapperIffNSC_4lessIfEEEEEE10hipError_tPvRmT0_T1_T2_T3_T4_T5_mmT6_P12ihipStream_tbEUlT_E0_NS1_11comp_targetILNS1_3genE2ELNS1_11target_archE906ELNS1_3gpuE6ELNS1_3repE0EEENS1_30default_config_static_selectorELNS0_4arch9wavefront6targetE0EEEvS10_
		.amdhsa_group_segment_fixed_size 0
		.amdhsa_private_segment_fixed_size 0
		.amdhsa_kernarg_size 112
		.amdhsa_user_sgpr_count 6
		.amdhsa_user_sgpr_private_segment_buffer 1
		.amdhsa_user_sgpr_dispatch_ptr 0
		.amdhsa_user_sgpr_queue_ptr 0
		.amdhsa_user_sgpr_kernarg_segment_ptr 1
		.amdhsa_user_sgpr_dispatch_id 0
		.amdhsa_user_sgpr_flat_scratch_init 0
		.amdhsa_user_sgpr_private_segment_size 0
		.amdhsa_wavefront_size32 1
		.amdhsa_uses_dynamic_stack 0
		.amdhsa_system_sgpr_private_segment_wavefront_offset 0
		.amdhsa_system_sgpr_workgroup_id_x 1
		.amdhsa_system_sgpr_workgroup_id_y 0
		.amdhsa_system_sgpr_workgroup_id_z 0
		.amdhsa_system_sgpr_workgroup_info 0
		.amdhsa_system_vgpr_workitem_id 0
		.amdhsa_next_free_vgpr 1
		.amdhsa_next_free_sgpr 1
		.amdhsa_reserve_vcc 0
		.amdhsa_reserve_flat_scratch 0
		.amdhsa_float_round_mode_32 0
		.amdhsa_float_round_mode_16_64 0
		.amdhsa_float_denorm_mode_32 3
		.amdhsa_float_denorm_mode_16_64 3
		.amdhsa_dx10_clamp 1
		.amdhsa_ieee_mode 1
		.amdhsa_fp16_overflow 0
		.amdhsa_workgroup_processor_mode 1
		.amdhsa_memory_ordered 1
		.amdhsa_forward_progress 1
		.amdhsa_shared_vgpr_count 0
		.amdhsa_exception_fp_ieee_invalid_op 0
		.amdhsa_exception_fp_denorm_src 0
		.amdhsa_exception_fp_ieee_div_zero 0
		.amdhsa_exception_fp_ieee_overflow 0
		.amdhsa_exception_fp_ieee_underflow 0
		.amdhsa_exception_fp_ieee_inexact 0
		.amdhsa_exception_int_div_zero 0
	.end_amdhsa_kernel
	.section	.text._ZN7rocprim17ROCPRIM_400000_NS6detail17trampoline_kernelINS0_14default_configENS1_21merge_config_selectorINS0_5tupleIJffEEENS0_10empty_typeEEEZNS1_10merge_implIS3_NS0_12zip_iteratorINS5_IJN6thrust23THRUST_200600_302600_NS6detail15normal_iteratorINSC_10device_ptrIKfEEEESI_EEEEESK_NSA_INS5_IJNSE_INSF_IfEEEESM_EEEEEPS7_SP_SP_NSC_11hip_rocprim7__merge17predicate_wrapperIffNSC_4lessIfEEEEEE10hipError_tPvRmT0_T1_T2_T3_T4_T5_mmT6_P12ihipStream_tbEUlT_E0_NS1_11comp_targetILNS1_3genE2ELNS1_11target_archE906ELNS1_3gpuE6ELNS1_3repE0EEENS1_30default_config_static_selectorELNS0_4arch9wavefront6targetE0EEEvS10_,"axG",@progbits,_ZN7rocprim17ROCPRIM_400000_NS6detail17trampoline_kernelINS0_14default_configENS1_21merge_config_selectorINS0_5tupleIJffEEENS0_10empty_typeEEEZNS1_10merge_implIS3_NS0_12zip_iteratorINS5_IJN6thrust23THRUST_200600_302600_NS6detail15normal_iteratorINSC_10device_ptrIKfEEEESI_EEEEESK_NSA_INS5_IJNSE_INSF_IfEEEESM_EEEEEPS7_SP_SP_NSC_11hip_rocprim7__merge17predicate_wrapperIffNSC_4lessIfEEEEEE10hipError_tPvRmT0_T1_T2_T3_T4_T5_mmT6_P12ihipStream_tbEUlT_E0_NS1_11comp_targetILNS1_3genE2ELNS1_11target_archE906ELNS1_3gpuE6ELNS1_3repE0EEENS1_30default_config_static_selectorELNS0_4arch9wavefront6targetE0EEEvS10_,comdat
.Lfunc_end72:
	.size	_ZN7rocprim17ROCPRIM_400000_NS6detail17trampoline_kernelINS0_14default_configENS1_21merge_config_selectorINS0_5tupleIJffEEENS0_10empty_typeEEEZNS1_10merge_implIS3_NS0_12zip_iteratorINS5_IJN6thrust23THRUST_200600_302600_NS6detail15normal_iteratorINSC_10device_ptrIKfEEEESI_EEEEESK_NSA_INS5_IJNSE_INSF_IfEEEESM_EEEEEPS7_SP_SP_NSC_11hip_rocprim7__merge17predicate_wrapperIffNSC_4lessIfEEEEEE10hipError_tPvRmT0_T1_T2_T3_T4_T5_mmT6_P12ihipStream_tbEUlT_E0_NS1_11comp_targetILNS1_3genE2ELNS1_11target_archE906ELNS1_3gpuE6ELNS1_3repE0EEENS1_30default_config_static_selectorELNS0_4arch9wavefront6targetE0EEEvS10_, .Lfunc_end72-_ZN7rocprim17ROCPRIM_400000_NS6detail17trampoline_kernelINS0_14default_configENS1_21merge_config_selectorINS0_5tupleIJffEEENS0_10empty_typeEEEZNS1_10merge_implIS3_NS0_12zip_iteratorINS5_IJN6thrust23THRUST_200600_302600_NS6detail15normal_iteratorINSC_10device_ptrIKfEEEESI_EEEEESK_NSA_INS5_IJNSE_INSF_IfEEEESM_EEEEEPS7_SP_SP_NSC_11hip_rocprim7__merge17predicate_wrapperIffNSC_4lessIfEEEEEE10hipError_tPvRmT0_T1_T2_T3_T4_T5_mmT6_P12ihipStream_tbEUlT_E0_NS1_11comp_targetILNS1_3genE2ELNS1_11target_archE906ELNS1_3gpuE6ELNS1_3repE0EEENS1_30default_config_static_selectorELNS0_4arch9wavefront6targetE0EEEvS10_
                                        ; -- End function
	.set _ZN7rocprim17ROCPRIM_400000_NS6detail17trampoline_kernelINS0_14default_configENS1_21merge_config_selectorINS0_5tupleIJffEEENS0_10empty_typeEEEZNS1_10merge_implIS3_NS0_12zip_iteratorINS5_IJN6thrust23THRUST_200600_302600_NS6detail15normal_iteratorINSC_10device_ptrIKfEEEESI_EEEEESK_NSA_INS5_IJNSE_INSF_IfEEEESM_EEEEEPS7_SP_SP_NSC_11hip_rocprim7__merge17predicate_wrapperIffNSC_4lessIfEEEEEE10hipError_tPvRmT0_T1_T2_T3_T4_T5_mmT6_P12ihipStream_tbEUlT_E0_NS1_11comp_targetILNS1_3genE2ELNS1_11target_archE906ELNS1_3gpuE6ELNS1_3repE0EEENS1_30default_config_static_selectorELNS0_4arch9wavefront6targetE0EEEvS10_.num_vgpr, 0
	.set _ZN7rocprim17ROCPRIM_400000_NS6detail17trampoline_kernelINS0_14default_configENS1_21merge_config_selectorINS0_5tupleIJffEEENS0_10empty_typeEEEZNS1_10merge_implIS3_NS0_12zip_iteratorINS5_IJN6thrust23THRUST_200600_302600_NS6detail15normal_iteratorINSC_10device_ptrIKfEEEESI_EEEEESK_NSA_INS5_IJNSE_INSF_IfEEEESM_EEEEEPS7_SP_SP_NSC_11hip_rocprim7__merge17predicate_wrapperIffNSC_4lessIfEEEEEE10hipError_tPvRmT0_T1_T2_T3_T4_T5_mmT6_P12ihipStream_tbEUlT_E0_NS1_11comp_targetILNS1_3genE2ELNS1_11target_archE906ELNS1_3gpuE6ELNS1_3repE0EEENS1_30default_config_static_selectorELNS0_4arch9wavefront6targetE0EEEvS10_.num_agpr, 0
	.set _ZN7rocprim17ROCPRIM_400000_NS6detail17trampoline_kernelINS0_14default_configENS1_21merge_config_selectorINS0_5tupleIJffEEENS0_10empty_typeEEEZNS1_10merge_implIS3_NS0_12zip_iteratorINS5_IJN6thrust23THRUST_200600_302600_NS6detail15normal_iteratorINSC_10device_ptrIKfEEEESI_EEEEESK_NSA_INS5_IJNSE_INSF_IfEEEESM_EEEEEPS7_SP_SP_NSC_11hip_rocprim7__merge17predicate_wrapperIffNSC_4lessIfEEEEEE10hipError_tPvRmT0_T1_T2_T3_T4_T5_mmT6_P12ihipStream_tbEUlT_E0_NS1_11comp_targetILNS1_3genE2ELNS1_11target_archE906ELNS1_3gpuE6ELNS1_3repE0EEENS1_30default_config_static_selectorELNS0_4arch9wavefront6targetE0EEEvS10_.numbered_sgpr, 0
	.set _ZN7rocprim17ROCPRIM_400000_NS6detail17trampoline_kernelINS0_14default_configENS1_21merge_config_selectorINS0_5tupleIJffEEENS0_10empty_typeEEEZNS1_10merge_implIS3_NS0_12zip_iteratorINS5_IJN6thrust23THRUST_200600_302600_NS6detail15normal_iteratorINSC_10device_ptrIKfEEEESI_EEEEESK_NSA_INS5_IJNSE_INSF_IfEEEESM_EEEEEPS7_SP_SP_NSC_11hip_rocprim7__merge17predicate_wrapperIffNSC_4lessIfEEEEEE10hipError_tPvRmT0_T1_T2_T3_T4_T5_mmT6_P12ihipStream_tbEUlT_E0_NS1_11comp_targetILNS1_3genE2ELNS1_11target_archE906ELNS1_3gpuE6ELNS1_3repE0EEENS1_30default_config_static_selectorELNS0_4arch9wavefront6targetE0EEEvS10_.num_named_barrier, 0
	.set _ZN7rocprim17ROCPRIM_400000_NS6detail17trampoline_kernelINS0_14default_configENS1_21merge_config_selectorINS0_5tupleIJffEEENS0_10empty_typeEEEZNS1_10merge_implIS3_NS0_12zip_iteratorINS5_IJN6thrust23THRUST_200600_302600_NS6detail15normal_iteratorINSC_10device_ptrIKfEEEESI_EEEEESK_NSA_INS5_IJNSE_INSF_IfEEEESM_EEEEEPS7_SP_SP_NSC_11hip_rocprim7__merge17predicate_wrapperIffNSC_4lessIfEEEEEE10hipError_tPvRmT0_T1_T2_T3_T4_T5_mmT6_P12ihipStream_tbEUlT_E0_NS1_11comp_targetILNS1_3genE2ELNS1_11target_archE906ELNS1_3gpuE6ELNS1_3repE0EEENS1_30default_config_static_selectorELNS0_4arch9wavefront6targetE0EEEvS10_.private_seg_size, 0
	.set _ZN7rocprim17ROCPRIM_400000_NS6detail17trampoline_kernelINS0_14default_configENS1_21merge_config_selectorINS0_5tupleIJffEEENS0_10empty_typeEEEZNS1_10merge_implIS3_NS0_12zip_iteratorINS5_IJN6thrust23THRUST_200600_302600_NS6detail15normal_iteratorINSC_10device_ptrIKfEEEESI_EEEEESK_NSA_INS5_IJNSE_INSF_IfEEEESM_EEEEEPS7_SP_SP_NSC_11hip_rocprim7__merge17predicate_wrapperIffNSC_4lessIfEEEEEE10hipError_tPvRmT0_T1_T2_T3_T4_T5_mmT6_P12ihipStream_tbEUlT_E0_NS1_11comp_targetILNS1_3genE2ELNS1_11target_archE906ELNS1_3gpuE6ELNS1_3repE0EEENS1_30default_config_static_selectorELNS0_4arch9wavefront6targetE0EEEvS10_.uses_vcc, 0
	.set _ZN7rocprim17ROCPRIM_400000_NS6detail17trampoline_kernelINS0_14default_configENS1_21merge_config_selectorINS0_5tupleIJffEEENS0_10empty_typeEEEZNS1_10merge_implIS3_NS0_12zip_iteratorINS5_IJN6thrust23THRUST_200600_302600_NS6detail15normal_iteratorINSC_10device_ptrIKfEEEESI_EEEEESK_NSA_INS5_IJNSE_INSF_IfEEEESM_EEEEEPS7_SP_SP_NSC_11hip_rocprim7__merge17predicate_wrapperIffNSC_4lessIfEEEEEE10hipError_tPvRmT0_T1_T2_T3_T4_T5_mmT6_P12ihipStream_tbEUlT_E0_NS1_11comp_targetILNS1_3genE2ELNS1_11target_archE906ELNS1_3gpuE6ELNS1_3repE0EEENS1_30default_config_static_selectorELNS0_4arch9wavefront6targetE0EEEvS10_.uses_flat_scratch, 0
	.set _ZN7rocprim17ROCPRIM_400000_NS6detail17trampoline_kernelINS0_14default_configENS1_21merge_config_selectorINS0_5tupleIJffEEENS0_10empty_typeEEEZNS1_10merge_implIS3_NS0_12zip_iteratorINS5_IJN6thrust23THRUST_200600_302600_NS6detail15normal_iteratorINSC_10device_ptrIKfEEEESI_EEEEESK_NSA_INS5_IJNSE_INSF_IfEEEESM_EEEEEPS7_SP_SP_NSC_11hip_rocprim7__merge17predicate_wrapperIffNSC_4lessIfEEEEEE10hipError_tPvRmT0_T1_T2_T3_T4_T5_mmT6_P12ihipStream_tbEUlT_E0_NS1_11comp_targetILNS1_3genE2ELNS1_11target_archE906ELNS1_3gpuE6ELNS1_3repE0EEENS1_30default_config_static_selectorELNS0_4arch9wavefront6targetE0EEEvS10_.has_dyn_sized_stack, 0
	.set _ZN7rocprim17ROCPRIM_400000_NS6detail17trampoline_kernelINS0_14default_configENS1_21merge_config_selectorINS0_5tupleIJffEEENS0_10empty_typeEEEZNS1_10merge_implIS3_NS0_12zip_iteratorINS5_IJN6thrust23THRUST_200600_302600_NS6detail15normal_iteratorINSC_10device_ptrIKfEEEESI_EEEEESK_NSA_INS5_IJNSE_INSF_IfEEEESM_EEEEEPS7_SP_SP_NSC_11hip_rocprim7__merge17predicate_wrapperIffNSC_4lessIfEEEEEE10hipError_tPvRmT0_T1_T2_T3_T4_T5_mmT6_P12ihipStream_tbEUlT_E0_NS1_11comp_targetILNS1_3genE2ELNS1_11target_archE906ELNS1_3gpuE6ELNS1_3repE0EEENS1_30default_config_static_selectorELNS0_4arch9wavefront6targetE0EEEvS10_.has_recursion, 0
	.set _ZN7rocprim17ROCPRIM_400000_NS6detail17trampoline_kernelINS0_14default_configENS1_21merge_config_selectorINS0_5tupleIJffEEENS0_10empty_typeEEEZNS1_10merge_implIS3_NS0_12zip_iteratorINS5_IJN6thrust23THRUST_200600_302600_NS6detail15normal_iteratorINSC_10device_ptrIKfEEEESI_EEEEESK_NSA_INS5_IJNSE_INSF_IfEEEESM_EEEEEPS7_SP_SP_NSC_11hip_rocprim7__merge17predicate_wrapperIffNSC_4lessIfEEEEEE10hipError_tPvRmT0_T1_T2_T3_T4_T5_mmT6_P12ihipStream_tbEUlT_E0_NS1_11comp_targetILNS1_3genE2ELNS1_11target_archE906ELNS1_3gpuE6ELNS1_3repE0EEENS1_30default_config_static_selectorELNS0_4arch9wavefront6targetE0EEEvS10_.has_indirect_call, 0
	.section	.AMDGPU.csdata,"",@progbits
; Kernel info:
; codeLenInByte = 0
; TotalNumSgprs: 0
; NumVgprs: 0
; ScratchSize: 0
; MemoryBound: 0
; FloatMode: 240
; IeeeMode: 1
; LDSByteSize: 0 bytes/workgroup (compile time only)
; SGPRBlocks: 0
; VGPRBlocks: 0
; NumSGPRsForWavesPerEU: 1
; NumVGPRsForWavesPerEU: 1
; Occupancy: 16
; WaveLimiterHint : 0
; COMPUTE_PGM_RSRC2:SCRATCH_EN: 0
; COMPUTE_PGM_RSRC2:USER_SGPR: 6
; COMPUTE_PGM_RSRC2:TRAP_HANDLER: 0
; COMPUTE_PGM_RSRC2:TGID_X_EN: 1
; COMPUTE_PGM_RSRC2:TGID_Y_EN: 0
; COMPUTE_PGM_RSRC2:TGID_Z_EN: 0
; COMPUTE_PGM_RSRC2:TIDIG_COMP_CNT: 0
	.section	.text._ZN7rocprim17ROCPRIM_400000_NS6detail17trampoline_kernelINS0_14default_configENS1_21merge_config_selectorINS0_5tupleIJffEEENS0_10empty_typeEEEZNS1_10merge_implIS3_NS0_12zip_iteratorINS5_IJN6thrust23THRUST_200600_302600_NS6detail15normal_iteratorINSC_10device_ptrIKfEEEESI_EEEEESK_NSA_INS5_IJNSE_INSF_IfEEEESM_EEEEEPS7_SP_SP_NSC_11hip_rocprim7__merge17predicate_wrapperIffNSC_4lessIfEEEEEE10hipError_tPvRmT0_T1_T2_T3_T4_T5_mmT6_P12ihipStream_tbEUlT_E0_NS1_11comp_targetILNS1_3genE10ELNS1_11target_archE1201ELNS1_3gpuE5ELNS1_3repE0EEENS1_30default_config_static_selectorELNS0_4arch9wavefront6targetE0EEEvS10_,"axG",@progbits,_ZN7rocprim17ROCPRIM_400000_NS6detail17trampoline_kernelINS0_14default_configENS1_21merge_config_selectorINS0_5tupleIJffEEENS0_10empty_typeEEEZNS1_10merge_implIS3_NS0_12zip_iteratorINS5_IJN6thrust23THRUST_200600_302600_NS6detail15normal_iteratorINSC_10device_ptrIKfEEEESI_EEEEESK_NSA_INS5_IJNSE_INSF_IfEEEESM_EEEEEPS7_SP_SP_NSC_11hip_rocprim7__merge17predicate_wrapperIffNSC_4lessIfEEEEEE10hipError_tPvRmT0_T1_T2_T3_T4_T5_mmT6_P12ihipStream_tbEUlT_E0_NS1_11comp_targetILNS1_3genE10ELNS1_11target_archE1201ELNS1_3gpuE5ELNS1_3repE0EEENS1_30default_config_static_selectorELNS0_4arch9wavefront6targetE0EEEvS10_,comdat
	.protected	_ZN7rocprim17ROCPRIM_400000_NS6detail17trampoline_kernelINS0_14default_configENS1_21merge_config_selectorINS0_5tupleIJffEEENS0_10empty_typeEEEZNS1_10merge_implIS3_NS0_12zip_iteratorINS5_IJN6thrust23THRUST_200600_302600_NS6detail15normal_iteratorINSC_10device_ptrIKfEEEESI_EEEEESK_NSA_INS5_IJNSE_INSF_IfEEEESM_EEEEEPS7_SP_SP_NSC_11hip_rocprim7__merge17predicate_wrapperIffNSC_4lessIfEEEEEE10hipError_tPvRmT0_T1_T2_T3_T4_T5_mmT6_P12ihipStream_tbEUlT_E0_NS1_11comp_targetILNS1_3genE10ELNS1_11target_archE1201ELNS1_3gpuE5ELNS1_3repE0EEENS1_30default_config_static_selectorELNS0_4arch9wavefront6targetE0EEEvS10_ ; -- Begin function _ZN7rocprim17ROCPRIM_400000_NS6detail17trampoline_kernelINS0_14default_configENS1_21merge_config_selectorINS0_5tupleIJffEEENS0_10empty_typeEEEZNS1_10merge_implIS3_NS0_12zip_iteratorINS5_IJN6thrust23THRUST_200600_302600_NS6detail15normal_iteratorINSC_10device_ptrIKfEEEESI_EEEEESK_NSA_INS5_IJNSE_INSF_IfEEEESM_EEEEEPS7_SP_SP_NSC_11hip_rocprim7__merge17predicate_wrapperIffNSC_4lessIfEEEEEE10hipError_tPvRmT0_T1_T2_T3_T4_T5_mmT6_P12ihipStream_tbEUlT_E0_NS1_11comp_targetILNS1_3genE10ELNS1_11target_archE1201ELNS1_3gpuE5ELNS1_3repE0EEENS1_30default_config_static_selectorELNS0_4arch9wavefront6targetE0EEEvS10_
	.globl	_ZN7rocprim17ROCPRIM_400000_NS6detail17trampoline_kernelINS0_14default_configENS1_21merge_config_selectorINS0_5tupleIJffEEENS0_10empty_typeEEEZNS1_10merge_implIS3_NS0_12zip_iteratorINS5_IJN6thrust23THRUST_200600_302600_NS6detail15normal_iteratorINSC_10device_ptrIKfEEEESI_EEEEESK_NSA_INS5_IJNSE_INSF_IfEEEESM_EEEEEPS7_SP_SP_NSC_11hip_rocprim7__merge17predicate_wrapperIffNSC_4lessIfEEEEEE10hipError_tPvRmT0_T1_T2_T3_T4_T5_mmT6_P12ihipStream_tbEUlT_E0_NS1_11comp_targetILNS1_3genE10ELNS1_11target_archE1201ELNS1_3gpuE5ELNS1_3repE0EEENS1_30default_config_static_selectorELNS0_4arch9wavefront6targetE0EEEvS10_
	.p2align	8
	.type	_ZN7rocprim17ROCPRIM_400000_NS6detail17trampoline_kernelINS0_14default_configENS1_21merge_config_selectorINS0_5tupleIJffEEENS0_10empty_typeEEEZNS1_10merge_implIS3_NS0_12zip_iteratorINS5_IJN6thrust23THRUST_200600_302600_NS6detail15normal_iteratorINSC_10device_ptrIKfEEEESI_EEEEESK_NSA_INS5_IJNSE_INSF_IfEEEESM_EEEEEPS7_SP_SP_NSC_11hip_rocprim7__merge17predicate_wrapperIffNSC_4lessIfEEEEEE10hipError_tPvRmT0_T1_T2_T3_T4_T5_mmT6_P12ihipStream_tbEUlT_E0_NS1_11comp_targetILNS1_3genE10ELNS1_11target_archE1201ELNS1_3gpuE5ELNS1_3repE0EEENS1_30default_config_static_selectorELNS0_4arch9wavefront6targetE0EEEvS10_,@function
_ZN7rocprim17ROCPRIM_400000_NS6detail17trampoline_kernelINS0_14default_configENS1_21merge_config_selectorINS0_5tupleIJffEEENS0_10empty_typeEEEZNS1_10merge_implIS3_NS0_12zip_iteratorINS5_IJN6thrust23THRUST_200600_302600_NS6detail15normal_iteratorINSC_10device_ptrIKfEEEESI_EEEEESK_NSA_INS5_IJNSE_INSF_IfEEEESM_EEEEEPS7_SP_SP_NSC_11hip_rocprim7__merge17predicate_wrapperIffNSC_4lessIfEEEEEE10hipError_tPvRmT0_T1_T2_T3_T4_T5_mmT6_P12ihipStream_tbEUlT_E0_NS1_11comp_targetILNS1_3genE10ELNS1_11target_archE1201ELNS1_3gpuE5ELNS1_3repE0EEENS1_30default_config_static_selectorELNS0_4arch9wavefront6targetE0EEEvS10_: ; @_ZN7rocprim17ROCPRIM_400000_NS6detail17trampoline_kernelINS0_14default_configENS1_21merge_config_selectorINS0_5tupleIJffEEENS0_10empty_typeEEEZNS1_10merge_implIS3_NS0_12zip_iteratorINS5_IJN6thrust23THRUST_200600_302600_NS6detail15normal_iteratorINSC_10device_ptrIKfEEEESI_EEEEESK_NSA_INS5_IJNSE_INSF_IfEEEESM_EEEEEPS7_SP_SP_NSC_11hip_rocprim7__merge17predicate_wrapperIffNSC_4lessIfEEEEEE10hipError_tPvRmT0_T1_T2_T3_T4_T5_mmT6_P12ihipStream_tbEUlT_E0_NS1_11comp_targetILNS1_3genE10ELNS1_11target_archE1201ELNS1_3gpuE5ELNS1_3repE0EEENS1_30default_config_static_selectorELNS0_4arch9wavefront6targetE0EEEvS10_
; %bb.0:
	.section	.rodata,"a",@progbits
	.p2align	6, 0x0
	.amdhsa_kernel _ZN7rocprim17ROCPRIM_400000_NS6detail17trampoline_kernelINS0_14default_configENS1_21merge_config_selectorINS0_5tupleIJffEEENS0_10empty_typeEEEZNS1_10merge_implIS3_NS0_12zip_iteratorINS5_IJN6thrust23THRUST_200600_302600_NS6detail15normal_iteratorINSC_10device_ptrIKfEEEESI_EEEEESK_NSA_INS5_IJNSE_INSF_IfEEEESM_EEEEEPS7_SP_SP_NSC_11hip_rocprim7__merge17predicate_wrapperIffNSC_4lessIfEEEEEE10hipError_tPvRmT0_T1_T2_T3_T4_T5_mmT6_P12ihipStream_tbEUlT_E0_NS1_11comp_targetILNS1_3genE10ELNS1_11target_archE1201ELNS1_3gpuE5ELNS1_3repE0EEENS1_30default_config_static_selectorELNS0_4arch9wavefront6targetE0EEEvS10_
		.amdhsa_group_segment_fixed_size 0
		.amdhsa_private_segment_fixed_size 0
		.amdhsa_kernarg_size 112
		.amdhsa_user_sgpr_count 6
		.amdhsa_user_sgpr_private_segment_buffer 1
		.amdhsa_user_sgpr_dispatch_ptr 0
		.amdhsa_user_sgpr_queue_ptr 0
		.amdhsa_user_sgpr_kernarg_segment_ptr 1
		.amdhsa_user_sgpr_dispatch_id 0
		.amdhsa_user_sgpr_flat_scratch_init 0
		.amdhsa_user_sgpr_private_segment_size 0
		.amdhsa_wavefront_size32 1
		.amdhsa_uses_dynamic_stack 0
		.amdhsa_system_sgpr_private_segment_wavefront_offset 0
		.amdhsa_system_sgpr_workgroup_id_x 1
		.amdhsa_system_sgpr_workgroup_id_y 0
		.amdhsa_system_sgpr_workgroup_id_z 0
		.amdhsa_system_sgpr_workgroup_info 0
		.amdhsa_system_vgpr_workitem_id 0
		.amdhsa_next_free_vgpr 1
		.amdhsa_next_free_sgpr 1
		.amdhsa_reserve_vcc 0
		.amdhsa_reserve_flat_scratch 0
		.amdhsa_float_round_mode_32 0
		.amdhsa_float_round_mode_16_64 0
		.amdhsa_float_denorm_mode_32 3
		.amdhsa_float_denorm_mode_16_64 3
		.amdhsa_dx10_clamp 1
		.amdhsa_ieee_mode 1
		.amdhsa_fp16_overflow 0
		.amdhsa_workgroup_processor_mode 1
		.amdhsa_memory_ordered 1
		.amdhsa_forward_progress 1
		.amdhsa_shared_vgpr_count 0
		.amdhsa_exception_fp_ieee_invalid_op 0
		.amdhsa_exception_fp_denorm_src 0
		.amdhsa_exception_fp_ieee_div_zero 0
		.amdhsa_exception_fp_ieee_overflow 0
		.amdhsa_exception_fp_ieee_underflow 0
		.amdhsa_exception_fp_ieee_inexact 0
		.amdhsa_exception_int_div_zero 0
	.end_amdhsa_kernel
	.section	.text._ZN7rocprim17ROCPRIM_400000_NS6detail17trampoline_kernelINS0_14default_configENS1_21merge_config_selectorINS0_5tupleIJffEEENS0_10empty_typeEEEZNS1_10merge_implIS3_NS0_12zip_iteratorINS5_IJN6thrust23THRUST_200600_302600_NS6detail15normal_iteratorINSC_10device_ptrIKfEEEESI_EEEEESK_NSA_INS5_IJNSE_INSF_IfEEEESM_EEEEEPS7_SP_SP_NSC_11hip_rocprim7__merge17predicate_wrapperIffNSC_4lessIfEEEEEE10hipError_tPvRmT0_T1_T2_T3_T4_T5_mmT6_P12ihipStream_tbEUlT_E0_NS1_11comp_targetILNS1_3genE10ELNS1_11target_archE1201ELNS1_3gpuE5ELNS1_3repE0EEENS1_30default_config_static_selectorELNS0_4arch9wavefront6targetE0EEEvS10_,"axG",@progbits,_ZN7rocprim17ROCPRIM_400000_NS6detail17trampoline_kernelINS0_14default_configENS1_21merge_config_selectorINS0_5tupleIJffEEENS0_10empty_typeEEEZNS1_10merge_implIS3_NS0_12zip_iteratorINS5_IJN6thrust23THRUST_200600_302600_NS6detail15normal_iteratorINSC_10device_ptrIKfEEEESI_EEEEESK_NSA_INS5_IJNSE_INSF_IfEEEESM_EEEEEPS7_SP_SP_NSC_11hip_rocprim7__merge17predicate_wrapperIffNSC_4lessIfEEEEEE10hipError_tPvRmT0_T1_T2_T3_T4_T5_mmT6_P12ihipStream_tbEUlT_E0_NS1_11comp_targetILNS1_3genE10ELNS1_11target_archE1201ELNS1_3gpuE5ELNS1_3repE0EEENS1_30default_config_static_selectorELNS0_4arch9wavefront6targetE0EEEvS10_,comdat
.Lfunc_end73:
	.size	_ZN7rocprim17ROCPRIM_400000_NS6detail17trampoline_kernelINS0_14default_configENS1_21merge_config_selectorINS0_5tupleIJffEEENS0_10empty_typeEEEZNS1_10merge_implIS3_NS0_12zip_iteratorINS5_IJN6thrust23THRUST_200600_302600_NS6detail15normal_iteratorINSC_10device_ptrIKfEEEESI_EEEEESK_NSA_INS5_IJNSE_INSF_IfEEEESM_EEEEEPS7_SP_SP_NSC_11hip_rocprim7__merge17predicate_wrapperIffNSC_4lessIfEEEEEE10hipError_tPvRmT0_T1_T2_T3_T4_T5_mmT6_P12ihipStream_tbEUlT_E0_NS1_11comp_targetILNS1_3genE10ELNS1_11target_archE1201ELNS1_3gpuE5ELNS1_3repE0EEENS1_30default_config_static_selectorELNS0_4arch9wavefront6targetE0EEEvS10_, .Lfunc_end73-_ZN7rocprim17ROCPRIM_400000_NS6detail17trampoline_kernelINS0_14default_configENS1_21merge_config_selectorINS0_5tupleIJffEEENS0_10empty_typeEEEZNS1_10merge_implIS3_NS0_12zip_iteratorINS5_IJN6thrust23THRUST_200600_302600_NS6detail15normal_iteratorINSC_10device_ptrIKfEEEESI_EEEEESK_NSA_INS5_IJNSE_INSF_IfEEEESM_EEEEEPS7_SP_SP_NSC_11hip_rocprim7__merge17predicate_wrapperIffNSC_4lessIfEEEEEE10hipError_tPvRmT0_T1_T2_T3_T4_T5_mmT6_P12ihipStream_tbEUlT_E0_NS1_11comp_targetILNS1_3genE10ELNS1_11target_archE1201ELNS1_3gpuE5ELNS1_3repE0EEENS1_30default_config_static_selectorELNS0_4arch9wavefront6targetE0EEEvS10_
                                        ; -- End function
	.set _ZN7rocprim17ROCPRIM_400000_NS6detail17trampoline_kernelINS0_14default_configENS1_21merge_config_selectorINS0_5tupleIJffEEENS0_10empty_typeEEEZNS1_10merge_implIS3_NS0_12zip_iteratorINS5_IJN6thrust23THRUST_200600_302600_NS6detail15normal_iteratorINSC_10device_ptrIKfEEEESI_EEEEESK_NSA_INS5_IJNSE_INSF_IfEEEESM_EEEEEPS7_SP_SP_NSC_11hip_rocprim7__merge17predicate_wrapperIffNSC_4lessIfEEEEEE10hipError_tPvRmT0_T1_T2_T3_T4_T5_mmT6_P12ihipStream_tbEUlT_E0_NS1_11comp_targetILNS1_3genE10ELNS1_11target_archE1201ELNS1_3gpuE5ELNS1_3repE0EEENS1_30default_config_static_selectorELNS0_4arch9wavefront6targetE0EEEvS10_.num_vgpr, 0
	.set _ZN7rocprim17ROCPRIM_400000_NS6detail17trampoline_kernelINS0_14default_configENS1_21merge_config_selectorINS0_5tupleIJffEEENS0_10empty_typeEEEZNS1_10merge_implIS3_NS0_12zip_iteratorINS5_IJN6thrust23THRUST_200600_302600_NS6detail15normal_iteratorINSC_10device_ptrIKfEEEESI_EEEEESK_NSA_INS5_IJNSE_INSF_IfEEEESM_EEEEEPS7_SP_SP_NSC_11hip_rocprim7__merge17predicate_wrapperIffNSC_4lessIfEEEEEE10hipError_tPvRmT0_T1_T2_T3_T4_T5_mmT6_P12ihipStream_tbEUlT_E0_NS1_11comp_targetILNS1_3genE10ELNS1_11target_archE1201ELNS1_3gpuE5ELNS1_3repE0EEENS1_30default_config_static_selectorELNS0_4arch9wavefront6targetE0EEEvS10_.num_agpr, 0
	.set _ZN7rocprim17ROCPRIM_400000_NS6detail17trampoline_kernelINS0_14default_configENS1_21merge_config_selectorINS0_5tupleIJffEEENS0_10empty_typeEEEZNS1_10merge_implIS3_NS0_12zip_iteratorINS5_IJN6thrust23THRUST_200600_302600_NS6detail15normal_iteratorINSC_10device_ptrIKfEEEESI_EEEEESK_NSA_INS5_IJNSE_INSF_IfEEEESM_EEEEEPS7_SP_SP_NSC_11hip_rocprim7__merge17predicate_wrapperIffNSC_4lessIfEEEEEE10hipError_tPvRmT0_T1_T2_T3_T4_T5_mmT6_P12ihipStream_tbEUlT_E0_NS1_11comp_targetILNS1_3genE10ELNS1_11target_archE1201ELNS1_3gpuE5ELNS1_3repE0EEENS1_30default_config_static_selectorELNS0_4arch9wavefront6targetE0EEEvS10_.numbered_sgpr, 0
	.set _ZN7rocprim17ROCPRIM_400000_NS6detail17trampoline_kernelINS0_14default_configENS1_21merge_config_selectorINS0_5tupleIJffEEENS0_10empty_typeEEEZNS1_10merge_implIS3_NS0_12zip_iteratorINS5_IJN6thrust23THRUST_200600_302600_NS6detail15normal_iteratorINSC_10device_ptrIKfEEEESI_EEEEESK_NSA_INS5_IJNSE_INSF_IfEEEESM_EEEEEPS7_SP_SP_NSC_11hip_rocprim7__merge17predicate_wrapperIffNSC_4lessIfEEEEEE10hipError_tPvRmT0_T1_T2_T3_T4_T5_mmT6_P12ihipStream_tbEUlT_E0_NS1_11comp_targetILNS1_3genE10ELNS1_11target_archE1201ELNS1_3gpuE5ELNS1_3repE0EEENS1_30default_config_static_selectorELNS0_4arch9wavefront6targetE0EEEvS10_.num_named_barrier, 0
	.set _ZN7rocprim17ROCPRIM_400000_NS6detail17trampoline_kernelINS0_14default_configENS1_21merge_config_selectorINS0_5tupleIJffEEENS0_10empty_typeEEEZNS1_10merge_implIS3_NS0_12zip_iteratorINS5_IJN6thrust23THRUST_200600_302600_NS6detail15normal_iteratorINSC_10device_ptrIKfEEEESI_EEEEESK_NSA_INS5_IJNSE_INSF_IfEEEESM_EEEEEPS7_SP_SP_NSC_11hip_rocprim7__merge17predicate_wrapperIffNSC_4lessIfEEEEEE10hipError_tPvRmT0_T1_T2_T3_T4_T5_mmT6_P12ihipStream_tbEUlT_E0_NS1_11comp_targetILNS1_3genE10ELNS1_11target_archE1201ELNS1_3gpuE5ELNS1_3repE0EEENS1_30default_config_static_selectorELNS0_4arch9wavefront6targetE0EEEvS10_.private_seg_size, 0
	.set _ZN7rocprim17ROCPRIM_400000_NS6detail17trampoline_kernelINS0_14default_configENS1_21merge_config_selectorINS0_5tupleIJffEEENS0_10empty_typeEEEZNS1_10merge_implIS3_NS0_12zip_iteratorINS5_IJN6thrust23THRUST_200600_302600_NS6detail15normal_iteratorINSC_10device_ptrIKfEEEESI_EEEEESK_NSA_INS5_IJNSE_INSF_IfEEEESM_EEEEEPS7_SP_SP_NSC_11hip_rocprim7__merge17predicate_wrapperIffNSC_4lessIfEEEEEE10hipError_tPvRmT0_T1_T2_T3_T4_T5_mmT6_P12ihipStream_tbEUlT_E0_NS1_11comp_targetILNS1_3genE10ELNS1_11target_archE1201ELNS1_3gpuE5ELNS1_3repE0EEENS1_30default_config_static_selectorELNS0_4arch9wavefront6targetE0EEEvS10_.uses_vcc, 0
	.set _ZN7rocprim17ROCPRIM_400000_NS6detail17trampoline_kernelINS0_14default_configENS1_21merge_config_selectorINS0_5tupleIJffEEENS0_10empty_typeEEEZNS1_10merge_implIS3_NS0_12zip_iteratorINS5_IJN6thrust23THRUST_200600_302600_NS6detail15normal_iteratorINSC_10device_ptrIKfEEEESI_EEEEESK_NSA_INS5_IJNSE_INSF_IfEEEESM_EEEEEPS7_SP_SP_NSC_11hip_rocprim7__merge17predicate_wrapperIffNSC_4lessIfEEEEEE10hipError_tPvRmT0_T1_T2_T3_T4_T5_mmT6_P12ihipStream_tbEUlT_E0_NS1_11comp_targetILNS1_3genE10ELNS1_11target_archE1201ELNS1_3gpuE5ELNS1_3repE0EEENS1_30default_config_static_selectorELNS0_4arch9wavefront6targetE0EEEvS10_.uses_flat_scratch, 0
	.set _ZN7rocprim17ROCPRIM_400000_NS6detail17trampoline_kernelINS0_14default_configENS1_21merge_config_selectorINS0_5tupleIJffEEENS0_10empty_typeEEEZNS1_10merge_implIS3_NS0_12zip_iteratorINS5_IJN6thrust23THRUST_200600_302600_NS6detail15normal_iteratorINSC_10device_ptrIKfEEEESI_EEEEESK_NSA_INS5_IJNSE_INSF_IfEEEESM_EEEEEPS7_SP_SP_NSC_11hip_rocprim7__merge17predicate_wrapperIffNSC_4lessIfEEEEEE10hipError_tPvRmT0_T1_T2_T3_T4_T5_mmT6_P12ihipStream_tbEUlT_E0_NS1_11comp_targetILNS1_3genE10ELNS1_11target_archE1201ELNS1_3gpuE5ELNS1_3repE0EEENS1_30default_config_static_selectorELNS0_4arch9wavefront6targetE0EEEvS10_.has_dyn_sized_stack, 0
	.set _ZN7rocprim17ROCPRIM_400000_NS6detail17trampoline_kernelINS0_14default_configENS1_21merge_config_selectorINS0_5tupleIJffEEENS0_10empty_typeEEEZNS1_10merge_implIS3_NS0_12zip_iteratorINS5_IJN6thrust23THRUST_200600_302600_NS6detail15normal_iteratorINSC_10device_ptrIKfEEEESI_EEEEESK_NSA_INS5_IJNSE_INSF_IfEEEESM_EEEEEPS7_SP_SP_NSC_11hip_rocprim7__merge17predicate_wrapperIffNSC_4lessIfEEEEEE10hipError_tPvRmT0_T1_T2_T3_T4_T5_mmT6_P12ihipStream_tbEUlT_E0_NS1_11comp_targetILNS1_3genE10ELNS1_11target_archE1201ELNS1_3gpuE5ELNS1_3repE0EEENS1_30default_config_static_selectorELNS0_4arch9wavefront6targetE0EEEvS10_.has_recursion, 0
	.set _ZN7rocprim17ROCPRIM_400000_NS6detail17trampoline_kernelINS0_14default_configENS1_21merge_config_selectorINS0_5tupleIJffEEENS0_10empty_typeEEEZNS1_10merge_implIS3_NS0_12zip_iteratorINS5_IJN6thrust23THRUST_200600_302600_NS6detail15normal_iteratorINSC_10device_ptrIKfEEEESI_EEEEESK_NSA_INS5_IJNSE_INSF_IfEEEESM_EEEEEPS7_SP_SP_NSC_11hip_rocprim7__merge17predicate_wrapperIffNSC_4lessIfEEEEEE10hipError_tPvRmT0_T1_T2_T3_T4_T5_mmT6_P12ihipStream_tbEUlT_E0_NS1_11comp_targetILNS1_3genE10ELNS1_11target_archE1201ELNS1_3gpuE5ELNS1_3repE0EEENS1_30default_config_static_selectorELNS0_4arch9wavefront6targetE0EEEvS10_.has_indirect_call, 0
	.section	.AMDGPU.csdata,"",@progbits
; Kernel info:
; codeLenInByte = 0
; TotalNumSgprs: 0
; NumVgprs: 0
; ScratchSize: 0
; MemoryBound: 0
; FloatMode: 240
; IeeeMode: 1
; LDSByteSize: 0 bytes/workgroup (compile time only)
; SGPRBlocks: 0
; VGPRBlocks: 0
; NumSGPRsForWavesPerEU: 1
; NumVGPRsForWavesPerEU: 1
; Occupancy: 16
; WaveLimiterHint : 0
; COMPUTE_PGM_RSRC2:SCRATCH_EN: 0
; COMPUTE_PGM_RSRC2:USER_SGPR: 6
; COMPUTE_PGM_RSRC2:TRAP_HANDLER: 0
; COMPUTE_PGM_RSRC2:TGID_X_EN: 1
; COMPUTE_PGM_RSRC2:TGID_Y_EN: 0
; COMPUTE_PGM_RSRC2:TGID_Z_EN: 0
; COMPUTE_PGM_RSRC2:TIDIG_COMP_CNT: 0
	.section	.text._ZN7rocprim17ROCPRIM_400000_NS6detail17trampoline_kernelINS0_14default_configENS1_21merge_config_selectorINS0_5tupleIJffEEENS0_10empty_typeEEEZNS1_10merge_implIS3_NS0_12zip_iteratorINS5_IJN6thrust23THRUST_200600_302600_NS6detail15normal_iteratorINSC_10device_ptrIKfEEEESI_EEEEESK_NSA_INS5_IJNSE_INSF_IfEEEESM_EEEEEPS7_SP_SP_NSC_11hip_rocprim7__merge17predicate_wrapperIffNSC_4lessIfEEEEEE10hipError_tPvRmT0_T1_T2_T3_T4_T5_mmT6_P12ihipStream_tbEUlT_E0_NS1_11comp_targetILNS1_3genE10ELNS1_11target_archE1200ELNS1_3gpuE4ELNS1_3repE0EEENS1_30default_config_static_selectorELNS0_4arch9wavefront6targetE0EEEvS10_,"axG",@progbits,_ZN7rocprim17ROCPRIM_400000_NS6detail17trampoline_kernelINS0_14default_configENS1_21merge_config_selectorINS0_5tupleIJffEEENS0_10empty_typeEEEZNS1_10merge_implIS3_NS0_12zip_iteratorINS5_IJN6thrust23THRUST_200600_302600_NS6detail15normal_iteratorINSC_10device_ptrIKfEEEESI_EEEEESK_NSA_INS5_IJNSE_INSF_IfEEEESM_EEEEEPS7_SP_SP_NSC_11hip_rocprim7__merge17predicate_wrapperIffNSC_4lessIfEEEEEE10hipError_tPvRmT0_T1_T2_T3_T4_T5_mmT6_P12ihipStream_tbEUlT_E0_NS1_11comp_targetILNS1_3genE10ELNS1_11target_archE1200ELNS1_3gpuE4ELNS1_3repE0EEENS1_30default_config_static_selectorELNS0_4arch9wavefront6targetE0EEEvS10_,comdat
	.protected	_ZN7rocprim17ROCPRIM_400000_NS6detail17trampoline_kernelINS0_14default_configENS1_21merge_config_selectorINS0_5tupleIJffEEENS0_10empty_typeEEEZNS1_10merge_implIS3_NS0_12zip_iteratorINS5_IJN6thrust23THRUST_200600_302600_NS6detail15normal_iteratorINSC_10device_ptrIKfEEEESI_EEEEESK_NSA_INS5_IJNSE_INSF_IfEEEESM_EEEEEPS7_SP_SP_NSC_11hip_rocprim7__merge17predicate_wrapperIffNSC_4lessIfEEEEEE10hipError_tPvRmT0_T1_T2_T3_T4_T5_mmT6_P12ihipStream_tbEUlT_E0_NS1_11comp_targetILNS1_3genE10ELNS1_11target_archE1200ELNS1_3gpuE4ELNS1_3repE0EEENS1_30default_config_static_selectorELNS0_4arch9wavefront6targetE0EEEvS10_ ; -- Begin function _ZN7rocprim17ROCPRIM_400000_NS6detail17trampoline_kernelINS0_14default_configENS1_21merge_config_selectorINS0_5tupleIJffEEENS0_10empty_typeEEEZNS1_10merge_implIS3_NS0_12zip_iteratorINS5_IJN6thrust23THRUST_200600_302600_NS6detail15normal_iteratorINSC_10device_ptrIKfEEEESI_EEEEESK_NSA_INS5_IJNSE_INSF_IfEEEESM_EEEEEPS7_SP_SP_NSC_11hip_rocprim7__merge17predicate_wrapperIffNSC_4lessIfEEEEEE10hipError_tPvRmT0_T1_T2_T3_T4_T5_mmT6_P12ihipStream_tbEUlT_E0_NS1_11comp_targetILNS1_3genE10ELNS1_11target_archE1200ELNS1_3gpuE4ELNS1_3repE0EEENS1_30default_config_static_selectorELNS0_4arch9wavefront6targetE0EEEvS10_
	.globl	_ZN7rocprim17ROCPRIM_400000_NS6detail17trampoline_kernelINS0_14default_configENS1_21merge_config_selectorINS0_5tupleIJffEEENS0_10empty_typeEEEZNS1_10merge_implIS3_NS0_12zip_iteratorINS5_IJN6thrust23THRUST_200600_302600_NS6detail15normal_iteratorINSC_10device_ptrIKfEEEESI_EEEEESK_NSA_INS5_IJNSE_INSF_IfEEEESM_EEEEEPS7_SP_SP_NSC_11hip_rocprim7__merge17predicate_wrapperIffNSC_4lessIfEEEEEE10hipError_tPvRmT0_T1_T2_T3_T4_T5_mmT6_P12ihipStream_tbEUlT_E0_NS1_11comp_targetILNS1_3genE10ELNS1_11target_archE1200ELNS1_3gpuE4ELNS1_3repE0EEENS1_30default_config_static_selectorELNS0_4arch9wavefront6targetE0EEEvS10_
	.p2align	8
	.type	_ZN7rocprim17ROCPRIM_400000_NS6detail17trampoline_kernelINS0_14default_configENS1_21merge_config_selectorINS0_5tupleIJffEEENS0_10empty_typeEEEZNS1_10merge_implIS3_NS0_12zip_iteratorINS5_IJN6thrust23THRUST_200600_302600_NS6detail15normal_iteratorINSC_10device_ptrIKfEEEESI_EEEEESK_NSA_INS5_IJNSE_INSF_IfEEEESM_EEEEEPS7_SP_SP_NSC_11hip_rocprim7__merge17predicate_wrapperIffNSC_4lessIfEEEEEE10hipError_tPvRmT0_T1_T2_T3_T4_T5_mmT6_P12ihipStream_tbEUlT_E0_NS1_11comp_targetILNS1_3genE10ELNS1_11target_archE1200ELNS1_3gpuE4ELNS1_3repE0EEENS1_30default_config_static_selectorELNS0_4arch9wavefront6targetE0EEEvS10_,@function
_ZN7rocprim17ROCPRIM_400000_NS6detail17trampoline_kernelINS0_14default_configENS1_21merge_config_selectorINS0_5tupleIJffEEENS0_10empty_typeEEEZNS1_10merge_implIS3_NS0_12zip_iteratorINS5_IJN6thrust23THRUST_200600_302600_NS6detail15normal_iteratorINSC_10device_ptrIKfEEEESI_EEEEESK_NSA_INS5_IJNSE_INSF_IfEEEESM_EEEEEPS7_SP_SP_NSC_11hip_rocprim7__merge17predicate_wrapperIffNSC_4lessIfEEEEEE10hipError_tPvRmT0_T1_T2_T3_T4_T5_mmT6_P12ihipStream_tbEUlT_E0_NS1_11comp_targetILNS1_3genE10ELNS1_11target_archE1200ELNS1_3gpuE4ELNS1_3repE0EEENS1_30default_config_static_selectorELNS0_4arch9wavefront6targetE0EEEvS10_: ; @_ZN7rocprim17ROCPRIM_400000_NS6detail17trampoline_kernelINS0_14default_configENS1_21merge_config_selectorINS0_5tupleIJffEEENS0_10empty_typeEEEZNS1_10merge_implIS3_NS0_12zip_iteratorINS5_IJN6thrust23THRUST_200600_302600_NS6detail15normal_iteratorINSC_10device_ptrIKfEEEESI_EEEEESK_NSA_INS5_IJNSE_INSF_IfEEEESM_EEEEEPS7_SP_SP_NSC_11hip_rocprim7__merge17predicate_wrapperIffNSC_4lessIfEEEEEE10hipError_tPvRmT0_T1_T2_T3_T4_T5_mmT6_P12ihipStream_tbEUlT_E0_NS1_11comp_targetILNS1_3genE10ELNS1_11target_archE1200ELNS1_3gpuE4ELNS1_3repE0EEENS1_30default_config_static_selectorELNS0_4arch9wavefront6targetE0EEEvS10_
; %bb.0:
	.section	.rodata,"a",@progbits
	.p2align	6, 0x0
	.amdhsa_kernel _ZN7rocprim17ROCPRIM_400000_NS6detail17trampoline_kernelINS0_14default_configENS1_21merge_config_selectorINS0_5tupleIJffEEENS0_10empty_typeEEEZNS1_10merge_implIS3_NS0_12zip_iteratorINS5_IJN6thrust23THRUST_200600_302600_NS6detail15normal_iteratorINSC_10device_ptrIKfEEEESI_EEEEESK_NSA_INS5_IJNSE_INSF_IfEEEESM_EEEEEPS7_SP_SP_NSC_11hip_rocprim7__merge17predicate_wrapperIffNSC_4lessIfEEEEEE10hipError_tPvRmT0_T1_T2_T3_T4_T5_mmT6_P12ihipStream_tbEUlT_E0_NS1_11comp_targetILNS1_3genE10ELNS1_11target_archE1200ELNS1_3gpuE4ELNS1_3repE0EEENS1_30default_config_static_selectorELNS0_4arch9wavefront6targetE0EEEvS10_
		.amdhsa_group_segment_fixed_size 0
		.amdhsa_private_segment_fixed_size 0
		.amdhsa_kernarg_size 112
		.amdhsa_user_sgpr_count 6
		.amdhsa_user_sgpr_private_segment_buffer 1
		.amdhsa_user_sgpr_dispatch_ptr 0
		.amdhsa_user_sgpr_queue_ptr 0
		.amdhsa_user_sgpr_kernarg_segment_ptr 1
		.amdhsa_user_sgpr_dispatch_id 0
		.amdhsa_user_sgpr_flat_scratch_init 0
		.amdhsa_user_sgpr_private_segment_size 0
		.amdhsa_wavefront_size32 1
		.amdhsa_uses_dynamic_stack 0
		.amdhsa_system_sgpr_private_segment_wavefront_offset 0
		.amdhsa_system_sgpr_workgroup_id_x 1
		.amdhsa_system_sgpr_workgroup_id_y 0
		.amdhsa_system_sgpr_workgroup_id_z 0
		.amdhsa_system_sgpr_workgroup_info 0
		.amdhsa_system_vgpr_workitem_id 0
		.amdhsa_next_free_vgpr 1
		.amdhsa_next_free_sgpr 1
		.amdhsa_reserve_vcc 0
		.amdhsa_reserve_flat_scratch 0
		.amdhsa_float_round_mode_32 0
		.amdhsa_float_round_mode_16_64 0
		.amdhsa_float_denorm_mode_32 3
		.amdhsa_float_denorm_mode_16_64 3
		.amdhsa_dx10_clamp 1
		.amdhsa_ieee_mode 1
		.amdhsa_fp16_overflow 0
		.amdhsa_workgroup_processor_mode 1
		.amdhsa_memory_ordered 1
		.amdhsa_forward_progress 1
		.amdhsa_shared_vgpr_count 0
		.amdhsa_exception_fp_ieee_invalid_op 0
		.amdhsa_exception_fp_denorm_src 0
		.amdhsa_exception_fp_ieee_div_zero 0
		.amdhsa_exception_fp_ieee_overflow 0
		.amdhsa_exception_fp_ieee_underflow 0
		.amdhsa_exception_fp_ieee_inexact 0
		.amdhsa_exception_int_div_zero 0
	.end_amdhsa_kernel
	.section	.text._ZN7rocprim17ROCPRIM_400000_NS6detail17trampoline_kernelINS0_14default_configENS1_21merge_config_selectorINS0_5tupleIJffEEENS0_10empty_typeEEEZNS1_10merge_implIS3_NS0_12zip_iteratorINS5_IJN6thrust23THRUST_200600_302600_NS6detail15normal_iteratorINSC_10device_ptrIKfEEEESI_EEEEESK_NSA_INS5_IJNSE_INSF_IfEEEESM_EEEEEPS7_SP_SP_NSC_11hip_rocprim7__merge17predicate_wrapperIffNSC_4lessIfEEEEEE10hipError_tPvRmT0_T1_T2_T3_T4_T5_mmT6_P12ihipStream_tbEUlT_E0_NS1_11comp_targetILNS1_3genE10ELNS1_11target_archE1200ELNS1_3gpuE4ELNS1_3repE0EEENS1_30default_config_static_selectorELNS0_4arch9wavefront6targetE0EEEvS10_,"axG",@progbits,_ZN7rocprim17ROCPRIM_400000_NS6detail17trampoline_kernelINS0_14default_configENS1_21merge_config_selectorINS0_5tupleIJffEEENS0_10empty_typeEEEZNS1_10merge_implIS3_NS0_12zip_iteratorINS5_IJN6thrust23THRUST_200600_302600_NS6detail15normal_iteratorINSC_10device_ptrIKfEEEESI_EEEEESK_NSA_INS5_IJNSE_INSF_IfEEEESM_EEEEEPS7_SP_SP_NSC_11hip_rocprim7__merge17predicate_wrapperIffNSC_4lessIfEEEEEE10hipError_tPvRmT0_T1_T2_T3_T4_T5_mmT6_P12ihipStream_tbEUlT_E0_NS1_11comp_targetILNS1_3genE10ELNS1_11target_archE1200ELNS1_3gpuE4ELNS1_3repE0EEENS1_30default_config_static_selectorELNS0_4arch9wavefront6targetE0EEEvS10_,comdat
.Lfunc_end74:
	.size	_ZN7rocprim17ROCPRIM_400000_NS6detail17trampoline_kernelINS0_14default_configENS1_21merge_config_selectorINS0_5tupleIJffEEENS0_10empty_typeEEEZNS1_10merge_implIS3_NS0_12zip_iteratorINS5_IJN6thrust23THRUST_200600_302600_NS6detail15normal_iteratorINSC_10device_ptrIKfEEEESI_EEEEESK_NSA_INS5_IJNSE_INSF_IfEEEESM_EEEEEPS7_SP_SP_NSC_11hip_rocprim7__merge17predicate_wrapperIffNSC_4lessIfEEEEEE10hipError_tPvRmT0_T1_T2_T3_T4_T5_mmT6_P12ihipStream_tbEUlT_E0_NS1_11comp_targetILNS1_3genE10ELNS1_11target_archE1200ELNS1_3gpuE4ELNS1_3repE0EEENS1_30default_config_static_selectorELNS0_4arch9wavefront6targetE0EEEvS10_, .Lfunc_end74-_ZN7rocprim17ROCPRIM_400000_NS6detail17trampoline_kernelINS0_14default_configENS1_21merge_config_selectorINS0_5tupleIJffEEENS0_10empty_typeEEEZNS1_10merge_implIS3_NS0_12zip_iteratorINS5_IJN6thrust23THRUST_200600_302600_NS6detail15normal_iteratorINSC_10device_ptrIKfEEEESI_EEEEESK_NSA_INS5_IJNSE_INSF_IfEEEESM_EEEEEPS7_SP_SP_NSC_11hip_rocprim7__merge17predicate_wrapperIffNSC_4lessIfEEEEEE10hipError_tPvRmT0_T1_T2_T3_T4_T5_mmT6_P12ihipStream_tbEUlT_E0_NS1_11comp_targetILNS1_3genE10ELNS1_11target_archE1200ELNS1_3gpuE4ELNS1_3repE0EEENS1_30default_config_static_selectorELNS0_4arch9wavefront6targetE0EEEvS10_
                                        ; -- End function
	.set _ZN7rocprim17ROCPRIM_400000_NS6detail17trampoline_kernelINS0_14default_configENS1_21merge_config_selectorINS0_5tupleIJffEEENS0_10empty_typeEEEZNS1_10merge_implIS3_NS0_12zip_iteratorINS5_IJN6thrust23THRUST_200600_302600_NS6detail15normal_iteratorINSC_10device_ptrIKfEEEESI_EEEEESK_NSA_INS5_IJNSE_INSF_IfEEEESM_EEEEEPS7_SP_SP_NSC_11hip_rocprim7__merge17predicate_wrapperIffNSC_4lessIfEEEEEE10hipError_tPvRmT0_T1_T2_T3_T4_T5_mmT6_P12ihipStream_tbEUlT_E0_NS1_11comp_targetILNS1_3genE10ELNS1_11target_archE1200ELNS1_3gpuE4ELNS1_3repE0EEENS1_30default_config_static_selectorELNS0_4arch9wavefront6targetE0EEEvS10_.num_vgpr, 0
	.set _ZN7rocprim17ROCPRIM_400000_NS6detail17trampoline_kernelINS0_14default_configENS1_21merge_config_selectorINS0_5tupleIJffEEENS0_10empty_typeEEEZNS1_10merge_implIS3_NS0_12zip_iteratorINS5_IJN6thrust23THRUST_200600_302600_NS6detail15normal_iteratorINSC_10device_ptrIKfEEEESI_EEEEESK_NSA_INS5_IJNSE_INSF_IfEEEESM_EEEEEPS7_SP_SP_NSC_11hip_rocprim7__merge17predicate_wrapperIffNSC_4lessIfEEEEEE10hipError_tPvRmT0_T1_T2_T3_T4_T5_mmT6_P12ihipStream_tbEUlT_E0_NS1_11comp_targetILNS1_3genE10ELNS1_11target_archE1200ELNS1_3gpuE4ELNS1_3repE0EEENS1_30default_config_static_selectorELNS0_4arch9wavefront6targetE0EEEvS10_.num_agpr, 0
	.set _ZN7rocprim17ROCPRIM_400000_NS6detail17trampoline_kernelINS0_14default_configENS1_21merge_config_selectorINS0_5tupleIJffEEENS0_10empty_typeEEEZNS1_10merge_implIS3_NS0_12zip_iteratorINS5_IJN6thrust23THRUST_200600_302600_NS6detail15normal_iteratorINSC_10device_ptrIKfEEEESI_EEEEESK_NSA_INS5_IJNSE_INSF_IfEEEESM_EEEEEPS7_SP_SP_NSC_11hip_rocprim7__merge17predicate_wrapperIffNSC_4lessIfEEEEEE10hipError_tPvRmT0_T1_T2_T3_T4_T5_mmT6_P12ihipStream_tbEUlT_E0_NS1_11comp_targetILNS1_3genE10ELNS1_11target_archE1200ELNS1_3gpuE4ELNS1_3repE0EEENS1_30default_config_static_selectorELNS0_4arch9wavefront6targetE0EEEvS10_.numbered_sgpr, 0
	.set _ZN7rocprim17ROCPRIM_400000_NS6detail17trampoline_kernelINS0_14default_configENS1_21merge_config_selectorINS0_5tupleIJffEEENS0_10empty_typeEEEZNS1_10merge_implIS3_NS0_12zip_iteratorINS5_IJN6thrust23THRUST_200600_302600_NS6detail15normal_iteratorINSC_10device_ptrIKfEEEESI_EEEEESK_NSA_INS5_IJNSE_INSF_IfEEEESM_EEEEEPS7_SP_SP_NSC_11hip_rocprim7__merge17predicate_wrapperIffNSC_4lessIfEEEEEE10hipError_tPvRmT0_T1_T2_T3_T4_T5_mmT6_P12ihipStream_tbEUlT_E0_NS1_11comp_targetILNS1_3genE10ELNS1_11target_archE1200ELNS1_3gpuE4ELNS1_3repE0EEENS1_30default_config_static_selectorELNS0_4arch9wavefront6targetE0EEEvS10_.num_named_barrier, 0
	.set _ZN7rocprim17ROCPRIM_400000_NS6detail17trampoline_kernelINS0_14default_configENS1_21merge_config_selectorINS0_5tupleIJffEEENS0_10empty_typeEEEZNS1_10merge_implIS3_NS0_12zip_iteratorINS5_IJN6thrust23THRUST_200600_302600_NS6detail15normal_iteratorINSC_10device_ptrIKfEEEESI_EEEEESK_NSA_INS5_IJNSE_INSF_IfEEEESM_EEEEEPS7_SP_SP_NSC_11hip_rocprim7__merge17predicate_wrapperIffNSC_4lessIfEEEEEE10hipError_tPvRmT0_T1_T2_T3_T4_T5_mmT6_P12ihipStream_tbEUlT_E0_NS1_11comp_targetILNS1_3genE10ELNS1_11target_archE1200ELNS1_3gpuE4ELNS1_3repE0EEENS1_30default_config_static_selectorELNS0_4arch9wavefront6targetE0EEEvS10_.private_seg_size, 0
	.set _ZN7rocprim17ROCPRIM_400000_NS6detail17trampoline_kernelINS0_14default_configENS1_21merge_config_selectorINS0_5tupleIJffEEENS0_10empty_typeEEEZNS1_10merge_implIS3_NS0_12zip_iteratorINS5_IJN6thrust23THRUST_200600_302600_NS6detail15normal_iteratorINSC_10device_ptrIKfEEEESI_EEEEESK_NSA_INS5_IJNSE_INSF_IfEEEESM_EEEEEPS7_SP_SP_NSC_11hip_rocprim7__merge17predicate_wrapperIffNSC_4lessIfEEEEEE10hipError_tPvRmT0_T1_T2_T3_T4_T5_mmT6_P12ihipStream_tbEUlT_E0_NS1_11comp_targetILNS1_3genE10ELNS1_11target_archE1200ELNS1_3gpuE4ELNS1_3repE0EEENS1_30default_config_static_selectorELNS0_4arch9wavefront6targetE0EEEvS10_.uses_vcc, 0
	.set _ZN7rocprim17ROCPRIM_400000_NS6detail17trampoline_kernelINS0_14default_configENS1_21merge_config_selectorINS0_5tupleIJffEEENS0_10empty_typeEEEZNS1_10merge_implIS3_NS0_12zip_iteratorINS5_IJN6thrust23THRUST_200600_302600_NS6detail15normal_iteratorINSC_10device_ptrIKfEEEESI_EEEEESK_NSA_INS5_IJNSE_INSF_IfEEEESM_EEEEEPS7_SP_SP_NSC_11hip_rocprim7__merge17predicate_wrapperIffNSC_4lessIfEEEEEE10hipError_tPvRmT0_T1_T2_T3_T4_T5_mmT6_P12ihipStream_tbEUlT_E0_NS1_11comp_targetILNS1_3genE10ELNS1_11target_archE1200ELNS1_3gpuE4ELNS1_3repE0EEENS1_30default_config_static_selectorELNS0_4arch9wavefront6targetE0EEEvS10_.uses_flat_scratch, 0
	.set _ZN7rocprim17ROCPRIM_400000_NS6detail17trampoline_kernelINS0_14default_configENS1_21merge_config_selectorINS0_5tupleIJffEEENS0_10empty_typeEEEZNS1_10merge_implIS3_NS0_12zip_iteratorINS5_IJN6thrust23THRUST_200600_302600_NS6detail15normal_iteratorINSC_10device_ptrIKfEEEESI_EEEEESK_NSA_INS5_IJNSE_INSF_IfEEEESM_EEEEEPS7_SP_SP_NSC_11hip_rocprim7__merge17predicate_wrapperIffNSC_4lessIfEEEEEE10hipError_tPvRmT0_T1_T2_T3_T4_T5_mmT6_P12ihipStream_tbEUlT_E0_NS1_11comp_targetILNS1_3genE10ELNS1_11target_archE1200ELNS1_3gpuE4ELNS1_3repE0EEENS1_30default_config_static_selectorELNS0_4arch9wavefront6targetE0EEEvS10_.has_dyn_sized_stack, 0
	.set _ZN7rocprim17ROCPRIM_400000_NS6detail17trampoline_kernelINS0_14default_configENS1_21merge_config_selectorINS0_5tupleIJffEEENS0_10empty_typeEEEZNS1_10merge_implIS3_NS0_12zip_iteratorINS5_IJN6thrust23THRUST_200600_302600_NS6detail15normal_iteratorINSC_10device_ptrIKfEEEESI_EEEEESK_NSA_INS5_IJNSE_INSF_IfEEEESM_EEEEEPS7_SP_SP_NSC_11hip_rocprim7__merge17predicate_wrapperIffNSC_4lessIfEEEEEE10hipError_tPvRmT0_T1_T2_T3_T4_T5_mmT6_P12ihipStream_tbEUlT_E0_NS1_11comp_targetILNS1_3genE10ELNS1_11target_archE1200ELNS1_3gpuE4ELNS1_3repE0EEENS1_30default_config_static_selectorELNS0_4arch9wavefront6targetE0EEEvS10_.has_recursion, 0
	.set _ZN7rocprim17ROCPRIM_400000_NS6detail17trampoline_kernelINS0_14default_configENS1_21merge_config_selectorINS0_5tupleIJffEEENS0_10empty_typeEEEZNS1_10merge_implIS3_NS0_12zip_iteratorINS5_IJN6thrust23THRUST_200600_302600_NS6detail15normal_iteratorINSC_10device_ptrIKfEEEESI_EEEEESK_NSA_INS5_IJNSE_INSF_IfEEEESM_EEEEEPS7_SP_SP_NSC_11hip_rocprim7__merge17predicate_wrapperIffNSC_4lessIfEEEEEE10hipError_tPvRmT0_T1_T2_T3_T4_T5_mmT6_P12ihipStream_tbEUlT_E0_NS1_11comp_targetILNS1_3genE10ELNS1_11target_archE1200ELNS1_3gpuE4ELNS1_3repE0EEENS1_30default_config_static_selectorELNS0_4arch9wavefront6targetE0EEEvS10_.has_indirect_call, 0
	.section	.AMDGPU.csdata,"",@progbits
; Kernel info:
; codeLenInByte = 0
; TotalNumSgprs: 0
; NumVgprs: 0
; ScratchSize: 0
; MemoryBound: 0
; FloatMode: 240
; IeeeMode: 1
; LDSByteSize: 0 bytes/workgroup (compile time only)
; SGPRBlocks: 0
; VGPRBlocks: 0
; NumSGPRsForWavesPerEU: 1
; NumVGPRsForWavesPerEU: 1
; Occupancy: 16
; WaveLimiterHint : 0
; COMPUTE_PGM_RSRC2:SCRATCH_EN: 0
; COMPUTE_PGM_RSRC2:USER_SGPR: 6
; COMPUTE_PGM_RSRC2:TRAP_HANDLER: 0
; COMPUTE_PGM_RSRC2:TGID_X_EN: 1
; COMPUTE_PGM_RSRC2:TGID_Y_EN: 0
; COMPUTE_PGM_RSRC2:TGID_Z_EN: 0
; COMPUTE_PGM_RSRC2:TIDIG_COMP_CNT: 0
	.section	.text._ZN7rocprim17ROCPRIM_400000_NS6detail17trampoline_kernelINS0_14default_configENS1_21merge_config_selectorINS0_5tupleIJffEEENS0_10empty_typeEEEZNS1_10merge_implIS3_NS0_12zip_iteratorINS5_IJN6thrust23THRUST_200600_302600_NS6detail15normal_iteratorINSC_10device_ptrIKfEEEESI_EEEEESK_NSA_INS5_IJNSE_INSF_IfEEEESM_EEEEEPS7_SP_SP_NSC_11hip_rocprim7__merge17predicate_wrapperIffNSC_4lessIfEEEEEE10hipError_tPvRmT0_T1_T2_T3_T4_T5_mmT6_P12ihipStream_tbEUlT_E0_NS1_11comp_targetILNS1_3genE9ELNS1_11target_archE1100ELNS1_3gpuE3ELNS1_3repE0EEENS1_30default_config_static_selectorELNS0_4arch9wavefront6targetE0EEEvS10_,"axG",@progbits,_ZN7rocprim17ROCPRIM_400000_NS6detail17trampoline_kernelINS0_14default_configENS1_21merge_config_selectorINS0_5tupleIJffEEENS0_10empty_typeEEEZNS1_10merge_implIS3_NS0_12zip_iteratorINS5_IJN6thrust23THRUST_200600_302600_NS6detail15normal_iteratorINSC_10device_ptrIKfEEEESI_EEEEESK_NSA_INS5_IJNSE_INSF_IfEEEESM_EEEEEPS7_SP_SP_NSC_11hip_rocprim7__merge17predicate_wrapperIffNSC_4lessIfEEEEEE10hipError_tPvRmT0_T1_T2_T3_T4_T5_mmT6_P12ihipStream_tbEUlT_E0_NS1_11comp_targetILNS1_3genE9ELNS1_11target_archE1100ELNS1_3gpuE3ELNS1_3repE0EEENS1_30default_config_static_selectorELNS0_4arch9wavefront6targetE0EEEvS10_,comdat
	.protected	_ZN7rocprim17ROCPRIM_400000_NS6detail17trampoline_kernelINS0_14default_configENS1_21merge_config_selectorINS0_5tupleIJffEEENS0_10empty_typeEEEZNS1_10merge_implIS3_NS0_12zip_iteratorINS5_IJN6thrust23THRUST_200600_302600_NS6detail15normal_iteratorINSC_10device_ptrIKfEEEESI_EEEEESK_NSA_INS5_IJNSE_INSF_IfEEEESM_EEEEEPS7_SP_SP_NSC_11hip_rocprim7__merge17predicate_wrapperIffNSC_4lessIfEEEEEE10hipError_tPvRmT0_T1_T2_T3_T4_T5_mmT6_P12ihipStream_tbEUlT_E0_NS1_11comp_targetILNS1_3genE9ELNS1_11target_archE1100ELNS1_3gpuE3ELNS1_3repE0EEENS1_30default_config_static_selectorELNS0_4arch9wavefront6targetE0EEEvS10_ ; -- Begin function _ZN7rocprim17ROCPRIM_400000_NS6detail17trampoline_kernelINS0_14default_configENS1_21merge_config_selectorINS0_5tupleIJffEEENS0_10empty_typeEEEZNS1_10merge_implIS3_NS0_12zip_iteratorINS5_IJN6thrust23THRUST_200600_302600_NS6detail15normal_iteratorINSC_10device_ptrIKfEEEESI_EEEEESK_NSA_INS5_IJNSE_INSF_IfEEEESM_EEEEEPS7_SP_SP_NSC_11hip_rocprim7__merge17predicate_wrapperIffNSC_4lessIfEEEEEE10hipError_tPvRmT0_T1_T2_T3_T4_T5_mmT6_P12ihipStream_tbEUlT_E0_NS1_11comp_targetILNS1_3genE9ELNS1_11target_archE1100ELNS1_3gpuE3ELNS1_3repE0EEENS1_30default_config_static_selectorELNS0_4arch9wavefront6targetE0EEEvS10_
	.globl	_ZN7rocprim17ROCPRIM_400000_NS6detail17trampoline_kernelINS0_14default_configENS1_21merge_config_selectorINS0_5tupleIJffEEENS0_10empty_typeEEEZNS1_10merge_implIS3_NS0_12zip_iteratorINS5_IJN6thrust23THRUST_200600_302600_NS6detail15normal_iteratorINSC_10device_ptrIKfEEEESI_EEEEESK_NSA_INS5_IJNSE_INSF_IfEEEESM_EEEEEPS7_SP_SP_NSC_11hip_rocprim7__merge17predicate_wrapperIffNSC_4lessIfEEEEEE10hipError_tPvRmT0_T1_T2_T3_T4_T5_mmT6_P12ihipStream_tbEUlT_E0_NS1_11comp_targetILNS1_3genE9ELNS1_11target_archE1100ELNS1_3gpuE3ELNS1_3repE0EEENS1_30default_config_static_selectorELNS0_4arch9wavefront6targetE0EEEvS10_
	.p2align	8
	.type	_ZN7rocprim17ROCPRIM_400000_NS6detail17trampoline_kernelINS0_14default_configENS1_21merge_config_selectorINS0_5tupleIJffEEENS0_10empty_typeEEEZNS1_10merge_implIS3_NS0_12zip_iteratorINS5_IJN6thrust23THRUST_200600_302600_NS6detail15normal_iteratorINSC_10device_ptrIKfEEEESI_EEEEESK_NSA_INS5_IJNSE_INSF_IfEEEESM_EEEEEPS7_SP_SP_NSC_11hip_rocprim7__merge17predicate_wrapperIffNSC_4lessIfEEEEEE10hipError_tPvRmT0_T1_T2_T3_T4_T5_mmT6_P12ihipStream_tbEUlT_E0_NS1_11comp_targetILNS1_3genE9ELNS1_11target_archE1100ELNS1_3gpuE3ELNS1_3repE0EEENS1_30default_config_static_selectorELNS0_4arch9wavefront6targetE0EEEvS10_,@function
_ZN7rocprim17ROCPRIM_400000_NS6detail17trampoline_kernelINS0_14default_configENS1_21merge_config_selectorINS0_5tupleIJffEEENS0_10empty_typeEEEZNS1_10merge_implIS3_NS0_12zip_iteratorINS5_IJN6thrust23THRUST_200600_302600_NS6detail15normal_iteratorINSC_10device_ptrIKfEEEESI_EEEEESK_NSA_INS5_IJNSE_INSF_IfEEEESM_EEEEEPS7_SP_SP_NSC_11hip_rocprim7__merge17predicate_wrapperIffNSC_4lessIfEEEEEE10hipError_tPvRmT0_T1_T2_T3_T4_T5_mmT6_P12ihipStream_tbEUlT_E0_NS1_11comp_targetILNS1_3genE9ELNS1_11target_archE1100ELNS1_3gpuE3ELNS1_3repE0EEENS1_30default_config_static_selectorELNS0_4arch9wavefront6targetE0EEEvS10_: ; @_ZN7rocprim17ROCPRIM_400000_NS6detail17trampoline_kernelINS0_14default_configENS1_21merge_config_selectorINS0_5tupleIJffEEENS0_10empty_typeEEEZNS1_10merge_implIS3_NS0_12zip_iteratorINS5_IJN6thrust23THRUST_200600_302600_NS6detail15normal_iteratorINSC_10device_ptrIKfEEEESI_EEEEESK_NSA_INS5_IJNSE_INSF_IfEEEESM_EEEEEPS7_SP_SP_NSC_11hip_rocprim7__merge17predicate_wrapperIffNSC_4lessIfEEEEEE10hipError_tPvRmT0_T1_T2_T3_T4_T5_mmT6_P12ihipStream_tbEUlT_E0_NS1_11comp_targetILNS1_3genE9ELNS1_11target_archE1100ELNS1_3gpuE3ELNS1_3repE0EEENS1_30default_config_static_selectorELNS0_4arch9wavefront6targetE0EEEvS10_
; %bb.0:
	.section	.rodata,"a",@progbits
	.p2align	6, 0x0
	.amdhsa_kernel _ZN7rocprim17ROCPRIM_400000_NS6detail17trampoline_kernelINS0_14default_configENS1_21merge_config_selectorINS0_5tupleIJffEEENS0_10empty_typeEEEZNS1_10merge_implIS3_NS0_12zip_iteratorINS5_IJN6thrust23THRUST_200600_302600_NS6detail15normal_iteratorINSC_10device_ptrIKfEEEESI_EEEEESK_NSA_INS5_IJNSE_INSF_IfEEEESM_EEEEEPS7_SP_SP_NSC_11hip_rocprim7__merge17predicate_wrapperIffNSC_4lessIfEEEEEE10hipError_tPvRmT0_T1_T2_T3_T4_T5_mmT6_P12ihipStream_tbEUlT_E0_NS1_11comp_targetILNS1_3genE9ELNS1_11target_archE1100ELNS1_3gpuE3ELNS1_3repE0EEENS1_30default_config_static_selectorELNS0_4arch9wavefront6targetE0EEEvS10_
		.amdhsa_group_segment_fixed_size 0
		.amdhsa_private_segment_fixed_size 0
		.amdhsa_kernarg_size 112
		.amdhsa_user_sgpr_count 6
		.amdhsa_user_sgpr_private_segment_buffer 1
		.amdhsa_user_sgpr_dispatch_ptr 0
		.amdhsa_user_sgpr_queue_ptr 0
		.amdhsa_user_sgpr_kernarg_segment_ptr 1
		.amdhsa_user_sgpr_dispatch_id 0
		.amdhsa_user_sgpr_flat_scratch_init 0
		.amdhsa_user_sgpr_private_segment_size 0
		.amdhsa_wavefront_size32 1
		.amdhsa_uses_dynamic_stack 0
		.amdhsa_system_sgpr_private_segment_wavefront_offset 0
		.amdhsa_system_sgpr_workgroup_id_x 1
		.amdhsa_system_sgpr_workgroup_id_y 0
		.amdhsa_system_sgpr_workgroup_id_z 0
		.amdhsa_system_sgpr_workgroup_info 0
		.amdhsa_system_vgpr_workitem_id 0
		.amdhsa_next_free_vgpr 1
		.amdhsa_next_free_sgpr 1
		.amdhsa_reserve_vcc 0
		.amdhsa_reserve_flat_scratch 0
		.amdhsa_float_round_mode_32 0
		.amdhsa_float_round_mode_16_64 0
		.amdhsa_float_denorm_mode_32 3
		.amdhsa_float_denorm_mode_16_64 3
		.amdhsa_dx10_clamp 1
		.amdhsa_ieee_mode 1
		.amdhsa_fp16_overflow 0
		.amdhsa_workgroup_processor_mode 1
		.amdhsa_memory_ordered 1
		.amdhsa_forward_progress 1
		.amdhsa_shared_vgpr_count 0
		.amdhsa_exception_fp_ieee_invalid_op 0
		.amdhsa_exception_fp_denorm_src 0
		.amdhsa_exception_fp_ieee_div_zero 0
		.amdhsa_exception_fp_ieee_overflow 0
		.amdhsa_exception_fp_ieee_underflow 0
		.amdhsa_exception_fp_ieee_inexact 0
		.amdhsa_exception_int_div_zero 0
	.end_amdhsa_kernel
	.section	.text._ZN7rocprim17ROCPRIM_400000_NS6detail17trampoline_kernelINS0_14default_configENS1_21merge_config_selectorINS0_5tupleIJffEEENS0_10empty_typeEEEZNS1_10merge_implIS3_NS0_12zip_iteratorINS5_IJN6thrust23THRUST_200600_302600_NS6detail15normal_iteratorINSC_10device_ptrIKfEEEESI_EEEEESK_NSA_INS5_IJNSE_INSF_IfEEEESM_EEEEEPS7_SP_SP_NSC_11hip_rocprim7__merge17predicate_wrapperIffNSC_4lessIfEEEEEE10hipError_tPvRmT0_T1_T2_T3_T4_T5_mmT6_P12ihipStream_tbEUlT_E0_NS1_11comp_targetILNS1_3genE9ELNS1_11target_archE1100ELNS1_3gpuE3ELNS1_3repE0EEENS1_30default_config_static_selectorELNS0_4arch9wavefront6targetE0EEEvS10_,"axG",@progbits,_ZN7rocprim17ROCPRIM_400000_NS6detail17trampoline_kernelINS0_14default_configENS1_21merge_config_selectorINS0_5tupleIJffEEENS0_10empty_typeEEEZNS1_10merge_implIS3_NS0_12zip_iteratorINS5_IJN6thrust23THRUST_200600_302600_NS6detail15normal_iteratorINSC_10device_ptrIKfEEEESI_EEEEESK_NSA_INS5_IJNSE_INSF_IfEEEESM_EEEEEPS7_SP_SP_NSC_11hip_rocprim7__merge17predicate_wrapperIffNSC_4lessIfEEEEEE10hipError_tPvRmT0_T1_T2_T3_T4_T5_mmT6_P12ihipStream_tbEUlT_E0_NS1_11comp_targetILNS1_3genE9ELNS1_11target_archE1100ELNS1_3gpuE3ELNS1_3repE0EEENS1_30default_config_static_selectorELNS0_4arch9wavefront6targetE0EEEvS10_,comdat
.Lfunc_end75:
	.size	_ZN7rocprim17ROCPRIM_400000_NS6detail17trampoline_kernelINS0_14default_configENS1_21merge_config_selectorINS0_5tupleIJffEEENS0_10empty_typeEEEZNS1_10merge_implIS3_NS0_12zip_iteratorINS5_IJN6thrust23THRUST_200600_302600_NS6detail15normal_iteratorINSC_10device_ptrIKfEEEESI_EEEEESK_NSA_INS5_IJNSE_INSF_IfEEEESM_EEEEEPS7_SP_SP_NSC_11hip_rocprim7__merge17predicate_wrapperIffNSC_4lessIfEEEEEE10hipError_tPvRmT0_T1_T2_T3_T4_T5_mmT6_P12ihipStream_tbEUlT_E0_NS1_11comp_targetILNS1_3genE9ELNS1_11target_archE1100ELNS1_3gpuE3ELNS1_3repE0EEENS1_30default_config_static_selectorELNS0_4arch9wavefront6targetE0EEEvS10_, .Lfunc_end75-_ZN7rocprim17ROCPRIM_400000_NS6detail17trampoline_kernelINS0_14default_configENS1_21merge_config_selectorINS0_5tupleIJffEEENS0_10empty_typeEEEZNS1_10merge_implIS3_NS0_12zip_iteratorINS5_IJN6thrust23THRUST_200600_302600_NS6detail15normal_iteratorINSC_10device_ptrIKfEEEESI_EEEEESK_NSA_INS5_IJNSE_INSF_IfEEEESM_EEEEEPS7_SP_SP_NSC_11hip_rocprim7__merge17predicate_wrapperIffNSC_4lessIfEEEEEE10hipError_tPvRmT0_T1_T2_T3_T4_T5_mmT6_P12ihipStream_tbEUlT_E0_NS1_11comp_targetILNS1_3genE9ELNS1_11target_archE1100ELNS1_3gpuE3ELNS1_3repE0EEENS1_30default_config_static_selectorELNS0_4arch9wavefront6targetE0EEEvS10_
                                        ; -- End function
	.set _ZN7rocprim17ROCPRIM_400000_NS6detail17trampoline_kernelINS0_14default_configENS1_21merge_config_selectorINS0_5tupleIJffEEENS0_10empty_typeEEEZNS1_10merge_implIS3_NS0_12zip_iteratorINS5_IJN6thrust23THRUST_200600_302600_NS6detail15normal_iteratorINSC_10device_ptrIKfEEEESI_EEEEESK_NSA_INS5_IJNSE_INSF_IfEEEESM_EEEEEPS7_SP_SP_NSC_11hip_rocprim7__merge17predicate_wrapperIffNSC_4lessIfEEEEEE10hipError_tPvRmT0_T1_T2_T3_T4_T5_mmT6_P12ihipStream_tbEUlT_E0_NS1_11comp_targetILNS1_3genE9ELNS1_11target_archE1100ELNS1_3gpuE3ELNS1_3repE0EEENS1_30default_config_static_selectorELNS0_4arch9wavefront6targetE0EEEvS10_.num_vgpr, 0
	.set _ZN7rocprim17ROCPRIM_400000_NS6detail17trampoline_kernelINS0_14default_configENS1_21merge_config_selectorINS0_5tupleIJffEEENS0_10empty_typeEEEZNS1_10merge_implIS3_NS0_12zip_iteratorINS5_IJN6thrust23THRUST_200600_302600_NS6detail15normal_iteratorINSC_10device_ptrIKfEEEESI_EEEEESK_NSA_INS5_IJNSE_INSF_IfEEEESM_EEEEEPS7_SP_SP_NSC_11hip_rocprim7__merge17predicate_wrapperIffNSC_4lessIfEEEEEE10hipError_tPvRmT0_T1_T2_T3_T4_T5_mmT6_P12ihipStream_tbEUlT_E0_NS1_11comp_targetILNS1_3genE9ELNS1_11target_archE1100ELNS1_3gpuE3ELNS1_3repE0EEENS1_30default_config_static_selectorELNS0_4arch9wavefront6targetE0EEEvS10_.num_agpr, 0
	.set _ZN7rocprim17ROCPRIM_400000_NS6detail17trampoline_kernelINS0_14default_configENS1_21merge_config_selectorINS0_5tupleIJffEEENS0_10empty_typeEEEZNS1_10merge_implIS3_NS0_12zip_iteratorINS5_IJN6thrust23THRUST_200600_302600_NS6detail15normal_iteratorINSC_10device_ptrIKfEEEESI_EEEEESK_NSA_INS5_IJNSE_INSF_IfEEEESM_EEEEEPS7_SP_SP_NSC_11hip_rocprim7__merge17predicate_wrapperIffNSC_4lessIfEEEEEE10hipError_tPvRmT0_T1_T2_T3_T4_T5_mmT6_P12ihipStream_tbEUlT_E0_NS1_11comp_targetILNS1_3genE9ELNS1_11target_archE1100ELNS1_3gpuE3ELNS1_3repE0EEENS1_30default_config_static_selectorELNS0_4arch9wavefront6targetE0EEEvS10_.numbered_sgpr, 0
	.set _ZN7rocprim17ROCPRIM_400000_NS6detail17trampoline_kernelINS0_14default_configENS1_21merge_config_selectorINS0_5tupleIJffEEENS0_10empty_typeEEEZNS1_10merge_implIS3_NS0_12zip_iteratorINS5_IJN6thrust23THRUST_200600_302600_NS6detail15normal_iteratorINSC_10device_ptrIKfEEEESI_EEEEESK_NSA_INS5_IJNSE_INSF_IfEEEESM_EEEEEPS7_SP_SP_NSC_11hip_rocprim7__merge17predicate_wrapperIffNSC_4lessIfEEEEEE10hipError_tPvRmT0_T1_T2_T3_T4_T5_mmT6_P12ihipStream_tbEUlT_E0_NS1_11comp_targetILNS1_3genE9ELNS1_11target_archE1100ELNS1_3gpuE3ELNS1_3repE0EEENS1_30default_config_static_selectorELNS0_4arch9wavefront6targetE0EEEvS10_.num_named_barrier, 0
	.set _ZN7rocprim17ROCPRIM_400000_NS6detail17trampoline_kernelINS0_14default_configENS1_21merge_config_selectorINS0_5tupleIJffEEENS0_10empty_typeEEEZNS1_10merge_implIS3_NS0_12zip_iteratorINS5_IJN6thrust23THRUST_200600_302600_NS6detail15normal_iteratorINSC_10device_ptrIKfEEEESI_EEEEESK_NSA_INS5_IJNSE_INSF_IfEEEESM_EEEEEPS7_SP_SP_NSC_11hip_rocprim7__merge17predicate_wrapperIffNSC_4lessIfEEEEEE10hipError_tPvRmT0_T1_T2_T3_T4_T5_mmT6_P12ihipStream_tbEUlT_E0_NS1_11comp_targetILNS1_3genE9ELNS1_11target_archE1100ELNS1_3gpuE3ELNS1_3repE0EEENS1_30default_config_static_selectorELNS0_4arch9wavefront6targetE0EEEvS10_.private_seg_size, 0
	.set _ZN7rocprim17ROCPRIM_400000_NS6detail17trampoline_kernelINS0_14default_configENS1_21merge_config_selectorINS0_5tupleIJffEEENS0_10empty_typeEEEZNS1_10merge_implIS3_NS0_12zip_iteratorINS5_IJN6thrust23THRUST_200600_302600_NS6detail15normal_iteratorINSC_10device_ptrIKfEEEESI_EEEEESK_NSA_INS5_IJNSE_INSF_IfEEEESM_EEEEEPS7_SP_SP_NSC_11hip_rocprim7__merge17predicate_wrapperIffNSC_4lessIfEEEEEE10hipError_tPvRmT0_T1_T2_T3_T4_T5_mmT6_P12ihipStream_tbEUlT_E0_NS1_11comp_targetILNS1_3genE9ELNS1_11target_archE1100ELNS1_3gpuE3ELNS1_3repE0EEENS1_30default_config_static_selectorELNS0_4arch9wavefront6targetE0EEEvS10_.uses_vcc, 0
	.set _ZN7rocprim17ROCPRIM_400000_NS6detail17trampoline_kernelINS0_14default_configENS1_21merge_config_selectorINS0_5tupleIJffEEENS0_10empty_typeEEEZNS1_10merge_implIS3_NS0_12zip_iteratorINS5_IJN6thrust23THRUST_200600_302600_NS6detail15normal_iteratorINSC_10device_ptrIKfEEEESI_EEEEESK_NSA_INS5_IJNSE_INSF_IfEEEESM_EEEEEPS7_SP_SP_NSC_11hip_rocprim7__merge17predicate_wrapperIffNSC_4lessIfEEEEEE10hipError_tPvRmT0_T1_T2_T3_T4_T5_mmT6_P12ihipStream_tbEUlT_E0_NS1_11comp_targetILNS1_3genE9ELNS1_11target_archE1100ELNS1_3gpuE3ELNS1_3repE0EEENS1_30default_config_static_selectorELNS0_4arch9wavefront6targetE0EEEvS10_.uses_flat_scratch, 0
	.set _ZN7rocprim17ROCPRIM_400000_NS6detail17trampoline_kernelINS0_14default_configENS1_21merge_config_selectorINS0_5tupleIJffEEENS0_10empty_typeEEEZNS1_10merge_implIS3_NS0_12zip_iteratorINS5_IJN6thrust23THRUST_200600_302600_NS6detail15normal_iteratorINSC_10device_ptrIKfEEEESI_EEEEESK_NSA_INS5_IJNSE_INSF_IfEEEESM_EEEEEPS7_SP_SP_NSC_11hip_rocprim7__merge17predicate_wrapperIffNSC_4lessIfEEEEEE10hipError_tPvRmT0_T1_T2_T3_T4_T5_mmT6_P12ihipStream_tbEUlT_E0_NS1_11comp_targetILNS1_3genE9ELNS1_11target_archE1100ELNS1_3gpuE3ELNS1_3repE0EEENS1_30default_config_static_selectorELNS0_4arch9wavefront6targetE0EEEvS10_.has_dyn_sized_stack, 0
	.set _ZN7rocprim17ROCPRIM_400000_NS6detail17trampoline_kernelINS0_14default_configENS1_21merge_config_selectorINS0_5tupleIJffEEENS0_10empty_typeEEEZNS1_10merge_implIS3_NS0_12zip_iteratorINS5_IJN6thrust23THRUST_200600_302600_NS6detail15normal_iteratorINSC_10device_ptrIKfEEEESI_EEEEESK_NSA_INS5_IJNSE_INSF_IfEEEESM_EEEEEPS7_SP_SP_NSC_11hip_rocprim7__merge17predicate_wrapperIffNSC_4lessIfEEEEEE10hipError_tPvRmT0_T1_T2_T3_T4_T5_mmT6_P12ihipStream_tbEUlT_E0_NS1_11comp_targetILNS1_3genE9ELNS1_11target_archE1100ELNS1_3gpuE3ELNS1_3repE0EEENS1_30default_config_static_selectorELNS0_4arch9wavefront6targetE0EEEvS10_.has_recursion, 0
	.set _ZN7rocprim17ROCPRIM_400000_NS6detail17trampoline_kernelINS0_14default_configENS1_21merge_config_selectorINS0_5tupleIJffEEENS0_10empty_typeEEEZNS1_10merge_implIS3_NS0_12zip_iteratorINS5_IJN6thrust23THRUST_200600_302600_NS6detail15normal_iteratorINSC_10device_ptrIKfEEEESI_EEEEESK_NSA_INS5_IJNSE_INSF_IfEEEESM_EEEEEPS7_SP_SP_NSC_11hip_rocprim7__merge17predicate_wrapperIffNSC_4lessIfEEEEEE10hipError_tPvRmT0_T1_T2_T3_T4_T5_mmT6_P12ihipStream_tbEUlT_E0_NS1_11comp_targetILNS1_3genE9ELNS1_11target_archE1100ELNS1_3gpuE3ELNS1_3repE0EEENS1_30default_config_static_selectorELNS0_4arch9wavefront6targetE0EEEvS10_.has_indirect_call, 0
	.section	.AMDGPU.csdata,"",@progbits
; Kernel info:
; codeLenInByte = 0
; TotalNumSgprs: 0
; NumVgprs: 0
; ScratchSize: 0
; MemoryBound: 0
; FloatMode: 240
; IeeeMode: 1
; LDSByteSize: 0 bytes/workgroup (compile time only)
; SGPRBlocks: 0
; VGPRBlocks: 0
; NumSGPRsForWavesPerEU: 1
; NumVGPRsForWavesPerEU: 1
; Occupancy: 16
; WaveLimiterHint : 0
; COMPUTE_PGM_RSRC2:SCRATCH_EN: 0
; COMPUTE_PGM_RSRC2:USER_SGPR: 6
; COMPUTE_PGM_RSRC2:TRAP_HANDLER: 0
; COMPUTE_PGM_RSRC2:TGID_X_EN: 1
; COMPUTE_PGM_RSRC2:TGID_Y_EN: 0
; COMPUTE_PGM_RSRC2:TGID_Z_EN: 0
; COMPUTE_PGM_RSRC2:TIDIG_COMP_CNT: 0
	.section	.text._ZN7rocprim17ROCPRIM_400000_NS6detail17trampoline_kernelINS0_14default_configENS1_21merge_config_selectorINS0_5tupleIJffEEENS0_10empty_typeEEEZNS1_10merge_implIS3_NS0_12zip_iteratorINS5_IJN6thrust23THRUST_200600_302600_NS6detail15normal_iteratorINSC_10device_ptrIKfEEEESI_EEEEESK_NSA_INS5_IJNSE_INSF_IfEEEESM_EEEEEPS7_SP_SP_NSC_11hip_rocprim7__merge17predicate_wrapperIffNSC_4lessIfEEEEEE10hipError_tPvRmT0_T1_T2_T3_T4_T5_mmT6_P12ihipStream_tbEUlT_E0_NS1_11comp_targetILNS1_3genE8ELNS1_11target_archE1030ELNS1_3gpuE2ELNS1_3repE0EEENS1_30default_config_static_selectorELNS0_4arch9wavefront6targetE0EEEvS10_,"axG",@progbits,_ZN7rocprim17ROCPRIM_400000_NS6detail17trampoline_kernelINS0_14default_configENS1_21merge_config_selectorINS0_5tupleIJffEEENS0_10empty_typeEEEZNS1_10merge_implIS3_NS0_12zip_iteratorINS5_IJN6thrust23THRUST_200600_302600_NS6detail15normal_iteratorINSC_10device_ptrIKfEEEESI_EEEEESK_NSA_INS5_IJNSE_INSF_IfEEEESM_EEEEEPS7_SP_SP_NSC_11hip_rocprim7__merge17predicate_wrapperIffNSC_4lessIfEEEEEE10hipError_tPvRmT0_T1_T2_T3_T4_T5_mmT6_P12ihipStream_tbEUlT_E0_NS1_11comp_targetILNS1_3genE8ELNS1_11target_archE1030ELNS1_3gpuE2ELNS1_3repE0EEENS1_30default_config_static_selectorELNS0_4arch9wavefront6targetE0EEEvS10_,comdat
	.protected	_ZN7rocprim17ROCPRIM_400000_NS6detail17trampoline_kernelINS0_14default_configENS1_21merge_config_selectorINS0_5tupleIJffEEENS0_10empty_typeEEEZNS1_10merge_implIS3_NS0_12zip_iteratorINS5_IJN6thrust23THRUST_200600_302600_NS6detail15normal_iteratorINSC_10device_ptrIKfEEEESI_EEEEESK_NSA_INS5_IJNSE_INSF_IfEEEESM_EEEEEPS7_SP_SP_NSC_11hip_rocprim7__merge17predicate_wrapperIffNSC_4lessIfEEEEEE10hipError_tPvRmT0_T1_T2_T3_T4_T5_mmT6_P12ihipStream_tbEUlT_E0_NS1_11comp_targetILNS1_3genE8ELNS1_11target_archE1030ELNS1_3gpuE2ELNS1_3repE0EEENS1_30default_config_static_selectorELNS0_4arch9wavefront6targetE0EEEvS10_ ; -- Begin function _ZN7rocprim17ROCPRIM_400000_NS6detail17trampoline_kernelINS0_14default_configENS1_21merge_config_selectorINS0_5tupleIJffEEENS0_10empty_typeEEEZNS1_10merge_implIS3_NS0_12zip_iteratorINS5_IJN6thrust23THRUST_200600_302600_NS6detail15normal_iteratorINSC_10device_ptrIKfEEEESI_EEEEESK_NSA_INS5_IJNSE_INSF_IfEEEESM_EEEEEPS7_SP_SP_NSC_11hip_rocprim7__merge17predicate_wrapperIffNSC_4lessIfEEEEEE10hipError_tPvRmT0_T1_T2_T3_T4_T5_mmT6_P12ihipStream_tbEUlT_E0_NS1_11comp_targetILNS1_3genE8ELNS1_11target_archE1030ELNS1_3gpuE2ELNS1_3repE0EEENS1_30default_config_static_selectorELNS0_4arch9wavefront6targetE0EEEvS10_
	.globl	_ZN7rocprim17ROCPRIM_400000_NS6detail17trampoline_kernelINS0_14default_configENS1_21merge_config_selectorINS0_5tupleIJffEEENS0_10empty_typeEEEZNS1_10merge_implIS3_NS0_12zip_iteratorINS5_IJN6thrust23THRUST_200600_302600_NS6detail15normal_iteratorINSC_10device_ptrIKfEEEESI_EEEEESK_NSA_INS5_IJNSE_INSF_IfEEEESM_EEEEEPS7_SP_SP_NSC_11hip_rocprim7__merge17predicate_wrapperIffNSC_4lessIfEEEEEE10hipError_tPvRmT0_T1_T2_T3_T4_T5_mmT6_P12ihipStream_tbEUlT_E0_NS1_11comp_targetILNS1_3genE8ELNS1_11target_archE1030ELNS1_3gpuE2ELNS1_3repE0EEENS1_30default_config_static_selectorELNS0_4arch9wavefront6targetE0EEEvS10_
	.p2align	8
	.type	_ZN7rocprim17ROCPRIM_400000_NS6detail17trampoline_kernelINS0_14default_configENS1_21merge_config_selectorINS0_5tupleIJffEEENS0_10empty_typeEEEZNS1_10merge_implIS3_NS0_12zip_iteratorINS5_IJN6thrust23THRUST_200600_302600_NS6detail15normal_iteratorINSC_10device_ptrIKfEEEESI_EEEEESK_NSA_INS5_IJNSE_INSF_IfEEEESM_EEEEEPS7_SP_SP_NSC_11hip_rocprim7__merge17predicate_wrapperIffNSC_4lessIfEEEEEE10hipError_tPvRmT0_T1_T2_T3_T4_T5_mmT6_P12ihipStream_tbEUlT_E0_NS1_11comp_targetILNS1_3genE8ELNS1_11target_archE1030ELNS1_3gpuE2ELNS1_3repE0EEENS1_30default_config_static_selectorELNS0_4arch9wavefront6targetE0EEEvS10_,@function
_ZN7rocprim17ROCPRIM_400000_NS6detail17trampoline_kernelINS0_14default_configENS1_21merge_config_selectorINS0_5tupleIJffEEENS0_10empty_typeEEEZNS1_10merge_implIS3_NS0_12zip_iteratorINS5_IJN6thrust23THRUST_200600_302600_NS6detail15normal_iteratorINSC_10device_ptrIKfEEEESI_EEEEESK_NSA_INS5_IJNSE_INSF_IfEEEESM_EEEEEPS7_SP_SP_NSC_11hip_rocprim7__merge17predicate_wrapperIffNSC_4lessIfEEEEEE10hipError_tPvRmT0_T1_T2_T3_T4_T5_mmT6_P12ihipStream_tbEUlT_E0_NS1_11comp_targetILNS1_3genE8ELNS1_11target_archE1030ELNS1_3gpuE2ELNS1_3repE0EEENS1_30default_config_static_selectorELNS0_4arch9wavefront6targetE0EEEvS10_: ; @_ZN7rocprim17ROCPRIM_400000_NS6detail17trampoline_kernelINS0_14default_configENS1_21merge_config_selectorINS0_5tupleIJffEEENS0_10empty_typeEEEZNS1_10merge_implIS3_NS0_12zip_iteratorINS5_IJN6thrust23THRUST_200600_302600_NS6detail15normal_iteratorINSC_10device_ptrIKfEEEESI_EEEEESK_NSA_INS5_IJNSE_INSF_IfEEEESM_EEEEEPS7_SP_SP_NSC_11hip_rocprim7__merge17predicate_wrapperIffNSC_4lessIfEEEEEE10hipError_tPvRmT0_T1_T2_T3_T4_T5_mmT6_P12ihipStream_tbEUlT_E0_NS1_11comp_targetILNS1_3genE8ELNS1_11target_archE1030ELNS1_3gpuE2ELNS1_3repE0EEENS1_30default_config_static_selectorELNS0_4arch9wavefront6targetE0EEEvS10_
; %bb.0:
	s_clause 0x2
	s_load_dwordx4 s[0:3], s[4:5], 0x58
	s_load_dwordx8 s[8:15], s[4:5], 0x8
	s_load_dwordx4 s[16:19], s[4:5], 0x28
	s_lshl_b32 s20, s6, 12
	s_mov_b32 s25, 0
	v_mov_b32_e32 v1, 0
	s_mov_b32 s27, s25
	s_waitcnt lgkmcnt(0)
	s_add_i32 s22, s2, s0
	s_add_i32 s0, s22, 0xfff
	s_lshr_b32 s0, s0, 12
	s_min_u32 s1, s6, s0
	s_lshl_b32 s1, s1, 2
	s_load_dword s24, s[8:9], s1 offset:0x0
	s_add_i32 s1, s6, 1
	s_min_u32 s0, s1, s0
	s_lshl_b32 s0, s0, 2
	s_load_dword s21, s[8:9], s0 offset:0x0
	s_add_i32 s0, s20, 0x1000
	s_min_u32 s23, s22, s0
	s_waitcnt lgkmcnt(0)
	s_lshl_b64 s[2:3], s[24:25], 2
	s_sub_i32 s26, s20, s24
	s_add_u32 s0, s10, s2
	s_addc_u32 s1, s11, s3
	s_add_u32 s2, s12, s2
	s_addc_u32 s3, s13, s3
	s_lshl_b64 s[8:9], s[26:27], 2
	s_mov_b32 s13, exec_lo
	s_add_u32 s6, s14, s8
	s_addc_u32 s7, s15, s9
	s_add_u32 s8, s16, s8
	s_addc_u32 s9, s17, s9
	s_add_i32 s10, s26, s21
	s_sub_i32 s15, s21, s24
	s_sub_i32 s12, s23, s10
	s_add_u32 s10, s12, s15
	s_addc_u32 s11, 0, 0
	v_cmpx_le_u32_e64 s15, v0
	s_xor_b32 s13, exec_lo, s13
	s_cbranch_execz .LBB76_4
; %bb.1:
	s_mov_b32 s14, exec_lo
	v_cmpx_gt_u64_e64 s[10:11], v[0:1]
	s_cbranch_execz .LBB76_3
; %bb.2:
	v_subrev_nc_u32_e32 v1, s15, v0
	v_lshlrev_b32_e32 v3, 3, v0
	v_lshlrev_b32_e32 v2, 2, v1
	s_clause 0x1
	global_load_dword v1, v2, s[6:7]
	global_load_dword v2, v2, s[8:9]
	s_waitcnt vmcnt(0)
	ds_write_b64 v3, v[1:2]
.LBB76_3:
	s_or_b32 exec_lo, exec_lo, s14
.LBB76_4:
	s_or_saveexec_b32 s13, s13
	v_lshlrev_b32_e32 v50, 2, v0
	v_lshlrev_b32_e32 v51, 3, v0
	s_xor_b32 exec_lo, exec_lo, s13
	s_cbranch_execz .LBB76_6
; %bb.5:
	s_clause 0x1
	global_load_dword v1, v50, s[0:1]
	global_load_dword v2, v50, s[2:3]
	s_waitcnt vmcnt(0)
	ds_write_b64 v51, v[1:2]
.LBB76_6:
	s_or_b32 exec_lo, exec_lo, s13
	v_or_b32_e32 v1, 0x100, v0
	v_mov_b32_e32 v2, 0
	s_mov_b32 s13, exec_lo
	v_cmpx_le_u32_e64 s15, v1
	s_xor_b32 s13, exec_lo, s13
	s_cbranch_execz .LBB76_10
; %bb.7:
	s_mov_b32 s14, exec_lo
	v_cmpx_gt_u64_e64 s[10:11], v[1:2]
	s_cbranch_execz .LBB76_9
; %bb.8:
	v_sub_co_u32 v2, s16, v0, s15
	v_sub_co_ci_u32_e64 v3, null, 0, 0, s16
	v_lshlrev_b64 v[2:3], 2, v[2:3]
	v_add_co_u32 v4, vcc_lo, s6, v2
	v_add_co_ci_u32_e64 v5, null, s7, v3, vcc_lo
	v_add_co_u32 v2, vcc_lo, s8, v2
	v_add_co_ci_u32_e64 v3, null, s9, v3, vcc_lo
	global_load_dword v4, v[4:5], off offset:1024
	global_load_dword v5, v[2:3], off offset:1024
	s_waitcnt vmcnt(0)
	ds_write_b64 v51, v[4:5] offset:2048
.LBB76_9:
	s_or_b32 exec_lo, exec_lo, s14
.LBB76_10:
	s_andn2_saveexec_b32 s13, s13
	s_cbranch_execz .LBB76_12
; %bb.11:
	s_clause 0x1
	global_load_dword v2, v50, s[0:1] offset:1024
	global_load_dword v3, v50, s[2:3] offset:1024
	s_waitcnt vmcnt(0)
	ds_write_b64 v51, v[2:3] offset:2048
.LBB76_12:
	s_or_b32 exec_lo, exec_lo, s13
	v_or_b32_e32 v2, 0x200, v0
	v_mov_b32_e32 v3, 0
	s_mov_b32 s13, exec_lo
	v_cmpx_le_u32_e64 s15, v2
	s_xor_b32 s13, exec_lo, s13
	s_cbranch_execz .LBB76_16
; %bb.13:
	s_mov_b32 s14, exec_lo
	v_cmpx_gt_u64_e64 s[10:11], v[2:3]
	s_cbranch_execz .LBB76_15
; %bb.14:
	v_subrev_nc_u32_e32 v3, s15, v2
	v_lshlrev_b32_e32 v4, 2, v3
	s_clause 0x1
	global_load_dword v3, v4, s[6:7]
	global_load_dword v4, v4, s[8:9]
	s_waitcnt vmcnt(0)
	ds_write_b64 v51, v[3:4] offset:4096
.LBB76_15:
	s_or_b32 exec_lo, exec_lo, s14
.LBB76_16:
	s_andn2_saveexec_b32 s13, s13
	s_cbranch_execz .LBB76_18
; %bb.17:
	v_lshlrev_b32_e32 v4, 2, v2
	s_clause 0x1
	global_load_dword v3, v4, s[0:1]
	global_load_dword v4, v4, s[2:3]
	s_waitcnt vmcnt(0)
	ds_write_b64 v51, v[3:4] offset:4096
.LBB76_18:
	s_or_b32 exec_lo, exec_lo, s13
	v_or_b32_e32 v3, 0x300, v0
	v_mov_b32_e32 v4, 0
	s_mov_b32 s13, exec_lo
	v_cmpx_le_u32_e64 s15, v3
	s_xor_b32 s13, exec_lo, s13
	s_cbranch_execz .LBB76_22
; %bb.19:
	s_mov_b32 s14, exec_lo
	v_cmpx_gt_u64_e64 s[10:11], v[3:4]
	s_cbranch_execz .LBB76_21
; %bb.20:
	v_subrev_nc_u32_e32 v4, s15, v3
	v_lshlrev_b32_e32 v5, 2, v4
	s_clause 0x1
	global_load_dword v4, v5, s[6:7]
	global_load_dword v5, v5, s[8:9]
	s_waitcnt vmcnt(0)
	ds_write_b64 v51, v[4:5] offset:6144
.LBB76_21:
	s_or_b32 exec_lo, exec_lo, s14
.LBB76_22:
	s_andn2_saveexec_b32 s13, s13
	s_cbranch_execz .LBB76_24
; %bb.23:
	v_lshlrev_b32_e32 v5, 2, v3
	s_clause 0x1
	global_load_dword v4, v5, s[0:1]
	global_load_dword v5, v5, s[2:3]
	s_waitcnt vmcnt(0)
	ds_write_b64 v51, v[4:5] offset:6144
.LBB76_24:
	;; [unrolled: 32-line block ×13, first 2 shown]
	s_or_b32 exec_lo, exec_lo, s13
	v_or_b32_e32 v15, 0xf00, v0
	v_mov_b32_e32 v16, 0
	s_mov_b32 s13, exec_lo
	v_cmpx_le_u32_e64 s15, v15
	s_xor_b32 s13, exec_lo, s13
	s_cbranch_execz .LBB76_94
; %bb.91:
	v_cmp_gt_u64_e32 vcc_lo, s[10:11], v[15:16]
	s_and_saveexec_b32 s10, vcc_lo
	s_cbranch_execz .LBB76_93
; %bb.92:
	v_subrev_nc_u32_e32 v16, s15, v15
	v_lshlrev_b32_e32 v17, 2, v16
	s_clause 0x1
	global_load_dword v16, v17, s[6:7]
	global_load_dword v17, v17, s[8:9]
	s_waitcnt vmcnt(0)
	ds_write_b64 v51, v[16:17] offset:30720
.LBB76_93:
	s_or_b32 exec_lo, exec_lo, s10
.LBB76_94:
	s_or_saveexec_b32 s6, s13
	s_load_dwordx2 s[16:17], s[4:5], 0x38
	s_xor_b32 exec_lo, exec_lo, s6
	s_cbranch_execz .LBB76_96
; %bb.95:
	v_lshlrev_b32_e32 v17, 2, v15
	s_clause 0x1
	global_load_dword v16, v17, s[0:1]
	global_load_dword v17, v17, s[2:3]
	s_waitcnt vmcnt(0)
	ds_write_b64 v51, v[16:17] offset:30720
.LBB76_96:
	s_or_b32 exec_lo, exec_lo, s6
	v_lshlrev_b32_e32 v48, 4, v0
	s_mov_b32 s0, exec_lo
	s_waitcnt lgkmcnt(0)
	s_barrier
	buffer_gl0_inv
	v_sub_nc_u32_e64 v49, v48, s12 clamp
	v_min_u32_e32 v16, s15, v48
	v_cmpx_lt_u32_e64 v49, v16
	s_cbranch_execz .LBB76_100
; %bb.97:
	v_lshlrev_b32_e32 v17, 3, v48
	s_mov_b32 s1, 0
	v_lshl_add_u32 v17, s15, 3, v17
	.p2align	6
.LBB76_98:                              ; =>This Inner Loop Header: Depth=1
	v_add_nc_u32_e32 v18, v16, v49
	v_lshrrev_b32_e32 v18, 1, v18
	v_not_b32_e32 v19, v18
	v_lshlrev_b32_e32 v20, 3, v18
	v_add_nc_u32_e32 v21, 1, v18
	v_lshl_add_u32 v19, v19, 3, v17
	ds_read_b32 v20, v20
	ds_read_b32 v19, v19
	s_waitcnt lgkmcnt(0)
	v_cmp_lt_f32_e32 vcc_lo, v19, v20
	v_cndmask_b32_e32 v16, v16, v18, vcc_lo
	v_cndmask_b32_e32 v49, v21, v49, vcc_lo
	v_cmp_ge_u32_e32 vcc_lo, v49, v16
	s_or_b32 s1, vcc_lo, s1
	s_andn2_b32 exec_lo, exec_lo, s1
	s_cbranch_execnz .LBB76_98
; %bb.99:
	s_or_b32 exec_lo, exec_lo, s1
.LBB76_100:
	s_or_b32 exec_lo, exec_lo, s0
	v_add_nc_u32_e32 v16, s15, v48
	s_add_i32 s23, s12, s15
	v_cmp_ge_u32_e32 vcc_lo, s15, v49
	v_mov_b32_e32 v34, 0
	v_mov_b32_e32 v35, 0
	v_sub_nc_u32_e32 v52, v16, v49
	v_mov_b32_e32 v32, 0
	v_mov_b32_e32 v33, 0
	v_mov_b32_e32 v18, 0
	v_mov_b32_e32 v19, 0
	v_cmp_ge_u32_e64 s0, s23, v52
	v_mov_b32_e32 v22, 0
	v_mov_b32_e32 v23, 0
	;; [unrolled: 1-line block ×26, first 2 shown]
	s_or_b32 s0, vcc_lo, s0
	s_and_saveexec_b32 s21, s0
	s_cbranch_execz .LBB76_106
; %bb.101:
	v_cmp_gt_u32_e32 vcc_lo, s15, v49
	v_mov_b32_e32 v16, 0
	v_mov_b32_e32 v18, 0
	v_mov_b32_e32 v19, 0
	s_and_saveexec_b32 s0, vcc_lo
; %bb.102:
	v_lshlrev_b32_e32 v17, 3, v49
	ds_read_b64 v[18:19], v17
; %bb.103:
	s_or_b32 exec_lo, exec_lo, s0
	v_cmp_le_u32_e64 s0, s23, v52
	v_mov_b32_e32 v17, 0
	s_mov_b32 s2, exec_lo
	v_cmpx_gt_u32_e64 s23, v52
; %bb.104:
	v_lshlrev_b32_e32 v16, 3, v52
	ds_read_b64 v[16:17], v16
; %bb.105:
	s_or_b32 exec_lo, exec_lo, s2
	s_waitcnt lgkmcnt(0)
	v_cmp_nlt_f32_e64 s1, v16, v18
	v_mov_b32_e32 v35, s15
	s_and_b32 s1, vcc_lo, s1
	s_or_b32 vcc_lo, s0, s1
	v_cndmask_b32_e32 v20, v52, v49, vcc_lo
	v_cndmask_b32_e32 v21, s23, v35, vcc_lo
	v_add_nc_u32_e32 v22, 1, v20
	v_add_nc_u32_e32 v20, -1, v21
	v_cndmask_b32_e32 v24, v49, v22, vcc_lo
	v_min_u32_e32 v20, v22, v20
	v_cndmask_b32_e32 v25, v22, v52, vcc_lo
	v_cmp_gt_u32_e64 s0, s15, v24
	v_lshlrev_b32_e32 v20, 3, v20
	v_cmp_le_u32_e64 s2, s23, v25
	ds_read_b64 v[20:21], v20
	s_waitcnt lgkmcnt(0)
	v_cndmask_b32_e32 v26, v20, v16, vcc_lo
	v_cndmask_b32_e32 v20, v18, v20, vcc_lo
	v_cmp_nlt_f32_e64 s1, v26, v20
	s_and_b32 s0, s0, s1
	s_or_b32 s0, s2, s0
	v_cndmask_b32_e64 v22, v25, v24, s0
	v_cndmask_b32_e64 v23, s23, v35, s0
	v_cndmask_b32_e64 v30, v26, v20, s0
	v_add_nc_u32_e32 v27, 1, v22
	v_add_nc_u32_e32 v22, -1, v23
	v_cndmask_b32_e64 v28, v24, v27, s0
	v_min_u32_e32 v22, v27, v22
	v_cndmask_b32_e64 v27, v27, v25, s0
	v_cmp_gt_u32_e64 s1, s15, v28
	v_lshlrev_b32_e32 v22, 3, v22
	v_cmp_le_u32_e64 s3, s23, v27
	ds_read_b64 v[22:23], v22
	s_waitcnt lgkmcnt(0)
	v_cndmask_b32_e64 v42, v22, v26, s0
	v_cndmask_b32_e64 v22, v20, v22, s0
	v_cmp_nlt_f32_e64 s2, v42, v22
	s_and_b32 s1, s1, s2
	s_or_b32 s1, s3, s1
	v_cndmask_b32_e64 v24, v27, v28, s1
	v_cndmask_b32_e64 v25, s23, v35, s1
	v_add_nc_u32_e32 v29, 1, v24
	v_add_nc_u32_e32 v24, -1, v25
	v_cndmask_b32_e64 v28, v28, v29, s1
	v_min_u32_e32 v24, v29, v24
	v_cmp_gt_u32_e64 s2, s15, v28
	v_lshlrev_b32_e32 v24, 3, v24
	ds_read_b64 v[24:25], v24
	s_waitcnt lgkmcnt(0)
	v_cndmask_b32_e64 v45, v24, v42, s1
	v_cndmask_b32_e64 v49, v22, v24, s1
	;; [unrolled: 1-line block ×3, first 2 shown]
	v_cmp_nlt_f32_e64 s3, v45, v49
	v_cmp_le_u32_e64 s4, s23, v24
	s_and_b32 s2, s2, s3
	s_or_b32 s2, s4, s2
	v_cndmask_b32_e64 v27, v24, v28, s2
	v_cndmask_b32_e64 v29, s23, v35, s2
	;; [unrolled: 1-line block ×3, first 2 shown]
	v_add_nc_u32_e32 v27, 1, v27
	v_add_nc_u32_e32 v29, -1, v29
	v_cndmask_b32_e64 v28, v28, v27, s2
	v_min_u32_e32 v29, v27, v29
	v_cndmask_b32_e64 v24, v27, v24, s2
	v_cmp_gt_u32_e64 s3, s15, v28
	v_lshlrev_b32_e32 v29, 3, v29
	v_cmp_le_u32_e64 s5, s23, v24
	ds_read_b64 v[31:32], v29
	s_waitcnt lgkmcnt(0)
	v_cndmask_b32_e64 v60, v31, v45, s2
	v_cndmask_b32_e64 v61, v49, v31, s2
	v_cmp_nlt_f32_e64 s4, v60, v61
	s_and_b32 s3, s3, s4
	s_or_b32 s3, s5, s3
	v_cndmask_b32_e64 v27, v24, v28, s3
	v_cndmask_b32_e64 v29, s23, v35, s3
	v_add_nc_u32_e32 v27, 1, v27
	v_add_nc_u32_e32 v29, -1, v29
	v_cndmask_b32_e64 v28, v28, v27, s3
	v_min_u32_e32 v29, v27, v29
	v_cndmask_b32_e64 v24, v27, v24, s3
	v_cmp_gt_u32_e64 s4, s15, v28
	v_lshlrev_b32_e32 v29, 3, v29
	v_cmp_le_u32_e64 s6, s23, v24
	ds_read_b64 v[33:34], v29
	s_waitcnt lgkmcnt(0)
	v_cndmask_b32_e64 v62, v33, v60, s3
	v_cndmask_b32_e64 v33, v61, v33, s3
	v_cmp_nlt_f32_e64 s5, v62, v33
	s_and_b32 s4, s4, s5
	s_or_b32 s4, s6, s4
	v_cndmask_b32_e64 v27, v24, v28, s4
	v_cndmask_b32_e64 v29, s23, v35, s4
	;; [unrolled: 17-line block ×5, first 2 shown]
	v_add_nc_u32_e32 v27, 1, v27
	v_add_nc_u32_e32 v29, -1, v29
	v_cndmask_b32_e64 v28, v28, v27, s7
	v_min_u32_e32 v29, v27, v29
	v_cndmask_b32_e64 v24, v27, v24, s7
	v_cmp_gt_u32_e64 s8, s15, v28
	v_lshlrev_b32_e32 v29, 3, v29
	v_cmp_le_u32_e64 s10, s23, v24
	ds_read_b64 v[43:44], v29
	s_waitcnt lgkmcnt(0)
	v_cndmask_b32_e64 v68, v43, v67, s7
	v_cndmask_b32_e64 v69, v40, v43, s7
	;; [unrolled: 1-line block ×3, first 2 shown]
	v_cmp_nlt_f32_e64 s9, v68, v69
	s_and_b32 s8, s8, s9
	s_or_b32 s8, s10, s8
	v_cndmask_b32_e64 v27, v24, v28, s8
	v_cndmask_b32_e64 v29, s23, v35, s8
	v_add_nc_u32_e32 v27, 1, v27
	v_add_nc_u32_e32 v29, -1, v29
	v_cndmask_b32_e64 v28, v28, v27, s8
	v_min_u32_e32 v29, v27, v29
	v_cndmask_b32_e64 v24, v27, v24, s8
	v_cmp_gt_u32_e64 s9, s15, v28
	v_lshlrev_b32_e32 v29, 3, v29
	v_cmp_le_u32_e64 s11, s23, v24
	ds_read_b64 v[46:47], v29
	s_waitcnt lgkmcnt(0)
	v_cndmask_b32_e64 v70, v46, v68, s8
	v_cndmask_b32_e64 v71, v69, v46, s8
	v_cndmask_b32_e64 v46, v65, v66, s6
	v_cmp_nlt_f32_e64 s10, v70, v71
	s_and_b32 s9, s9, s10
	s_or_b32 s9, s11, s9
	v_cndmask_b32_e64 v27, v24, v28, s9
	v_cndmask_b32_e64 v29, s23, v35, s9
	v_add_nc_u32_e32 v27, 1, v27
	v_add_nc_u32_e32 v29, -1, v29
	v_cndmask_b32_e64 v28, v28, v27, s9
	v_min_u32_e32 v29, v27, v29
	v_cndmask_b32_e64 v24, v27, v24, s9
	v_cmp_gt_u32_e64 s10, s15, v28
	v_lshlrev_b32_e32 v29, 3, v29
	v_cmp_le_u32_e64 s12, s23, v24
	ds_read_b64 v[52:53], v29
	s_waitcnt lgkmcnt(0)
	v_cndmask_b32_e64 v72, v52, v70, s9
	v_cndmask_b32_e64 v52, v71, v52, s9
	v_cmp_nlt_f32_e64 s11, v72, v52
	s_and_b32 s10, s10, s11
	s_or_b32 s10, s12, s10
	v_cndmask_b32_e64 v27, v24, v28, s10
	v_cndmask_b32_e64 v29, s23, v35, s10
	v_add_nc_u32_e32 v27, 1, v27
	v_add_nc_u32_e32 v29, -1, v29
	v_cndmask_b32_e64 v28, v28, v27, s10
	v_min_u32_e32 v29, v27, v29
	v_cndmask_b32_e64 v24, v27, v24, s10
	v_cmp_gt_u32_e64 s11, s15, v28
	v_lshlrev_b32_e32 v29, 3, v29
	v_cmp_le_u32_e64 s13, s23, v24
	ds_read_b64 v[54:55], v29
	s_waitcnt lgkmcnt(0)
	v_cndmask_b32_e64 v73, v54, v72, s10
	v_cndmask_b32_e64 v54, v52, v54, s10
	v_cmp_nlt_f32_e64 s12, v73, v54
	s_and_b32 s11, s11, s12
	s_or_b32 s11, s13, s11
	v_cndmask_b32_e64 v27, v24, v28, s11
	v_cndmask_b32_e64 v29, s23, v35, s11
	v_add_nc_u32_e32 v27, 1, v27
	v_add_nc_u32_e32 v29, -1, v29
	v_cndmask_b32_e64 v36, v28, v27, s11
	v_min_u32_e32 v29, v27, v29
	v_cndmask_b32_e64 v38, v27, v24, s11
	v_cndmask_b32_e32 v28, v16, v18, vcc_lo
	v_cmp_gt_u32_e64 s12, s15, v36
	v_lshlrev_b32_e32 v29, 3, v29
	v_cmp_le_u32_e64 s14, s23, v38
	ds_read_b64 v[56:57], v29
	v_cndmask_b32_e32 v29, v17, v19, vcc_lo
	s_waitcnt lgkmcnt(0)
	v_cndmask_b32_e64 v74, v56, v73, s11
	v_cndmask_b32_e64 v56, v54, v56, s11
	v_cmp_nlt_f32_e64 s13, v74, v56
	s_and_b32 s12, s12, s13
	s_or_b32 s12, s14, s12
	v_cndmask_b32_e64 v24, v38, v36, s12
	v_cndmask_b32_e64 v27, s23, v35, s12
	v_add_nc_u32_e32 v43, 1, v24
	v_add_nc_u32_e32 v24, -1, v27
	v_cndmask_b32_e64 v49, v36, v43, s12
	v_min_u32_e32 v24, v43, v24
	v_cndmask_b32_e64 v76, v43, v38, s12
	v_cndmask_b32_e64 v36, v60, v61, s3
	;; [unrolled: 1-line block ×3, first 2 shown]
	v_lshlrev_b32_e32 v24, 3, v24
	ds_read_b64 v[58:59], v24
	v_cndmask_b32_e32 v24, v21, v17, vcc_lo
	v_cndmask_b32_e32 v21, v19, v21, vcc_lo
	v_cmp_gt_u32_e32 vcc_lo, s15, v49
	v_cndmask_b32_e64 v27, v23, v24, s0
	v_cndmask_b32_e64 v23, v21, v23, s0
	;; [unrolled: 1-line block ×8, first 2 shown]
	v_cmp_le_u32_e64 s1, s23, v76
	v_cndmask_b32_e64 v27, v16, v17, s2
	v_cndmask_b32_e64 v16, v32, v16, s2
	;; [unrolled: 1-line block ×3, first 2 shown]
	s_waitcnt lgkmcnt(0)
	v_cndmask_b32_e64 v75, v58, v74, s12
	v_cndmask_b32_e64 v58, v56, v58, s12
	v_cndmask_b32_e64 v18, v34, v16, s3
	v_cndmask_b32_e64 v19, v17, v34, s3
	v_cmp_nlt_f32_e64 s0, v75, v58
	v_cndmask_b32_e64 v20, v37, v18, s4
	v_cndmask_b32_e64 v21, v19, v37, s4
	;; [unrolled: 1-line block ×3, first 2 shown]
	s_and_b32 s0, vcc_lo, s0
	v_cndmask_b32_e64 v43, v18, v19, s4
	s_or_b32 vcc_lo, s1, s0
	v_cndmask_b32_e64 v16, v39, v20, s5
	v_cndmask_b32_e32 v22, v76, v49, vcc_lo
	v_cndmask_b32_e32 v23, s23, v35, vcc_lo
	v_cndmask_b32_e64 v17, v21, v39, s5
	v_cndmask_b32_e64 v39, v20, v21, s5
	v_add_nc_u32_e32 v34, 1, v22
	v_add_nc_u32_e32 v22, -1, v23
	v_cndmask_b32_e64 v23, v41, v16, s6
	v_cndmask_b32_e64 v35, v17, v41, s6
	v_cndmask_b32_e32 v49, v49, v34, vcc_lo
	v_min_u32_e32 v18, v34, v22
	v_cndmask_b32_e64 v19, v44, v23, s7
	v_cndmask_b32_e64 v22, v35, v44, s7
	;; [unrolled: 1-line block ×3, first 2 shown]
	v_cndmask_b32_e32 v34, v34, v76, vcc_lo
	v_lshlrev_b32_e32 v18, 3, v18
	v_cndmask_b32_e64 v20, v47, v19, s8
	v_cndmask_b32_e64 v21, v22, v47, s8
	v_cndmask_b32_e64 v45, v19, v22, s8
	v_cndmask_b32_e64 v47, v16, v17, s6
	ds_read_b64 v[32:33], v18
	v_cndmask_b32_e64 v18, v53, v20, s9
	v_cndmask_b32_e64 v53, v21, v53, s9
	;; [unrolled: 1-line block ×8, first 2 shown]
	v_cmp_gt_u32_e64 s0, s15, v49
	v_cmp_le_u32_e64 s2, s23, v34
	v_cndmask_b32_e64 v35, v57, v19, s11
	v_cndmask_b32_e64 v52, v23, v57, s11
	v_cndmask_b32_e64 v23, v19, v23, s11
	v_cndmask_b32_e64 v44, v68, v69, s8
	v_cndmask_b32_e64 v16, v70, v71, s9
	v_cndmask_b32_e64 v18, v74, v56, s12
	v_cndmask_b32_e64 v19, v35, v52, s12
	v_cndmask_b32_e64 v35, v59, v35, s12
	v_cndmask_b32_e64 v52, v52, v59, s12
	s_waitcnt lgkmcnt(0)
	v_cndmask_b32_e32 v53, v32, v75, vcc_lo
	v_cndmask_b32_e32 v54, v58, v32, vcc_lo
	;; [unrolled: 1-line block ×6, first 2 shown]
	v_cmp_nlt_f32_e64 s1, v53, v54
	s_and_b32 s0, s0, s1
	s_or_b32 vcc_lo, s2, s0
	v_cndmask_b32_e32 v34, v53, v54, vcc_lo
	v_cndmask_b32_e32 v35, v49, v55, vcc_lo
.LBB76_106:
	s_or_b32 exec_lo, exec_lo, s21
	v_and_b32_e32 v49, 0x3f8, v50
	s_mov_b32 s21, 0
	s_sub_i32 s4, s22, s20
	s_lshl_b64 s[2:3], s[20:21], 2
	v_lshl_add_u32 v48, v48, 3, v49
	s_add_u32 s0, s18, s2
	s_addc_u32 s1, s19, s3
	s_barrier
	buffer_gl0_inv
	ds_write2_b64 v48, v[28:29], v[30:31] offset1:1
	ds_write2_b64 v48, v[24:25], v[26:27] offset0:2 offset1:3
	ds_write2_b64 v48, v[36:37], v[42:43] offset0:4 offset1:5
	;; [unrolled: 1-line block ×4, first 2 shown]
	v_lshrrev_b32_e32 v42, 2, v1
	v_lshrrev_b32_e32 v41, 2, v2
	;; [unrolled: 1-line block ×15, first 2 shown]
	s_add_u32 s2, s16, s2
	s_addc_u32 s3, s17, s3
	s_cmpk_gt_u32 s4, 0xfff
	ds_write2_b64 v48, v[16:17], v[20:21] offset0:10 offset1:11
	ds_write2_b64 v48, v[22:23], v[18:19] offset0:12 offset1:13
	;; [unrolled: 1-line block ×3, first 2 shown]
	s_waitcnt lgkmcnt(0)
	s_cbranch_scc0 .LBB76_108
; %bb.107:
	v_lshrrev_b32_e32 v16, 2, v0
	v_and_b32_e32 v17, 0x78, v42
	v_and_b32_e32 v18, 0xf8, v41
	;; [unrolled: 1-line block ×5, first 2 shown]
	v_add_nc_u32_e32 v17, v17, v51
	v_and_b32_e32 v35, 0x1f8, v38
	v_add_nc_u32_e32 v22, v18, v51
	v_and_b32_e32 v43, 0x1f8, v37
	v_add_nc_u32_e32 v16, v16, v51
	v_add_nc_u32_e32 v32, v19, v51
	v_and_b32_e32 v44, 0x1f8, v36
	s_barrier
	buffer_gl0_inv
	ds_read_b64 v[18:19], v16
	ds_read_b64 v[20:21], v17 offset:2048
	ds_read_b64 v[22:23], v22 offset:4096
	;; [unrolled: 1-line block ×3, first 2 shown]
	v_add_nc_u32_e32 v16, v34, v51
	v_and_b32_e32 v52, 0x3f8, v30
	v_add_nc_u32_e32 v17, v35, v51
	v_and_b32_e32 v49, 0x3f8, v31
	v_and_b32_e32 v53, 0x3f8, v29
	v_add_nc_u32_e32 v45, v43, v51
	v_add_nc_u32_e32 v47, v44, v51
	ds_read_b64 v[34:35], v16 offset:8192
	ds_read_b64 v[43:44], v17 offset:10240
	;; [unrolled: 1-line block ×4, first 2 shown]
	v_add_nc_u32_e32 v17, v52, v51
	v_and_b32_e32 v52, 0x3f8, v28
	v_add_nc_u32_e32 v16, v49, v51
	v_add_nc_u32_e32 v49, v53, v51
	v_and_b32_e32 v53, 0x3f8, v27
	v_and_b32_e32 v54, 0x3f8, v26
	;; [unrolled: 1-line block ×4, first 2 shown]
	v_add_nc_u32_e32 v58, v52, v51
	v_add_nc_u32_e32 v60, v53, v51
	;; [unrolled: 1-line block ×5, first 2 shown]
	ds_read_b64 v[52:53], v16 offset:16384
	ds_read_b64 v[54:55], v17 offset:18432
	;; [unrolled: 1-line block ×8, first 2 shown]
	v_add_co_u32 v49, s5, s0, v50
	v_add_co_ci_u32_e64 v70, null, s1, 0, s5
	v_add_co_u32 v71, s5, s2, v50
	s_waitcnt lgkmcnt(15)
	global_store_dword v50, v18, s[0:1]
	global_store_dword v50, v19, s[2:3]
	s_waitcnt lgkmcnt(14)
	global_store_dword v50, v20, s[0:1] offset:1024
	global_store_dword v50, v21, s[2:3] offset:1024
	v_add_co_u32 v18, vcc_lo, 0x800, v49
	v_add_co_ci_u32_e64 v72, null, s3, 0, s5
	v_add_co_ci_u32_e64 v19, null, 0, v70, vcc_lo
	v_add_co_u32 v20, vcc_lo, v49, 0x1000
	v_add_co_ci_u32_e64 v21, null, 0, v70, vcc_lo
	v_add_co_u32 v66, vcc_lo, v71, 0x1000
	;; [unrolled: 2-line block ×3, first 2 shown]
	v_add_co_ci_u32_e64 v69, null, 0, v72, vcc_lo
	s_waitcnt lgkmcnt(13)
	global_store_dword v[20:21], v22, off offset:-2048
	global_store_dword v[66:67], v23, off offset:-2048
	s_waitcnt lgkmcnt(12)
	global_store_dword v[18:19], v32, off offset:1024
	global_store_dword v[68:69], v33, off offset:1024
	v_add_co_u32 v18, vcc_lo, 0x1000, v49
	v_add_co_ci_u32_e64 v19, null, 0, v70, vcc_lo
	s_waitcnt lgkmcnt(11)
	global_store_dword v[20:21], v34, off
	v_add_co_u32 v20, vcc_lo, 0x1000, v71
	v_add_co_ci_u32_e64 v21, null, 0, v72, vcc_lo
	global_store_dword v[66:67], v35, off
	s_waitcnt lgkmcnt(10)
	global_store_dword v[18:19], v43, off offset:1024
	v_add_co_u32 v18, vcc_lo, 0x1800, v49
	v_add_co_ci_u32_e64 v19, null, 0, v70, vcc_lo
	v_add_co_u32 v22, vcc_lo, v49, 0x2000
	v_add_co_ci_u32_e64 v23, null, 0, v70, vcc_lo
	;; [unrolled: 2-line block ×4, first 2 shown]
	global_store_dword v[20:21], v44, off offset:1024
	s_waitcnt lgkmcnt(9)
	global_store_dword v[22:23], v45, off offset:-2048
	global_store_dword v[32:33], v46, off offset:-2048
	s_waitcnt lgkmcnt(8)
	global_store_dword v[18:19], v47, off offset:1024
	global_store_dword v[34:35], v48, off offset:1024
	v_add_co_u32 v18, vcc_lo, 0x2000, v49
	v_add_co_ci_u32_e64 v19, null, 0, v70, vcc_lo
	v_add_co_u32 v20, vcc_lo, 0x2000, v71
	s_waitcnt lgkmcnt(7)
	global_store_dword v[22:23], v52, off
	v_add_co_ci_u32_e64 v21, null, 0, v72, vcc_lo
	global_store_dword v[32:33], v53, off
	s_waitcnt lgkmcnt(6)
	global_store_dword v[18:19], v54, off offset:1024
	v_add_co_u32 v18, vcc_lo, 0x2800, v49
	v_add_co_ci_u32_e64 v19, null, 0, v70, vcc_lo
	v_add_co_u32 v22, vcc_lo, v49, 0x3000
	v_add_co_ci_u32_e64 v23, null, 0, v70, vcc_lo
	;; [unrolled: 2-line block ×4, first 2 shown]
	global_store_dword v[20:21], v55, off offset:1024
	s_waitcnt lgkmcnt(5)
	global_store_dword v[22:23], v56, off offset:-2048
	global_store_dword v[32:33], v57, off offset:-2048
	s_waitcnt lgkmcnt(4)
	global_store_dword v[18:19], v58, off offset:1024
	global_store_dword v[34:35], v59, off offset:1024
	v_add_co_u32 v18, vcc_lo, 0x3000, v49
	v_add_co_ci_u32_e64 v19, null, 0, v70, vcc_lo
	v_add_co_u32 v20, vcc_lo, 0x3000, v71
	s_waitcnt lgkmcnt(3)
	global_store_dword v[22:23], v60, off
	v_add_co_ci_u32_e64 v21, null, 0, v72, vcc_lo
	v_add_co_u32 v22, vcc_lo, 0x3800, v49
	global_store_dword v[32:33], v61, off
	v_add_co_ci_u32_e64 v23, null, 0, v70, vcc_lo
	v_add_co_u32 v32, vcc_lo, 0x3800, v71
	v_add_co_ci_u32_e64 v33, null, 0, v72, vcc_lo
	s_waitcnt lgkmcnt(2)
	global_store_dword v[18:19], v62, off offset:1024
	global_store_dword v[20:21], v63, off offset:1024
	s_waitcnt lgkmcnt(1)
	global_store_dword v[22:23], v64, off
	s_mov_b32 s21, -1
	global_store_dword v[32:33], v65, off
	s_cbranch_execz .LBB76_109
	s_branch .LBB76_126
.LBB76_108:
                                        ; implicit-def: $vgpr17
.LBB76_109:
	s_waitcnt lgkmcnt(0)
	v_and_b32_e32 v16, 0x78, v42
	v_and_b32_e32 v17, 0xf8, v41
	;; [unrolled: 1-line block ×5, first 2 shown]
	v_add_nc_u32_e32 v16, v16, v51
	v_add_nc_u32_e32 v17, v17, v51
	v_and_b32_e32 v21, 0x1f8, v37
	v_add_nc_u32_e32 v18, v18, v51
	v_and_b32_e32 v22, 0x1f8, v36
	v_add_nc_u32_e32 v19, v19, v51
	v_and_b32_e32 v23, 0x3f8, v31
	s_barrier
	s_waitcnt_vscnt null, 0x0
	buffer_gl0_inv
	ds_read_b64 v[48:49], v16 offset:2048
	ds_read_b64 v[46:47], v17 offset:4096
	;; [unrolled: 1-line block ×4, first 2 shown]
	v_add_nc_u32_e32 v16, v20, v51
	v_add_nc_u32_e32 v17, v21, v51
	;; [unrolled: 1-line block ×3, first 2 shown]
	v_and_b32_e32 v20, 0x3f8, v30
	v_add_nc_u32_e32 v19, v23, v51
	v_and_b32_e32 v21, 0x3f8, v29
	ds_read_b64 v[40:41], v16 offset:10240
	ds_read_b64 v[38:39], v17 offset:12288
	;; [unrolled: 1-line block ×4, first 2 shown]
	v_and_b32_e32 v18, 0x3f8, v28
	v_and_b32_e32 v19, 0x3f8, v27
	v_add_nc_u32_e32 v16, v20, v51
	v_and_b32_e32 v20, 0x3f8, v26
	v_add_nc_u32_e32 v17, v21, v51
	v_and_b32_e32 v21, 0x3f8, v25
	v_and_b32_e32 v22, 0x3f8, v24
	v_add_nc_u32_e32 v18, v18, v51
	v_add_nc_u32_e32 v19, v19, v51
	;; [unrolled: 1-line block ×5, first 2 shown]
	ds_read_b64 v[34:35], v16 offset:18432
	ds_read_b64 v[30:31], v17 offset:20480
	;; [unrolled: 1-line block ×7, first 2 shown]
	v_add_co_u32 v22, s5, s0, v50
	v_add_co_ci_u32_e64 v23, null, s1, 0, s5
	v_add_co_u32 v20, s5, s2, v50
	v_add_co_ci_u32_e64 v21, null, s3, 0, s5
	s_mov_b32 s5, exec_lo
	v_cmpx_gt_u32_e64 s4, v0
	s_cbranch_execnz .LBB76_129
; %bb.110:
	s_or_b32 exec_lo, exec_lo, s5
	s_mov_b32 s5, exec_lo
	v_cmpx_gt_u32_e64 s4, v1
	s_cbranch_execnz .LBB76_130
.LBB76_111:
	s_or_b32 exec_lo, exec_lo, s5
	s_mov_b32 s5, exec_lo
	v_cmpx_gt_u32_e64 s4, v2
	s_cbranch_execnz .LBB76_131
.LBB76_112:
	s_or_b32 exec_lo, exec_lo, s5
	s_mov_b32 s5, exec_lo
	v_cmpx_gt_u32_e64 s4, v3
	s_cbranch_execnz .LBB76_132
.LBB76_113:
	s_or_b32 exec_lo, exec_lo, s5
	s_mov_b32 s5, exec_lo
	v_cmpx_gt_u32_e64 s4, v4
	s_cbranch_execnz .LBB76_133
.LBB76_114:
	s_or_b32 exec_lo, exec_lo, s5
	s_mov_b32 s5, exec_lo
	v_cmpx_gt_u32_e64 s4, v5
	s_cbranch_execnz .LBB76_134
.LBB76_115:
	s_or_b32 exec_lo, exec_lo, s5
	s_mov_b32 s5, exec_lo
	v_cmpx_gt_u32_e64 s4, v6
	s_cbranch_execnz .LBB76_135
.LBB76_116:
	s_or_b32 exec_lo, exec_lo, s5
	s_mov_b32 s5, exec_lo
	v_cmpx_gt_u32_e64 s4, v7
	s_cbranch_execnz .LBB76_136
.LBB76_117:
	s_or_b32 exec_lo, exec_lo, s5
	s_mov_b32 s5, exec_lo
	v_cmpx_gt_u32_e64 s4, v8
	s_cbranch_execnz .LBB76_137
.LBB76_118:
	s_or_b32 exec_lo, exec_lo, s5
	s_mov_b32 s5, exec_lo
	v_cmpx_gt_u32_e64 s4, v9
	s_cbranch_execnz .LBB76_138
.LBB76_119:
	s_or_b32 exec_lo, exec_lo, s5
	s_mov_b32 s5, exec_lo
	v_cmpx_gt_u32_e64 s4, v10
	s_cbranch_execnz .LBB76_139
.LBB76_120:
	s_or_b32 exec_lo, exec_lo, s5
	s_mov_b32 s5, exec_lo
	v_cmpx_gt_u32_e64 s4, v11
	s_cbranch_execnz .LBB76_140
.LBB76_121:
	s_or_b32 exec_lo, exec_lo, s5
	s_mov_b32 s5, exec_lo
	v_cmpx_gt_u32_e64 s4, v12
	s_cbranch_execnz .LBB76_141
.LBB76_122:
	s_or_b32 exec_lo, exec_lo, s5
	s_mov_b32 s5, exec_lo
	v_cmpx_gt_u32_e64 s4, v13
	s_cbranch_execnz .LBB76_142
.LBB76_123:
	s_or_b32 exec_lo, exec_lo, s5
	s_mov_b32 s5, exec_lo
	v_cmpx_gt_u32_e64 s4, v14
	s_cbranch_execz .LBB76_125
.LBB76_124:
	v_add_co_u32 v0, vcc_lo, 0x3800, v22
	v_add_co_ci_u32_e64 v1, null, 0, v23, vcc_lo
	v_add_co_u32 v2, vcc_lo, 0x3800, v20
	v_add_co_ci_u32_e64 v3, null, 0, v21, vcc_lo
	s_waitcnt lgkmcnt(1)
	global_store_dword v[0:1], v18, off
	global_store_dword v[2:3], v19, off
.LBB76_125:
	s_or_b32 exec_lo, exec_lo, s5
	v_cmp_gt_u32_e64 s21, s4, v15
.LBB76_126:
	s_and_saveexec_b32 s4, s21
	s_cbranch_execnz .LBB76_128
; %bb.127:
	s_endpgm
.LBB76_128:
	v_add_co_u32 v0, s0, s0, v50
	v_add_co_ci_u32_e64 v1, null, s1, 0, s0
	v_add_co_u32 v2, s0, s2, v50
	v_add_co_ci_u32_e64 v3, null, s3, 0, s0
	v_add_co_u32 v0, vcc_lo, 0x3800, v0
	v_add_co_ci_u32_e64 v1, null, 0, v1, vcc_lo
	v_add_co_u32 v2, vcc_lo, 0x3800, v2
	v_add_co_ci_u32_e64 v3, null, 0, v3, vcc_lo
	s_waitcnt lgkmcnt(0)
	global_store_dword v[0:1], v16, off offset:1024
	global_store_dword v[2:3], v17, off offset:1024
	s_endpgm
.LBB76_129:
	v_lshrrev_b32_e32 v51, 2, v0
	v_and_b32_e32 v51, 56, v51
	v_lshl_add_u32 v0, v0, 3, v51
	ds_read_b64 v[51:52], v0
	s_waitcnt lgkmcnt(0)
	global_store_dword v[22:23], v51, off
	global_store_dword v[20:21], v52, off
	s_or_b32 exec_lo, exec_lo, s5
	s_mov_b32 s5, exec_lo
	v_cmpx_gt_u32_e64 s4, v1
	s_cbranch_execz .LBB76_111
.LBB76_130:
	s_waitcnt lgkmcnt(14)
	global_store_dword v[22:23], v48, off offset:1024
	global_store_dword v[20:21], v49, off offset:1024
	s_or_b32 exec_lo, exec_lo, s5
	s_mov_b32 s5, exec_lo
	v_cmpx_gt_u32_e64 s4, v2
	s_cbranch_execz .LBB76_112
.LBB76_131:
	v_add_co_u32 v0, vcc_lo, 0x800, v22
	v_add_co_ci_u32_e64 v1, null, 0, v23, vcc_lo
	s_waitcnt lgkmcnt(14)
	v_add_co_u32 v48, vcc_lo, 0x800, v20
	v_add_co_ci_u32_e64 v49, null, 0, v21, vcc_lo
	s_waitcnt lgkmcnt(13)
	global_store_dword v[0:1], v46, off
	global_store_dword v[48:49], v47, off
	s_or_b32 exec_lo, exec_lo, s5
	s_mov_b32 s5, exec_lo
	v_cmpx_gt_u32_e64 s4, v3
	s_cbranch_execz .LBB76_113
.LBB76_132:
	v_add_co_u32 v0, vcc_lo, 0x800, v22
	v_add_co_ci_u32_e64 v1, null, 0, v23, vcc_lo
	v_add_co_u32 v2, vcc_lo, 0x800, v20
	v_add_co_ci_u32_e64 v3, null, 0, v21, vcc_lo
	s_waitcnt lgkmcnt(12)
	global_store_dword v[0:1], v44, off offset:1024
	global_store_dword v[2:3], v45, off offset:1024
	s_or_b32 exec_lo, exec_lo, s5
	s_mov_b32 s5, exec_lo
	v_cmpx_gt_u32_e64 s4, v4
	s_cbranch_execz .LBB76_114
.LBB76_133:
	v_add_co_u32 v0, vcc_lo, 0x1000, v22
	v_add_co_ci_u32_e64 v1, null, 0, v23, vcc_lo
	v_add_co_u32 v2, vcc_lo, 0x1000, v20
	v_add_co_ci_u32_e64 v3, null, 0, v21, vcc_lo
	s_waitcnt lgkmcnt(11)
	global_store_dword v[0:1], v42, off
	global_store_dword v[2:3], v43, off
	s_or_b32 exec_lo, exec_lo, s5
	s_mov_b32 s5, exec_lo
	v_cmpx_gt_u32_e64 s4, v5
	s_cbranch_execz .LBB76_115
.LBB76_134:
	v_add_co_u32 v0, vcc_lo, 0x1000, v22
	v_add_co_ci_u32_e64 v1, null, 0, v23, vcc_lo
	v_add_co_u32 v2, vcc_lo, 0x1000, v20
	v_add_co_ci_u32_e64 v3, null, 0, v21, vcc_lo
	s_waitcnt lgkmcnt(10)
	global_store_dword v[0:1], v40, off offset:1024
	global_store_dword v[2:3], v41, off offset:1024
	s_or_b32 exec_lo, exec_lo, s5
	s_mov_b32 s5, exec_lo
	v_cmpx_gt_u32_e64 s4, v6
	s_cbranch_execz .LBB76_116
.LBB76_135:
	v_add_co_u32 v0, vcc_lo, 0x1800, v22
	v_add_co_ci_u32_e64 v1, null, 0, v23, vcc_lo
	v_add_co_u32 v2, vcc_lo, 0x1800, v20
	v_add_co_ci_u32_e64 v3, null, 0, v21, vcc_lo
	s_waitcnt lgkmcnt(9)
	global_store_dword v[0:1], v38, off
	global_store_dword v[2:3], v39, off
	s_or_b32 exec_lo, exec_lo, s5
	s_mov_b32 s5, exec_lo
	v_cmpx_gt_u32_e64 s4, v7
	s_cbranch_execz .LBB76_117
.LBB76_136:
	v_add_co_u32 v0, vcc_lo, 0x1800, v22
	v_add_co_ci_u32_e64 v1, null, 0, v23, vcc_lo
	v_add_co_u32 v2, vcc_lo, 0x1800, v20
	v_add_co_ci_u32_e64 v3, null, 0, v21, vcc_lo
	s_waitcnt lgkmcnt(8)
	global_store_dword v[0:1], v36, off offset:1024
	global_store_dword v[2:3], v37, off offset:1024
	s_or_b32 exec_lo, exec_lo, s5
	s_mov_b32 s5, exec_lo
	v_cmpx_gt_u32_e64 s4, v8
	s_cbranch_execz .LBB76_118
.LBB76_137:
	v_add_co_u32 v0, vcc_lo, 0x2000, v22
	v_add_co_ci_u32_e64 v1, null, 0, v23, vcc_lo
	v_add_co_u32 v2, vcc_lo, 0x2000, v20
	v_add_co_ci_u32_e64 v3, null, 0, v21, vcc_lo
	s_waitcnt lgkmcnt(7)
	global_store_dword v[0:1], v32, off
	global_store_dword v[2:3], v33, off
	s_or_b32 exec_lo, exec_lo, s5
	s_mov_b32 s5, exec_lo
	v_cmpx_gt_u32_e64 s4, v9
	s_cbranch_execz .LBB76_119
.LBB76_138:
	v_add_co_u32 v0, vcc_lo, 0x2000, v22
	v_add_co_ci_u32_e64 v1, null, 0, v23, vcc_lo
	v_add_co_u32 v2, vcc_lo, 0x2000, v20
	v_add_co_ci_u32_e64 v3, null, 0, v21, vcc_lo
	s_waitcnt lgkmcnt(6)
	global_store_dword v[0:1], v34, off offset:1024
	global_store_dword v[2:3], v35, off offset:1024
	s_or_b32 exec_lo, exec_lo, s5
	s_mov_b32 s5, exec_lo
	v_cmpx_gt_u32_e64 s4, v10
	s_cbranch_execz .LBB76_120
.LBB76_139:
	v_add_co_u32 v0, vcc_lo, 0x2800, v22
	v_add_co_ci_u32_e64 v1, null, 0, v23, vcc_lo
	v_add_co_u32 v2, vcc_lo, 0x2800, v20
	v_add_co_ci_u32_e64 v3, null, 0, v21, vcc_lo
	s_waitcnt lgkmcnt(5)
	global_store_dword v[0:1], v30, off
	global_store_dword v[2:3], v31, off
	s_or_b32 exec_lo, exec_lo, s5
	s_mov_b32 s5, exec_lo
	v_cmpx_gt_u32_e64 s4, v11
	s_cbranch_execz .LBB76_121
.LBB76_140:
	v_add_co_u32 v0, vcc_lo, 0x2800, v22
	v_add_co_ci_u32_e64 v1, null, 0, v23, vcc_lo
	v_add_co_u32 v2, vcc_lo, 0x2800, v20
	v_add_co_ci_u32_e64 v3, null, 0, v21, vcc_lo
	s_waitcnt lgkmcnt(4)
	global_store_dword v[0:1], v28, off offset:1024
	global_store_dword v[2:3], v29, off offset:1024
	s_or_b32 exec_lo, exec_lo, s5
	s_mov_b32 s5, exec_lo
	v_cmpx_gt_u32_e64 s4, v12
	s_cbranch_execz .LBB76_122
.LBB76_141:
	v_add_co_u32 v0, vcc_lo, 0x3000, v22
	v_add_co_ci_u32_e64 v1, null, 0, v23, vcc_lo
	v_add_co_u32 v2, vcc_lo, 0x3000, v20
	v_add_co_ci_u32_e64 v3, null, 0, v21, vcc_lo
	s_waitcnt lgkmcnt(3)
	global_store_dword v[0:1], v26, off
	global_store_dword v[2:3], v27, off
	s_or_b32 exec_lo, exec_lo, s5
	s_mov_b32 s5, exec_lo
	v_cmpx_gt_u32_e64 s4, v13
	s_cbranch_execz .LBB76_123
.LBB76_142:
	v_add_co_u32 v0, vcc_lo, 0x3000, v22
	v_add_co_ci_u32_e64 v1, null, 0, v23, vcc_lo
	v_add_co_u32 v2, vcc_lo, 0x3000, v20
	v_add_co_ci_u32_e64 v3, null, 0, v21, vcc_lo
	s_waitcnt lgkmcnt(2)
	global_store_dword v[0:1], v24, off offset:1024
	global_store_dword v[2:3], v25, off offset:1024
	s_or_b32 exec_lo, exec_lo, s5
	s_mov_b32 s5, exec_lo
	v_cmpx_gt_u32_e64 s4, v14
	s_cbranch_execnz .LBB76_124
	s_branch .LBB76_125
	.section	.rodata,"a",@progbits
	.p2align	6, 0x0
	.amdhsa_kernel _ZN7rocprim17ROCPRIM_400000_NS6detail17trampoline_kernelINS0_14default_configENS1_21merge_config_selectorINS0_5tupleIJffEEENS0_10empty_typeEEEZNS1_10merge_implIS3_NS0_12zip_iteratorINS5_IJN6thrust23THRUST_200600_302600_NS6detail15normal_iteratorINSC_10device_ptrIKfEEEESI_EEEEESK_NSA_INS5_IJNSE_INSF_IfEEEESM_EEEEEPS7_SP_SP_NSC_11hip_rocprim7__merge17predicate_wrapperIffNSC_4lessIfEEEEEE10hipError_tPvRmT0_T1_T2_T3_T4_T5_mmT6_P12ihipStream_tbEUlT_E0_NS1_11comp_targetILNS1_3genE8ELNS1_11target_archE1030ELNS1_3gpuE2ELNS1_3repE0EEENS1_30default_config_static_selectorELNS0_4arch9wavefront6targetE0EEEvS10_
		.amdhsa_group_segment_fixed_size 33792
		.amdhsa_private_segment_fixed_size 0
		.amdhsa_kernarg_size 112
		.amdhsa_user_sgpr_count 6
		.amdhsa_user_sgpr_private_segment_buffer 1
		.amdhsa_user_sgpr_dispatch_ptr 0
		.amdhsa_user_sgpr_queue_ptr 0
		.amdhsa_user_sgpr_kernarg_segment_ptr 1
		.amdhsa_user_sgpr_dispatch_id 0
		.amdhsa_user_sgpr_flat_scratch_init 0
		.amdhsa_user_sgpr_private_segment_size 0
		.amdhsa_wavefront_size32 1
		.amdhsa_uses_dynamic_stack 0
		.amdhsa_system_sgpr_private_segment_wavefront_offset 0
		.amdhsa_system_sgpr_workgroup_id_x 1
		.amdhsa_system_sgpr_workgroup_id_y 0
		.amdhsa_system_sgpr_workgroup_id_z 0
		.amdhsa_system_sgpr_workgroup_info 0
		.amdhsa_system_vgpr_workitem_id 0
		.amdhsa_next_free_vgpr 145
		.amdhsa_next_free_sgpr 28
		.amdhsa_reserve_vcc 1
		.amdhsa_reserve_flat_scratch 0
		.amdhsa_float_round_mode_32 0
		.amdhsa_float_round_mode_16_64 0
		.amdhsa_float_denorm_mode_32 3
		.amdhsa_float_denorm_mode_16_64 3
		.amdhsa_dx10_clamp 1
		.amdhsa_ieee_mode 1
		.amdhsa_fp16_overflow 0
		.amdhsa_workgroup_processor_mode 1
		.amdhsa_memory_ordered 1
		.amdhsa_forward_progress 1
		.amdhsa_shared_vgpr_count 0
		.amdhsa_exception_fp_ieee_invalid_op 0
		.amdhsa_exception_fp_denorm_src 0
		.amdhsa_exception_fp_ieee_div_zero 0
		.amdhsa_exception_fp_ieee_overflow 0
		.amdhsa_exception_fp_ieee_underflow 0
		.amdhsa_exception_fp_ieee_inexact 0
		.amdhsa_exception_int_div_zero 0
	.end_amdhsa_kernel
	.section	.text._ZN7rocprim17ROCPRIM_400000_NS6detail17trampoline_kernelINS0_14default_configENS1_21merge_config_selectorINS0_5tupleIJffEEENS0_10empty_typeEEEZNS1_10merge_implIS3_NS0_12zip_iteratorINS5_IJN6thrust23THRUST_200600_302600_NS6detail15normal_iteratorINSC_10device_ptrIKfEEEESI_EEEEESK_NSA_INS5_IJNSE_INSF_IfEEEESM_EEEEEPS7_SP_SP_NSC_11hip_rocprim7__merge17predicate_wrapperIffNSC_4lessIfEEEEEE10hipError_tPvRmT0_T1_T2_T3_T4_T5_mmT6_P12ihipStream_tbEUlT_E0_NS1_11comp_targetILNS1_3genE8ELNS1_11target_archE1030ELNS1_3gpuE2ELNS1_3repE0EEENS1_30default_config_static_selectorELNS0_4arch9wavefront6targetE0EEEvS10_,"axG",@progbits,_ZN7rocprim17ROCPRIM_400000_NS6detail17trampoline_kernelINS0_14default_configENS1_21merge_config_selectorINS0_5tupleIJffEEENS0_10empty_typeEEEZNS1_10merge_implIS3_NS0_12zip_iteratorINS5_IJN6thrust23THRUST_200600_302600_NS6detail15normal_iteratorINSC_10device_ptrIKfEEEESI_EEEEESK_NSA_INS5_IJNSE_INSF_IfEEEESM_EEEEEPS7_SP_SP_NSC_11hip_rocprim7__merge17predicate_wrapperIffNSC_4lessIfEEEEEE10hipError_tPvRmT0_T1_T2_T3_T4_T5_mmT6_P12ihipStream_tbEUlT_E0_NS1_11comp_targetILNS1_3genE8ELNS1_11target_archE1030ELNS1_3gpuE2ELNS1_3repE0EEENS1_30default_config_static_selectorELNS0_4arch9wavefront6targetE0EEEvS10_,comdat
.Lfunc_end76:
	.size	_ZN7rocprim17ROCPRIM_400000_NS6detail17trampoline_kernelINS0_14default_configENS1_21merge_config_selectorINS0_5tupleIJffEEENS0_10empty_typeEEEZNS1_10merge_implIS3_NS0_12zip_iteratorINS5_IJN6thrust23THRUST_200600_302600_NS6detail15normal_iteratorINSC_10device_ptrIKfEEEESI_EEEEESK_NSA_INS5_IJNSE_INSF_IfEEEESM_EEEEEPS7_SP_SP_NSC_11hip_rocprim7__merge17predicate_wrapperIffNSC_4lessIfEEEEEE10hipError_tPvRmT0_T1_T2_T3_T4_T5_mmT6_P12ihipStream_tbEUlT_E0_NS1_11comp_targetILNS1_3genE8ELNS1_11target_archE1030ELNS1_3gpuE2ELNS1_3repE0EEENS1_30default_config_static_selectorELNS0_4arch9wavefront6targetE0EEEvS10_, .Lfunc_end76-_ZN7rocprim17ROCPRIM_400000_NS6detail17trampoline_kernelINS0_14default_configENS1_21merge_config_selectorINS0_5tupleIJffEEENS0_10empty_typeEEEZNS1_10merge_implIS3_NS0_12zip_iteratorINS5_IJN6thrust23THRUST_200600_302600_NS6detail15normal_iteratorINSC_10device_ptrIKfEEEESI_EEEEESK_NSA_INS5_IJNSE_INSF_IfEEEESM_EEEEEPS7_SP_SP_NSC_11hip_rocprim7__merge17predicate_wrapperIffNSC_4lessIfEEEEEE10hipError_tPvRmT0_T1_T2_T3_T4_T5_mmT6_P12ihipStream_tbEUlT_E0_NS1_11comp_targetILNS1_3genE8ELNS1_11target_archE1030ELNS1_3gpuE2ELNS1_3repE0EEENS1_30default_config_static_selectorELNS0_4arch9wavefront6targetE0EEEvS10_
                                        ; -- End function
	.set _ZN7rocprim17ROCPRIM_400000_NS6detail17trampoline_kernelINS0_14default_configENS1_21merge_config_selectorINS0_5tupleIJffEEENS0_10empty_typeEEEZNS1_10merge_implIS3_NS0_12zip_iteratorINS5_IJN6thrust23THRUST_200600_302600_NS6detail15normal_iteratorINSC_10device_ptrIKfEEEESI_EEEEESK_NSA_INS5_IJNSE_INSF_IfEEEESM_EEEEEPS7_SP_SP_NSC_11hip_rocprim7__merge17predicate_wrapperIffNSC_4lessIfEEEEEE10hipError_tPvRmT0_T1_T2_T3_T4_T5_mmT6_P12ihipStream_tbEUlT_E0_NS1_11comp_targetILNS1_3genE8ELNS1_11target_archE1030ELNS1_3gpuE2ELNS1_3repE0EEENS1_30default_config_static_selectorELNS0_4arch9wavefront6targetE0EEEvS10_.num_vgpr, 77
	.set _ZN7rocprim17ROCPRIM_400000_NS6detail17trampoline_kernelINS0_14default_configENS1_21merge_config_selectorINS0_5tupleIJffEEENS0_10empty_typeEEEZNS1_10merge_implIS3_NS0_12zip_iteratorINS5_IJN6thrust23THRUST_200600_302600_NS6detail15normal_iteratorINSC_10device_ptrIKfEEEESI_EEEEESK_NSA_INS5_IJNSE_INSF_IfEEEESM_EEEEEPS7_SP_SP_NSC_11hip_rocprim7__merge17predicate_wrapperIffNSC_4lessIfEEEEEE10hipError_tPvRmT0_T1_T2_T3_T4_T5_mmT6_P12ihipStream_tbEUlT_E0_NS1_11comp_targetILNS1_3genE8ELNS1_11target_archE1030ELNS1_3gpuE2ELNS1_3repE0EEENS1_30default_config_static_selectorELNS0_4arch9wavefront6targetE0EEEvS10_.num_agpr, 0
	.set _ZN7rocprim17ROCPRIM_400000_NS6detail17trampoline_kernelINS0_14default_configENS1_21merge_config_selectorINS0_5tupleIJffEEENS0_10empty_typeEEEZNS1_10merge_implIS3_NS0_12zip_iteratorINS5_IJN6thrust23THRUST_200600_302600_NS6detail15normal_iteratorINSC_10device_ptrIKfEEEESI_EEEEESK_NSA_INS5_IJNSE_INSF_IfEEEESM_EEEEEPS7_SP_SP_NSC_11hip_rocprim7__merge17predicate_wrapperIffNSC_4lessIfEEEEEE10hipError_tPvRmT0_T1_T2_T3_T4_T5_mmT6_P12ihipStream_tbEUlT_E0_NS1_11comp_targetILNS1_3genE8ELNS1_11target_archE1030ELNS1_3gpuE2ELNS1_3repE0EEENS1_30default_config_static_selectorELNS0_4arch9wavefront6targetE0EEEvS10_.numbered_sgpr, 28
	.set _ZN7rocprim17ROCPRIM_400000_NS6detail17trampoline_kernelINS0_14default_configENS1_21merge_config_selectorINS0_5tupleIJffEEENS0_10empty_typeEEEZNS1_10merge_implIS3_NS0_12zip_iteratorINS5_IJN6thrust23THRUST_200600_302600_NS6detail15normal_iteratorINSC_10device_ptrIKfEEEESI_EEEEESK_NSA_INS5_IJNSE_INSF_IfEEEESM_EEEEEPS7_SP_SP_NSC_11hip_rocprim7__merge17predicate_wrapperIffNSC_4lessIfEEEEEE10hipError_tPvRmT0_T1_T2_T3_T4_T5_mmT6_P12ihipStream_tbEUlT_E0_NS1_11comp_targetILNS1_3genE8ELNS1_11target_archE1030ELNS1_3gpuE2ELNS1_3repE0EEENS1_30default_config_static_selectorELNS0_4arch9wavefront6targetE0EEEvS10_.num_named_barrier, 0
	.set _ZN7rocprim17ROCPRIM_400000_NS6detail17trampoline_kernelINS0_14default_configENS1_21merge_config_selectorINS0_5tupleIJffEEENS0_10empty_typeEEEZNS1_10merge_implIS3_NS0_12zip_iteratorINS5_IJN6thrust23THRUST_200600_302600_NS6detail15normal_iteratorINSC_10device_ptrIKfEEEESI_EEEEESK_NSA_INS5_IJNSE_INSF_IfEEEESM_EEEEEPS7_SP_SP_NSC_11hip_rocprim7__merge17predicate_wrapperIffNSC_4lessIfEEEEEE10hipError_tPvRmT0_T1_T2_T3_T4_T5_mmT6_P12ihipStream_tbEUlT_E0_NS1_11comp_targetILNS1_3genE8ELNS1_11target_archE1030ELNS1_3gpuE2ELNS1_3repE0EEENS1_30default_config_static_selectorELNS0_4arch9wavefront6targetE0EEEvS10_.private_seg_size, 0
	.set _ZN7rocprim17ROCPRIM_400000_NS6detail17trampoline_kernelINS0_14default_configENS1_21merge_config_selectorINS0_5tupleIJffEEENS0_10empty_typeEEEZNS1_10merge_implIS3_NS0_12zip_iteratorINS5_IJN6thrust23THRUST_200600_302600_NS6detail15normal_iteratorINSC_10device_ptrIKfEEEESI_EEEEESK_NSA_INS5_IJNSE_INSF_IfEEEESM_EEEEEPS7_SP_SP_NSC_11hip_rocprim7__merge17predicate_wrapperIffNSC_4lessIfEEEEEE10hipError_tPvRmT0_T1_T2_T3_T4_T5_mmT6_P12ihipStream_tbEUlT_E0_NS1_11comp_targetILNS1_3genE8ELNS1_11target_archE1030ELNS1_3gpuE2ELNS1_3repE0EEENS1_30default_config_static_selectorELNS0_4arch9wavefront6targetE0EEEvS10_.uses_vcc, 1
	.set _ZN7rocprim17ROCPRIM_400000_NS6detail17trampoline_kernelINS0_14default_configENS1_21merge_config_selectorINS0_5tupleIJffEEENS0_10empty_typeEEEZNS1_10merge_implIS3_NS0_12zip_iteratorINS5_IJN6thrust23THRUST_200600_302600_NS6detail15normal_iteratorINSC_10device_ptrIKfEEEESI_EEEEESK_NSA_INS5_IJNSE_INSF_IfEEEESM_EEEEEPS7_SP_SP_NSC_11hip_rocprim7__merge17predicate_wrapperIffNSC_4lessIfEEEEEE10hipError_tPvRmT0_T1_T2_T3_T4_T5_mmT6_P12ihipStream_tbEUlT_E0_NS1_11comp_targetILNS1_3genE8ELNS1_11target_archE1030ELNS1_3gpuE2ELNS1_3repE0EEENS1_30default_config_static_selectorELNS0_4arch9wavefront6targetE0EEEvS10_.uses_flat_scratch, 0
	.set _ZN7rocprim17ROCPRIM_400000_NS6detail17trampoline_kernelINS0_14default_configENS1_21merge_config_selectorINS0_5tupleIJffEEENS0_10empty_typeEEEZNS1_10merge_implIS3_NS0_12zip_iteratorINS5_IJN6thrust23THRUST_200600_302600_NS6detail15normal_iteratorINSC_10device_ptrIKfEEEESI_EEEEESK_NSA_INS5_IJNSE_INSF_IfEEEESM_EEEEEPS7_SP_SP_NSC_11hip_rocprim7__merge17predicate_wrapperIffNSC_4lessIfEEEEEE10hipError_tPvRmT0_T1_T2_T3_T4_T5_mmT6_P12ihipStream_tbEUlT_E0_NS1_11comp_targetILNS1_3genE8ELNS1_11target_archE1030ELNS1_3gpuE2ELNS1_3repE0EEENS1_30default_config_static_selectorELNS0_4arch9wavefront6targetE0EEEvS10_.has_dyn_sized_stack, 0
	.set _ZN7rocprim17ROCPRIM_400000_NS6detail17trampoline_kernelINS0_14default_configENS1_21merge_config_selectorINS0_5tupleIJffEEENS0_10empty_typeEEEZNS1_10merge_implIS3_NS0_12zip_iteratorINS5_IJN6thrust23THRUST_200600_302600_NS6detail15normal_iteratorINSC_10device_ptrIKfEEEESI_EEEEESK_NSA_INS5_IJNSE_INSF_IfEEEESM_EEEEEPS7_SP_SP_NSC_11hip_rocprim7__merge17predicate_wrapperIffNSC_4lessIfEEEEEE10hipError_tPvRmT0_T1_T2_T3_T4_T5_mmT6_P12ihipStream_tbEUlT_E0_NS1_11comp_targetILNS1_3genE8ELNS1_11target_archE1030ELNS1_3gpuE2ELNS1_3repE0EEENS1_30default_config_static_selectorELNS0_4arch9wavefront6targetE0EEEvS10_.has_recursion, 0
	.set _ZN7rocprim17ROCPRIM_400000_NS6detail17trampoline_kernelINS0_14default_configENS1_21merge_config_selectorINS0_5tupleIJffEEENS0_10empty_typeEEEZNS1_10merge_implIS3_NS0_12zip_iteratorINS5_IJN6thrust23THRUST_200600_302600_NS6detail15normal_iteratorINSC_10device_ptrIKfEEEESI_EEEEESK_NSA_INS5_IJNSE_INSF_IfEEEESM_EEEEEPS7_SP_SP_NSC_11hip_rocprim7__merge17predicate_wrapperIffNSC_4lessIfEEEEEE10hipError_tPvRmT0_T1_T2_T3_T4_T5_mmT6_P12ihipStream_tbEUlT_E0_NS1_11comp_targetILNS1_3genE8ELNS1_11target_archE1030ELNS1_3gpuE2ELNS1_3repE0EEENS1_30default_config_static_selectorELNS0_4arch9wavefront6targetE0EEEvS10_.has_indirect_call, 0
	.section	.AMDGPU.csdata,"",@progbits
; Kernel info:
; codeLenInByte = 8104
; TotalNumSgprs: 30
; NumVgprs: 77
; ScratchSize: 0
; MemoryBound: 0
; FloatMode: 240
; IeeeMode: 1
; LDSByteSize: 33792 bytes/workgroup (compile time only)
; SGPRBlocks: 0
; VGPRBlocks: 18
; NumSGPRsForWavesPerEU: 30
; NumVGPRsForWavesPerEU: 145
; Occupancy: 6
; WaveLimiterHint : 1
; COMPUTE_PGM_RSRC2:SCRATCH_EN: 0
; COMPUTE_PGM_RSRC2:USER_SGPR: 6
; COMPUTE_PGM_RSRC2:TRAP_HANDLER: 0
; COMPUTE_PGM_RSRC2:TGID_X_EN: 1
; COMPUTE_PGM_RSRC2:TGID_Y_EN: 0
; COMPUTE_PGM_RSRC2:TGID_Z_EN: 0
; COMPUTE_PGM_RSRC2:TIDIG_COMP_CNT: 0
	.section	.text._ZN7rocprim17ROCPRIM_400000_NS6detail17trampoline_kernelINS0_14default_configENS1_22reduce_config_selectorIN6thrust23THRUST_200600_302600_NS5tupleIblNS6_9null_typeES8_S8_S8_S8_S8_S8_S8_EEEEZNS1_11reduce_implILb1ES3_NS6_12zip_iteratorINS7_INS6_11hip_rocprim26transform_input_iterator_tIbNSD_35transform_pair_of_input_iterators_tIbNS6_6detail15normal_iteratorINS6_10device_ptrIKfEEEESL_NS6_8equal_toIfEEEENSG_9not_fun_tINSD_8identityEEEEENSD_19counting_iterator_tIlEES8_S8_S8_S8_S8_S8_S8_S8_EEEEPS9_S9_NSD_9__find_if7functorIS9_EEEE10hipError_tPvRmT1_T2_T3_mT4_P12ihipStream_tbEUlT_E0_NS1_11comp_targetILNS1_3genE0ELNS1_11target_archE4294967295ELNS1_3gpuE0ELNS1_3repE0EEENS1_30default_config_static_selectorELNS0_4arch9wavefront6targetE0EEEvS14_,"axG",@progbits,_ZN7rocprim17ROCPRIM_400000_NS6detail17trampoline_kernelINS0_14default_configENS1_22reduce_config_selectorIN6thrust23THRUST_200600_302600_NS5tupleIblNS6_9null_typeES8_S8_S8_S8_S8_S8_S8_EEEEZNS1_11reduce_implILb1ES3_NS6_12zip_iteratorINS7_INS6_11hip_rocprim26transform_input_iterator_tIbNSD_35transform_pair_of_input_iterators_tIbNS6_6detail15normal_iteratorINS6_10device_ptrIKfEEEESL_NS6_8equal_toIfEEEENSG_9not_fun_tINSD_8identityEEEEENSD_19counting_iterator_tIlEES8_S8_S8_S8_S8_S8_S8_S8_EEEEPS9_S9_NSD_9__find_if7functorIS9_EEEE10hipError_tPvRmT1_T2_T3_mT4_P12ihipStream_tbEUlT_E0_NS1_11comp_targetILNS1_3genE0ELNS1_11target_archE4294967295ELNS1_3gpuE0ELNS1_3repE0EEENS1_30default_config_static_selectorELNS0_4arch9wavefront6targetE0EEEvS14_,comdat
	.protected	_ZN7rocprim17ROCPRIM_400000_NS6detail17trampoline_kernelINS0_14default_configENS1_22reduce_config_selectorIN6thrust23THRUST_200600_302600_NS5tupleIblNS6_9null_typeES8_S8_S8_S8_S8_S8_S8_EEEEZNS1_11reduce_implILb1ES3_NS6_12zip_iteratorINS7_INS6_11hip_rocprim26transform_input_iterator_tIbNSD_35transform_pair_of_input_iterators_tIbNS6_6detail15normal_iteratorINS6_10device_ptrIKfEEEESL_NS6_8equal_toIfEEEENSG_9not_fun_tINSD_8identityEEEEENSD_19counting_iterator_tIlEES8_S8_S8_S8_S8_S8_S8_S8_EEEEPS9_S9_NSD_9__find_if7functorIS9_EEEE10hipError_tPvRmT1_T2_T3_mT4_P12ihipStream_tbEUlT_E0_NS1_11comp_targetILNS1_3genE0ELNS1_11target_archE4294967295ELNS1_3gpuE0ELNS1_3repE0EEENS1_30default_config_static_selectorELNS0_4arch9wavefront6targetE0EEEvS14_ ; -- Begin function _ZN7rocprim17ROCPRIM_400000_NS6detail17trampoline_kernelINS0_14default_configENS1_22reduce_config_selectorIN6thrust23THRUST_200600_302600_NS5tupleIblNS6_9null_typeES8_S8_S8_S8_S8_S8_S8_EEEEZNS1_11reduce_implILb1ES3_NS6_12zip_iteratorINS7_INS6_11hip_rocprim26transform_input_iterator_tIbNSD_35transform_pair_of_input_iterators_tIbNS6_6detail15normal_iteratorINS6_10device_ptrIKfEEEESL_NS6_8equal_toIfEEEENSG_9not_fun_tINSD_8identityEEEEENSD_19counting_iterator_tIlEES8_S8_S8_S8_S8_S8_S8_S8_EEEEPS9_S9_NSD_9__find_if7functorIS9_EEEE10hipError_tPvRmT1_T2_T3_mT4_P12ihipStream_tbEUlT_E0_NS1_11comp_targetILNS1_3genE0ELNS1_11target_archE4294967295ELNS1_3gpuE0ELNS1_3repE0EEENS1_30default_config_static_selectorELNS0_4arch9wavefront6targetE0EEEvS14_
	.globl	_ZN7rocprim17ROCPRIM_400000_NS6detail17trampoline_kernelINS0_14default_configENS1_22reduce_config_selectorIN6thrust23THRUST_200600_302600_NS5tupleIblNS6_9null_typeES8_S8_S8_S8_S8_S8_S8_EEEEZNS1_11reduce_implILb1ES3_NS6_12zip_iteratorINS7_INS6_11hip_rocprim26transform_input_iterator_tIbNSD_35transform_pair_of_input_iterators_tIbNS6_6detail15normal_iteratorINS6_10device_ptrIKfEEEESL_NS6_8equal_toIfEEEENSG_9not_fun_tINSD_8identityEEEEENSD_19counting_iterator_tIlEES8_S8_S8_S8_S8_S8_S8_S8_EEEEPS9_S9_NSD_9__find_if7functorIS9_EEEE10hipError_tPvRmT1_T2_T3_mT4_P12ihipStream_tbEUlT_E0_NS1_11comp_targetILNS1_3genE0ELNS1_11target_archE4294967295ELNS1_3gpuE0ELNS1_3repE0EEENS1_30default_config_static_selectorELNS0_4arch9wavefront6targetE0EEEvS14_
	.p2align	8
	.type	_ZN7rocprim17ROCPRIM_400000_NS6detail17trampoline_kernelINS0_14default_configENS1_22reduce_config_selectorIN6thrust23THRUST_200600_302600_NS5tupleIblNS6_9null_typeES8_S8_S8_S8_S8_S8_S8_EEEEZNS1_11reduce_implILb1ES3_NS6_12zip_iteratorINS7_INS6_11hip_rocprim26transform_input_iterator_tIbNSD_35transform_pair_of_input_iterators_tIbNS6_6detail15normal_iteratorINS6_10device_ptrIKfEEEESL_NS6_8equal_toIfEEEENSG_9not_fun_tINSD_8identityEEEEENSD_19counting_iterator_tIlEES8_S8_S8_S8_S8_S8_S8_S8_EEEEPS9_S9_NSD_9__find_if7functorIS9_EEEE10hipError_tPvRmT1_T2_T3_mT4_P12ihipStream_tbEUlT_E0_NS1_11comp_targetILNS1_3genE0ELNS1_11target_archE4294967295ELNS1_3gpuE0ELNS1_3repE0EEENS1_30default_config_static_selectorELNS0_4arch9wavefront6targetE0EEEvS14_,@function
_ZN7rocprim17ROCPRIM_400000_NS6detail17trampoline_kernelINS0_14default_configENS1_22reduce_config_selectorIN6thrust23THRUST_200600_302600_NS5tupleIblNS6_9null_typeES8_S8_S8_S8_S8_S8_S8_EEEEZNS1_11reduce_implILb1ES3_NS6_12zip_iteratorINS7_INS6_11hip_rocprim26transform_input_iterator_tIbNSD_35transform_pair_of_input_iterators_tIbNS6_6detail15normal_iteratorINS6_10device_ptrIKfEEEESL_NS6_8equal_toIfEEEENSG_9not_fun_tINSD_8identityEEEEENSD_19counting_iterator_tIlEES8_S8_S8_S8_S8_S8_S8_S8_EEEEPS9_S9_NSD_9__find_if7functorIS9_EEEE10hipError_tPvRmT1_T2_T3_mT4_P12ihipStream_tbEUlT_E0_NS1_11comp_targetILNS1_3genE0ELNS1_11target_archE4294967295ELNS1_3gpuE0ELNS1_3repE0EEENS1_30default_config_static_selectorELNS0_4arch9wavefront6targetE0EEEvS14_: ; @_ZN7rocprim17ROCPRIM_400000_NS6detail17trampoline_kernelINS0_14default_configENS1_22reduce_config_selectorIN6thrust23THRUST_200600_302600_NS5tupleIblNS6_9null_typeES8_S8_S8_S8_S8_S8_S8_EEEEZNS1_11reduce_implILb1ES3_NS6_12zip_iteratorINS7_INS6_11hip_rocprim26transform_input_iterator_tIbNSD_35transform_pair_of_input_iterators_tIbNS6_6detail15normal_iteratorINS6_10device_ptrIKfEEEESL_NS6_8equal_toIfEEEENSG_9not_fun_tINSD_8identityEEEEENSD_19counting_iterator_tIlEES8_S8_S8_S8_S8_S8_S8_S8_EEEEPS9_S9_NSD_9__find_if7functorIS9_EEEE10hipError_tPvRmT1_T2_T3_mT4_P12ihipStream_tbEUlT_E0_NS1_11comp_targetILNS1_3genE0ELNS1_11target_archE4294967295ELNS1_3gpuE0ELNS1_3repE0EEENS1_30default_config_static_selectorELNS0_4arch9wavefront6targetE0EEEvS14_
; %bb.0:
	.section	.rodata,"a",@progbits
	.p2align	6, 0x0
	.amdhsa_kernel _ZN7rocprim17ROCPRIM_400000_NS6detail17trampoline_kernelINS0_14default_configENS1_22reduce_config_selectorIN6thrust23THRUST_200600_302600_NS5tupleIblNS6_9null_typeES8_S8_S8_S8_S8_S8_S8_EEEEZNS1_11reduce_implILb1ES3_NS6_12zip_iteratorINS7_INS6_11hip_rocprim26transform_input_iterator_tIbNSD_35transform_pair_of_input_iterators_tIbNS6_6detail15normal_iteratorINS6_10device_ptrIKfEEEESL_NS6_8equal_toIfEEEENSG_9not_fun_tINSD_8identityEEEEENSD_19counting_iterator_tIlEES8_S8_S8_S8_S8_S8_S8_S8_EEEEPS9_S9_NSD_9__find_if7functorIS9_EEEE10hipError_tPvRmT1_T2_T3_mT4_P12ihipStream_tbEUlT_E0_NS1_11comp_targetILNS1_3genE0ELNS1_11target_archE4294967295ELNS1_3gpuE0ELNS1_3repE0EEENS1_30default_config_static_selectorELNS0_4arch9wavefront6targetE0EEEvS14_
		.amdhsa_group_segment_fixed_size 0
		.amdhsa_private_segment_fixed_size 0
		.amdhsa_kernarg_size 104
		.amdhsa_user_sgpr_count 6
		.amdhsa_user_sgpr_private_segment_buffer 1
		.amdhsa_user_sgpr_dispatch_ptr 0
		.amdhsa_user_sgpr_queue_ptr 0
		.amdhsa_user_sgpr_kernarg_segment_ptr 1
		.amdhsa_user_sgpr_dispatch_id 0
		.amdhsa_user_sgpr_flat_scratch_init 0
		.amdhsa_user_sgpr_private_segment_size 0
		.amdhsa_wavefront_size32 1
		.amdhsa_uses_dynamic_stack 0
		.amdhsa_system_sgpr_private_segment_wavefront_offset 0
		.amdhsa_system_sgpr_workgroup_id_x 1
		.amdhsa_system_sgpr_workgroup_id_y 0
		.amdhsa_system_sgpr_workgroup_id_z 0
		.amdhsa_system_sgpr_workgroup_info 0
		.amdhsa_system_vgpr_workitem_id 0
		.amdhsa_next_free_vgpr 1
		.amdhsa_next_free_sgpr 1
		.amdhsa_reserve_vcc 0
		.amdhsa_reserve_flat_scratch 0
		.amdhsa_float_round_mode_32 0
		.amdhsa_float_round_mode_16_64 0
		.amdhsa_float_denorm_mode_32 3
		.amdhsa_float_denorm_mode_16_64 3
		.amdhsa_dx10_clamp 1
		.amdhsa_ieee_mode 1
		.amdhsa_fp16_overflow 0
		.amdhsa_workgroup_processor_mode 1
		.amdhsa_memory_ordered 1
		.amdhsa_forward_progress 1
		.amdhsa_shared_vgpr_count 0
		.amdhsa_exception_fp_ieee_invalid_op 0
		.amdhsa_exception_fp_denorm_src 0
		.amdhsa_exception_fp_ieee_div_zero 0
		.amdhsa_exception_fp_ieee_overflow 0
		.amdhsa_exception_fp_ieee_underflow 0
		.amdhsa_exception_fp_ieee_inexact 0
		.amdhsa_exception_int_div_zero 0
	.end_amdhsa_kernel
	.section	.text._ZN7rocprim17ROCPRIM_400000_NS6detail17trampoline_kernelINS0_14default_configENS1_22reduce_config_selectorIN6thrust23THRUST_200600_302600_NS5tupleIblNS6_9null_typeES8_S8_S8_S8_S8_S8_S8_EEEEZNS1_11reduce_implILb1ES3_NS6_12zip_iteratorINS7_INS6_11hip_rocprim26transform_input_iterator_tIbNSD_35transform_pair_of_input_iterators_tIbNS6_6detail15normal_iteratorINS6_10device_ptrIKfEEEESL_NS6_8equal_toIfEEEENSG_9not_fun_tINSD_8identityEEEEENSD_19counting_iterator_tIlEES8_S8_S8_S8_S8_S8_S8_S8_EEEEPS9_S9_NSD_9__find_if7functorIS9_EEEE10hipError_tPvRmT1_T2_T3_mT4_P12ihipStream_tbEUlT_E0_NS1_11comp_targetILNS1_3genE0ELNS1_11target_archE4294967295ELNS1_3gpuE0ELNS1_3repE0EEENS1_30default_config_static_selectorELNS0_4arch9wavefront6targetE0EEEvS14_,"axG",@progbits,_ZN7rocprim17ROCPRIM_400000_NS6detail17trampoline_kernelINS0_14default_configENS1_22reduce_config_selectorIN6thrust23THRUST_200600_302600_NS5tupleIblNS6_9null_typeES8_S8_S8_S8_S8_S8_S8_EEEEZNS1_11reduce_implILb1ES3_NS6_12zip_iteratorINS7_INS6_11hip_rocprim26transform_input_iterator_tIbNSD_35transform_pair_of_input_iterators_tIbNS6_6detail15normal_iteratorINS6_10device_ptrIKfEEEESL_NS6_8equal_toIfEEEENSG_9not_fun_tINSD_8identityEEEEENSD_19counting_iterator_tIlEES8_S8_S8_S8_S8_S8_S8_S8_EEEEPS9_S9_NSD_9__find_if7functorIS9_EEEE10hipError_tPvRmT1_T2_T3_mT4_P12ihipStream_tbEUlT_E0_NS1_11comp_targetILNS1_3genE0ELNS1_11target_archE4294967295ELNS1_3gpuE0ELNS1_3repE0EEENS1_30default_config_static_selectorELNS0_4arch9wavefront6targetE0EEEvS14_,comdat
.Lfunc_end77:
	.size	_ZN7rocprim17ROCPRIM_400000_NS6detail17trampoline_kernelINS0_14default_configENS1_22reduce_config_selectorIN6thrust23THRUST_200600_302600_NS5tupleIblNS6_9null_typeES8_S8_S8_S8_S8_S8_S8_EEEEZNS1_11reduce_implILb1ES3_NS6_12zip_iteratorINS7_INS6_11hip_rocprim26transform_input_iterator_tIbNSD_35transform_pair_of_input_iterators_tIbNS6_6detail15normal_iteratorINS6_10device_ptrIKfEEEESL_NS6_8equal_toIfEEEENSG_9not_fun_tINSD_8identityEEEEENSD_19counting_iterator_tIlEES8_S8_S8_S8_S8_S8_S8_S8_EEEEPS9_S9_NSD_9__find_if7functorIS9_EEEE10hipError_tPvRmT1_T2_T3_mT4_P12ihipStream_tbEUlT_E0_NS1_11comp_targetILNS1_3genE0ELNS1_11target_archE4294967295ELNS1_3gpuE0ELNS1_3repE0EEENS1_30default_config_static_selectorELNS0_4arch9wavefront6targetE0EEEvS14_, .Lfunc_end77-_ZN7rocprim17ROCPRIM_400000_NS6detail17trampoline_kernelINS0_14default_configENS1_22reduce_config_selectorIN6thrust23THRUST_200600_302600_NS5tupleIblNS6_9null_typeES8_S8_S8_S8_S8_S8_S8_EEEEZNS1_11reduce_implILb1ES3_NS6_12zip_iteratorINS7_INS6_11hip_rocprim26transform_input_iterator_tIbNSD_35transform_pair_of_input_iterators_tIbNS6_6detail15normal_iteratorINS6_10device_ptrIKfEEEESL_NS6_8equal_toIfEEEENSG_9not_fun_tINSD_8identityEEEEENSD_19counting_iterator_tIlEES8_S8_S8_S8_S8_S8_S8_S8_EEEEPS9_S9_NSD_9__find_if7functorIS9_EEEE10hipError_tPvRmT1_T2_T3_mT4_P12ihipStream_tbEUlT_E0_NS1_11comp_targetILNS1_3genE0ELNS1_11target_archE4294967295ELNS1_3gpuE0ELNS1_3repE0EEENS1_30default_config_static_selectorELNS0_4arch9wavefront6targetE0EEEvS14_
                                        ; -- End function
	.set _ZN7rocprim17ROCPRIM_400000_NS6detail17trampoline_kernelINS0_14default_configENS1_22reduce_config_selectorIN6thrust23THRUST_200600_302600_NS5tupleIblNS6_9null_typeES8_S8_S8_S8_S8_S8_S8_EEEEZNS1_11reduce_implILb1ES3_NS6_12zip_iteratorINS7_INS6_11hip_rocprim26transform_input_iterator_tIbNSD_35transform_pair_of_input_iterators_tIbNS6_6detail15normal_iteratorINS6_10device_ptrIKfEEEESL_NS6_8equal_toIfEEEENSG_9not_fun_tINSD_8identityEEEEENSD_19counting_iterator_tIlEES8_S8_S8_S8_S8_S8_S8_S8_EEEEPS9_S9_NSD_9__find_if7functorIS9_EEEE10hipError_tPvRmT1_T2_T3_mT4_P12ihipStream_tbEUlT_E0_NS1_11comp_targetILNS1_3genE0ELNS1_11target_archE4294967295ELNS1_3gpuE0ELNS1_3repE0EEENS1_30default_config_static_selectorELNS0_4arch9wavefront6targetE0EEEvS14_.num_vgpr, 0
	.set _ZN7rocprim17ROCPRIM_400000_NS6detail17trampoline_kernelINS0_14default_configENS1_22reduce_config_selectorIN6thrust23THRUST_200600_302600_NS5tupleIblNS6_9null_typeES8_S8_S8_S8_S8_S8_S8_EEEEZNS1_11reduce_implILb1ES3_NS6_12zip_iteratorINS7_INS6_11hip_rocprim26transform_input_iterator_tIbNSD_35transform_pair_of_input_iterators_tIbNS6_6detail15normal_iteratorINS6_10device_ptrIKfEEEESL_NS6_8equal_toIfEEEENSG_9not_fun_tINSD_8identityEEEEENSD_19counting_iterator_tIlEES8_S8_S8_S8_S8_S8_S8_S8_EEEEPS9_S9_NSD_9__find_if7functorIS9_EEEE10hipError_tPvRmT1_T2_T3_mT4_P12ihipStream_tbEUlT_E0_NS1_11comp_targetILNS1_3genE0ELNS1_11target_archE4294967295ELNS1_3gpuE0ELNS1_3repE0EEENS1_30default_config_static_selectorELNS0_4arch9wavefront6targetE0EEEvS14_.num_agpr, 0
	.set _ZN7rocprim17ROCPRIM_400000_NS6detail17trampoline_kernelINS0_14default_configENS1_22reduce_config_selectorIN6thrust23THRUST_200600_302600_NS5tupleIblNS6_9null_typeES8_S8_S8_S8_S8_S8_S8_EEEEZNS1_11reduce_implILb1ES3_NS6_12zip_iteratorINS7_INS6_11hip_rocprim26transform_input_iterator_tIbNSD_35transform_pair_of_input_iterators_tIbNS6_6detail15normal_iteratorINS6_10device_ptrIKfEEEESL_NS6_8equal_toIfEEEENSG_9not_fun_tINSD_8identityEEEEENSD_19counting_iterator_tIlEES8_S8_S8_S8_S8_S8_S8_S8_EEEEPS9_S9_NSD_9__find_if7functorIS9_EEEE10hipError_tPvRmT1_T2_T3_mT4_P12ihipStream_tbEUlT_E0_NS1_11comp_targetILNS1_3genE0ELNS1_11target_archE4294967295ELNS1_3gpuE0ELNS1_3repE0EEENS1_30default_config_static_selectorELNS0_4arch9wavefront6targetE0EEEvS14_.numbered_sgpr, 0
	.set _ZN7rocprim17ROCPRIM_400000_NS6detail17trampoline_kernelINS0_14default_configENS1_22reduce_config_selectorIN6thrust23THRUST_200600_302600_NS5tupleIblNS6_9null_typeES8_S8_S8_S8_S8_S8_S8_EEEEZNS1_11reduce_implILb1ES3_NS6_12zip_iteratorINS7_INS6_11hip_rocprim26transform_input_iterator_tIbNSD_35transform_pair_of_input_iterators_tIbNS6_6detail15normal_iteratorINS6_10device_ptrIKfEEEESL_NS6_8equal_toIfEEEENSG_9not_fun_tINSD_8identityEEEEENSD_19counting_iterator_tIlEES8_S8_S8_S8_S8_S8_S8_S8_EEEEPS9_S9_NSD_9__find_if7functorIS9_EEEE10hipError_tPvRmT1_T2_T3_mT4_P12ihipStream_tbEUlT_E0_NS1_11comp_targetILNS1_3genE0ELNS1_11target_archE4294967295ELNS1_3gpuE0ELNS1_3repE0EEENS1_30default_config_static_selectorELNS0_4arch9wavefront6targetE0EEEvS14_.num_named_barrier, 0
	.set _ZN7rocprim17ROCPRIM_400000_NS6detail17trampoline_kernelINS0_14default_configENS1_22reduce_config_selectorIN6thrust23THRUST_200600_302600_NS5tupleIblNS6_9null_typeES8_S8_S8_S8_S8_S8_S8_EEEEZNS1_11reduce_implILb1ES3_NS6_12zip_iteratorINS7_INS6_11hip_rocprim26transform_input_iterator_tIbNSD_35transform_pair_of_input_iterators_tIbNS6_6detail15normal_iteratorINS6_10device_ptrIKfEEEESL_NS6_8equal_toIfEEEENSG_9not_fun_tINSD_8identityEEEEENSD_19counting_iterator_tIlEES8_S8_S8_S8_S8_S8_S8_S8_EEEEPS9_S9_NSD_9__find_if7functorIS9_EEEE10hipError_tPvRmT1_T2_T3_mT4_P12ihipStream_tbEUlT_E0_NS1_11comp_targetILNS1_3genE0ELNS1_11target_archE4294967295ELNS1_3gpuE0ELNS1_3repE0EEENS1_30default_config_static_selectorELNS0_4arch9wavefront6targetE0EEEvS14_.private_seg_size, 0
	.set _ZN7rocprim17ROCPRIM_400000_NS6detail17trampoline_kernelINS0_14default_configENS1_22reduce_config_selectorIN6thrust23THRUST_200600_302600_NS5tupleIblNS6_9null_typeES8_S8_S8_S8_S8_S8_S8_EEEEZNS1_11reduce_implILb1ES3_NS6_12zip_iteratorINS7_INS6_11hip_rocprim26transform_input_iterator_tIbNSD_35transform_pair_of_input_iterators_tIbNS6_6detail15normal_iteratorINS6_10device_ptrIKfEEEESL_NS6_8equal_toIfEEEENSG_9not_fun_tINSD_8identityEEEEENSD_19counting_iterator_tIlEES8_S8_S8_S8_S8_S8_S8_S8_EEEEPS9_S9_NSD_9__find_if7functorIS9_EEEE10hipError_tPvRmT1_T2_T3_mT4_P12ihipStream_tbEUlT_E0_NS1_11comp_targetILNS1_3genE0ELNS1_11target_archE4294967295ELNS1_3gpuE0ELNS1_3repE0EEENS1_30default_config_static_selectorELNS0_4arch9wavefront6targetE0EEEvS14_.uses_vcc, 0
	.set _ZN7rocprim17ROCPRIM_400000_NS6detail17trampoline_kernelINS0_14default_configENS1_22reduce_config_selectorIN6thrust23THRUST_200600_302600_NS5tupleIblNS6_9null_typeES8_S8_S8_S8_S8_S8_S8_EEEEZNS1_11reduce_implILb1ES3_NS6_12zip_iteratorINS7_INS6_11hip_rocprim26transform_input_iterator_tIbNSD_35transform_pair_of_input_iterators_tIbNS6_6detail15normal_iteratorINS6_10device_ptrIKfEEEESL_NS6_8equal_toIfEEEENSG_9not_fun_tINSD_8identityEEEEENSD_19counting_iterator_tIlEES8_S8_S8_S8_S8_S8_S8_S8_EEEEPS9_S9_NSD_9__find_if7functorIS9_EEEE10hipError_tPvRmT1_T2_T3_mT4_P12ihipStream_tbEUlT_E0_NS1_11comp_targetILNS1_3genE0ELNS1_11target_archE4294967295ELNS1_3gpuE0ELNS1_3repE0EEENS1_30default_config_static_selectorELNS0_4arch9wavefront6targetE0EEEvS14_.uses_flat_scratch, 0
	.set _ZN7rocprim17ROCPRIM_400000_NS6detail17trampoline_kernelINS0_14default_configENS1_22reduce_config_selectorIN6thrust23THRUST_200600_302600_NS5tupleIblNS6_9null_typeES8_S8_S8_S8_S8_S8_S8_EEEEZNS1_11reduce_implILb1ES3_NS6_12zip_iteratorINS7_INS6_11hip_rocprim26transform_input_iterator_tIbNSD_35transform_pair_of_input_iterators_tIbNS6_6detail15normal_iteratorINS6_10device_ptrIKfEEEESL_NS6_8equal_toIfEEEENSG_9not_fun_tINSD_8identityEEEEENSD_19counting_iterator_tIlEES8_S8_S8_S8_S8_S8_S8_S8_EEEEPS9_S9_NSD_9__find_if7functorIS9_EEEE10hipError_tPvRmT1_T2_T3_mT4_P12ihipStream_tbEUlT_E0_NS1_11comp_targetILNS1_3genE0ELNS1_11target_archE4294967295ELNS1_3gpuE0ELNS1_3repE0EEENS1_30default_config_static_selectorELNS0_4arch9wavefront6targetE0EEEvS14_.has_dyn_sized_stack, 0
	.set _ZN7rocprim17ROCPRIM_400000_NS6detail17trampoline_kernelINS0_14default_configENS1_22reduce_config_selectorIN6thrust23THRUST_200600_302600_NS5tupleIblNS6_9null_typeES8_S8_S8_S8_S8_S8_S8_EEEEZNS1_11reduce_implILb1ES3_NS6_12zip_iteratorINS7_INS6_11hip_rocprim26transform_input_iterator_tIbNSD_35transform_pair_of_input_iterators_tIbNS6_6detail15normal_iteratorINS6_10device_ptrIKfEEEESL_NS6_8equal_toIfEEEENSG_9not_fun_tINSD_8identityEEEEENSD_19counting_iterator_tIlEES8_S8_S8_S8_S8_S8_S8_S8_EEEEPS9_S9_NSD_9__find_if7functorIS9_EEEE10hipError_tPvRmT1_T2_T3_mT4_P12ihipStream_tbEUlT_E0_NS1_11comp_targetILNS1_3genE0ELNS1_11target_archE4294967295ELNS1_3gpuE0ELNS1_3repE0EEENS1_30default_config_static_selectorELNS0_4arch9wavefront6targetE0EEEvS14_.has_recursion, 0
	.set _ZN7rocprim17ROCPRIM_400000_NS6detail17trampoline_kernelINS0_14default_configENS1_22reduce_config_selectorIN6thrust23THRUST_200600_302600_NS5tupleIblNS6_9null_typeES8_S8_S8_S8_S8_S8_S8_EEEEZNS1_11reduce_implILb1ES3_NS6_12zip_iteratorINS7_INS6_11hip_rocprim26transform_input_iterator_tIbNSD_35transform_pair_of_input_iterators_tIbNS6_6detail15normal_iteratorINS6_10device_ptrIKfEEEESL_NS6_8equal_toIfEEEENSG_9not_fun_tINSD_8identityEEEEENSD_19counting_iterator_tIlEES8_S8_S8_S8_S8_S8_S8_S8_EEEEPS9_S9_NSD_9__find_if7functorIS9_EEEE10hipError_tPvRmT1_T2_T3_mT4_P12ihipStream_tbEUlT_E0_NS1_11comp_targetILNS1_3genE0ELNS1_11target_archE4294967295ELNS1_3gpuE0ELNS1_3repE0EEENS1_30default_config_static_selectorELNS0_4arch9wavefront6targetE0EEEvS14_.has_indirect_call, 0
	.section	.AMDGPU.csdata,"",@progbits
; Kernel info:
; codeLenInByte = 0
; TotalNumSgprs: 0
; NumVgprs: 0
; ScratchSize: 0
; MemoryBound: 0
; FloatMode: 240
; IeeeMode: 1
; LDSByteSize: 0 bytes/workgroup (compile time only)
; SGPRBlocks: 0
; VGPRBlocks: 0
; NumSGPRsForWavesPerEU: 1
; NumVGPRsForWavesPerEU: 1
; Occupancy: 16
; WaveLimiterHint : 0
; COMPUTE_PGM_RSRC2:SCRATCH_EN: 0
; COMPUTE_PGM_RSRC2:USER_SGPR: 6
; COMPUTE_PGM_RSRC2:TRAP_HANDLER: 0
; COMPUTE_PGM_RSRC2:TGID_X_EN: 1
; COMPUTE_PGM_RSRC2:TGID_Y_EN: 0
; COMPUTE_PGM_RSRC2:TGID_Z_EN: 0
; COMPUTE_PGM_RSRC2:TIDIG_COMP_CNT: 0
	.section	.text._ZN7rocprim17ROCPRIM_400000_NS6detail17trampoline_kernelINS0_14default_configENS1_22reduce_config_selectorIN6thrust23THRUST_200600_302600_NS5tupleIblNS6_9null_typeES8_S8_S8_S8_S8_S8_S8_EEEEZNS1_11reduce_implILb1ES3_NS6_12zip_iteratorINS7_INS6_11hip_rocprim26transform_input_iterator_tIbNSD_35transform_pair_of_input_iterators_tIbNS6_6detail15normal_iteratorINS6_10device_ptrIKfEEEESL_NS6_8equal_toIfEEEENSG_9not_fun_tINSD_8identityEEEEENSD_19counting_iterator_tIlEES8_S8_S8_S8_S8_S8_S8_S8_EEEEPS9_S9_NSD_9__find_if7functorIS9_EEEE10hipError_tPvRmT1_T2_T3_mT4_P12ihipStream_tbEUlT_E0_NS1_11comp_targetILNS1_3genE5ELNS1_11target_archE942ELNS1_3gpuE9ELNS1_3repE0EEENS1_30default_config_static_selectorELNS0_4arch9wavefront6targetE0EEEvS14_,"axG",@progbits,_ZN7rocprim17ROCPRIM_400000_NS6detail17trampoline_kernelINS0_14default_configENS1_22reduce_config_selectorIN6thrust23THRUST_200600_302600_NS5tupleIblNS6_9null_typeES8_S8_S8_S8_S8_S8_S8_EEEEZNS1_11reduce_implILb1ES3_NS6_12zip_iteratorINS7_INS6_11hip_rocprim26transform_input_iterator_tIbNSD_35transform_pair_of_input_iterators_tIbNS6_6detail15normal_iteratorINS6_10device_ptrIKfEEEESL_NS6_8equal_toIfEEEENSG_9not_fun_tINSD_8identityEEEEENSD_19counting_iterator_tIlEES8_S8_S8_S8_S8_S8_S8_S8_EEEEPS9_S9_NSD_9__find_if7functorIS9_EEEE10hipError_tPvRmT1_T2_T3_mT4_P12ihipStream_tbEUlT_E0_NS1_11comp_targetILNS1_3genE5ELNS1_11target_archE942ELNS1_3gpuE9ELNS1_3repE0EEENS1_30default_config_static_selectorELNS0_4arch9wavefront6targetE0EEEvS14_,comdat
	.protected	_ZN7rocprim17ROCPRIM_400000_NS6detail17trampoline_kernelINS0_14default_configENS1_22reduce_config_selectorIN6thrust23THRUST_200600_302600_NS5tupleIblNS6_9null_typeES8_S8_S8_S8_S8_S8_S8_EEEEZNS1_11reduce_implILb1ES3_NS6_12zip_iteratorINS7_INS6_11hip_rocprim26transform_input_iterator_tIbNSD_35transform_pair_of_input_iterators_tIbNS6_6detail15normal_iteratorINS6_10device_ptrIKfEEEESL_NS6_8equal_toIfEEEENSG_9not_fun_tINSD_8identityEEEEENSD_19counting_iterator_tIlEES8_S8_S8_S8_S8_S8_S8_S8_EEEEPS9_S9_NSD_9__find_if7functorIS9_EEEE10hipError_tPvRmT1_T2_T3_mT4_P12ihipStream_tbEUlT_E0_NS1_11comp_targetILNS1_3genE5ELNS1_11target_archE942ELNS1_3gpuE9ELNS1_3repE0EEENS1_30default_config_static_selectorELNS0_4arch9wavefront6targetE0EEEvS14_ ; -- Begin function _ZN7rocprim17ROCPRIM_400000_NS6detail17trampoline_kernelINS0_14default_configENS1_22reduce_config_selectorIN6thrust23THRUST_200600_302600_NS5tupleIblNS6_9null_typeES8_S8_S8_S8_S8_S8_S8_EEEEZNS1_11reduce_implILb1ES3_NS6_12zip_iteratorINS7_INS6_11hip_rocprim26transform_input_iterator_tIbNSD_35transform_pair_of_input_iterators_tIbNS6_6detail15normal_iteratorINS6_10device_ptrIKfEEEESL_NS6_8equal_toIfEEEENSG_9not_fun_tINSD_8identityEEEEENSD_19counting_iterator_tIlEES8_S8_S8_S8_S8_S8_S8_S8_EEEEPS9_S9_NSD_9__find_if7functorIS9_EEEE10hipError_tPvRmT1_T2_T3_mT4_P12ihipStream_tbEUlT_E0_NS1_11comp_targetILNS1_3genE5ELNS1_11target_archE942ELNS1_3gpuE9ELNS1_3repE0EEENS1_30default_config_static_selectorELNS0_4arch9wavefront6targetE0EEEvS14_
	.globl	_ZN7rocprim17ROCPRIM_400000_NS6detail17trampoline_kernelINS0_14default_configENS1_22reduce_config_selectorIN6thrust23THRUST_200600_302600_NS5tupleIblNS6_9null_typeES8_S8_S8_S8_S8_S8_S8_EEEEZNS1_11reduce_implILb1ES3_NS6_12zip_iteratorINS7_INS6_11hip_rocprim26transform_input_iterator_tIbNSD_35transform_pair_of_input_iterators_tIbNS6_6detail15normal_iteratorINS6_10device_ptrIKfEEEESL_NS6_8equal_toIfEEEENSG_9not_fun_tINSD_8identityEEEEENSD_19counting_iterator_tIlEES8_S8_S8_S8_S8_S8_S8_S8_EEEEPS9_S9_NSD_9__find_if7functorIS9_EEEE10hipError_tPvRmT1_T2_T3_mT4_P12ihipStream_tbEUlT_E0_NS1_11comp_targetILNS1_3genE5ELNS1_11target_archE942ELNS1_3gpuE9ELNS1_3repE0EEENS1_30default_config_static_selectorELNS0_4arch9wavefront6targetE0EEEvS14_
	.p2align	8
	.type	_ZN7rocprim17ROCPRIM_400000_NS6detail17trampoline_kernelINS0_14default_configENS1_22reduce_config_selectorIN6thrust23THRUST_200600_302600_NS5tupleIblNS6_9null_typeES8_S8_S8_S8_S8_S8_S8_EEEEZNS1_11reduce_implILb1ES3_NS6_12zip_iteratorINS7_INS6_11hip_rocprim26transform_input_iterator_tIbNSD_35transform_pair_of_input_iterators_tIbNS6_6detail15normal_iteratorINS6_10device_ptrIKfEEEESL_NS6_8equal_toIfEEEENSG_9not_fun_tINSD_8identityEEEEENSD_19counting_iterator_tIlEES8_S8_S8_S8_S8_S8_S8_S8_EEEEPS9_S9_NSD_9__find_if7functorIS9_EEEE10hipError_tPvRmT1_T2_T3_mT4_P12ihipStream_tbEUlT_E0_NS1_11comp_targetILNS1_3genE5ELNS1_11target_archE942ELNS1_3gpuE9ELNS1_3repE0EEENS1_30default_config_static_selectorELNS0_4arch9wavefront6targetE0EEEvS14_,@function
_ZN7rocprim17ROCPRIM_400000_NS6detail17trampoline_kernelINS0_14default_configENS1_22reduce_config_selectorIN6thrust23THRUST_200600_302600_NS5tupleIblNS6_9null_typeES8_S8_S8_S8_S8_S8_S8_EEEEZNS1_11reduce_implILb1ES3_NS6_12zip_iteratorINS7_INS6_11hip_rocprim26transform_input_iterator_tIbNSD_35transform_pair_of_input_iterators_tIbNS6_6detail15normal_iteratorINS6_10device_ptrIKfEEEESL_NS6_8equal_toIfEEEENSG_9not_fun_tINSD_8identityEEEEENSD_19counting_iterator_tIlEES8_S8_S8_S8_S8_S8_S8_S8_EEEEPS9_S9_NSD_9__find_if7functorIS9_EEEE10hipError_tPvRmT1_T2_T3_mT4_P12ihipStream_tbEUlT_E0_NS1_11comp_targetILNS1_3genE5ELNS1_11target_archE942ELNS1_3gpuE9ELNS1_3repE0EEENS1_30default_config_static_selectorELNS0_4arch9wavefront6targetE0EEEvS14_: ; @_ZN7rocprim17ROCPRIM_400000_NS6detail17trampoline_kernelINS0_14default_configENS1_22reduce_config_selectorIN6thrust23THRUST_200600_302600_NS5tupleIblNS6_9null_typeES8_S8_S8_S8_S8_S8_S8_EEEEZNS1_11reduce_implILb1ES3_NS6_12zip_iteratorINS7_INS6_11hip_rocprim26transform_input_iterator_tIbNSD_35transform_pair_of_input_iterators_tIbNS6_6detail15normal_iteratorINS6_10device_ptrIKfEEEESL_NS6_8equal_toIfEEEENSG_9not_fun_tINSD_8identityEEEEENSD_19counting_iterator_tIlEES8_S8_S8_S8_S8_S8_S8_S8_EEEEPS9_S9_NSD_9__find_if7functorIS9_EEEE10hipError_tPvRmT1_T2_T3_mT4_P12ihipStream_tbEUlT_E0_NS1_11comp_targetILNS1_3genE5ELNS1_11target_archE942ELNS1_3gpuE9ELNS1_3repE0EEENS1_30default_config_static_selectorELNS0_4arch9wavefront6targetE0EEEvS14_
; %bb.0:
	.section	.rodata,"a",@progbits
	.p2align	6, 0x0
	.amdhsa_kernel _ZN7rocprim17ROCPRIM_400000_NS6detail17trampoline_kernelINS0_14default_configENS1_22reduce_config_selectorIN6thrust23THRUST_200600_302600_NS5tupleIblNS6_9null_typeES8_S8_S8_S8_S8_S8_S8_EEEEZNS1_11reduce_implILb1ES3_NS6_12zip_iteratorINS7_INS6_11hip_rocprim26transform_input_iterator_tIbNSD_35transform_pair_of_input_iterators_tIbNS6_6detail15normal_iteratorINS6_10device_ptrIKfEEEESL_NS6_8equal_toIfEEEENSG_9not_fun_tINSD_8identityEEEEENSD_19counting_iterator_tIlEES8_S8_S8_S8_S8_S8_S8_S8_EEEEPS9_S9_NSD_9__find_if7functorIS9_EEEE10hipError_tPvRmT1_T2_T3_mT4_P12ihipStream_tbEUlT_E0_NS1_11comp_targetILNS1_3genE5ELNS1_11target_archE942ELNS1_3gpuE9ELNS1_3repE0EEENS1_30default_config_static_selectorELNS0_4arch9wavefront6targetE0EEEvS14_
		.amdhsa_group_segment_fixed_size 0
		.amdhsa_private_segment_fixed_size 0
		.amdhsa_kernarg_size 104
		.amdhsa_user_sgpr_count 6
		.amdhsa_user_sgpr_private_segment_buffer 1
		.amdhsa_user_sgpr_dispatch_ptr 0
		.amdhsa_user_sgpr_queue_ptr 0
		.amdhsa_user_sgpr_kernarg_segment_ptr 1
		.amdhsa_user_sgpr_dispatch_id 0
		.amdhsa_user_sgpr_flat_scratch_init 0
		.amdhsa_user_sgpr_private_segment_size 0
		.amdhsa_wavefront_size32 1
		.amdhsa_uses_dynamic_stack 0
		.amdhsa_system_sgpr_private_segment_wavefront_offset 0
		.amdhsa_system_sgpr_workgroup_id_x 1
		.amdhsa_system_sgpr_workgroup_id_y 0
		.amdhsa_system_sgpr_workgroup_id_z 0
		.amdhsa_system_sgpr_workgroup_info 0
		.amdhsa_system_vgpr_workitem_id 0
		.amdhsa_next_free_vgpr 1
		.amdhsa_next_free_sgpr 1
		.amdhsa_reserve_vcc 0
		.amdhsa_reserve_flat_scratch 0
		.amdhsa_float_round_mode_32 0
		.amdhsa_float_round_mode_16_64 0
		.amdhsa_float_denorm_mode_32 3
		.amdhsa_float_denorm_mode_16_64 3
		.amdhsa_dx10_clamp 1
		.amdhsa_ieee_mode 1
		.amdhsa_fp16_overflow 0
		.amdhsa_workgroup_processor_mode 1
		.amdhsa_memory_ordered 1
		.amdhsa_forward_progress 1
		.amdhsa_shared_vgpr_count 0
		.amdhsa_exception_fp_ieee_invalid_op 0
		.amdhsa_exception_fp_denorm_src 0
		.amdhsa_exception_fp_ieee_div_zero 0
		.amdhsa_exception_fp_ieee_overflow 0
		.amdhsa_exception_fp_ieee_underflow 0
		.amdhsa_exception_fp_ieee_inexact 0
		.amdhsa_exception_int_div_zero 0
	.end_amdhsa_kernel
	.section	.text._ZN7rocprim17ROCPRIM_400000_NS6detail17trampoline_kernelINS0_14default_configENS1_22reduce_config_selectorIN6thrust23THRUST_200600_302600_NS5tupleIblNS6_9null_typeES8_S8_S8_S8_S8_S8_S8_EEEEZNS1_11reduce_implILb1ES3_NS6_12zip_iteratorINS7_INS6_11hip_rocprim26transform_input_iterator_tIbNSD_35transform_pair_of_input_iterators_tIbNS6_6detail15normal_iteratorINS6_10device_ptrIKfEEEESL_NS6_8equal_toIfEEEENSG_9not_fun_tINSD_8identityEEEEENSD_19counting_iterator_tIlEES8_S8_S8_S8_S8_S8_S8_S8_EEEEPS9_S9_NSD_9__find_if7functorIS9_EEEE10hipError_tPvRmT1_T2_T3_mT4_P12ihipStream_tbEUlT_E0_NS1_11comp_targetILNS1_3genE5ELNS1_11target_archE942ELNS1_3gpuE9ELNS1_3repE0EEENS1_30default_config_static_selectorELNS0_4arch9wavefront6targetE0EEEvS14_,"axG",@progbits,_ZN7rocprim17ROCPRIM_400000_NS6detail17trampoline_kernelINS0_14default_configENS1_22reduce_config_selectorIN6thrust23THRUST_200600_302600_NS5tupleIblNS6_9null_typeES8_S8_S8_S8_S8_S8_S8_EEEEZNS1_11reduce_implILb1ES3_NS6_12zip_iteratorINS7_INS6_11hip_rocprim26transform_input_iterator_tIbNSD_35transform_pair_of_input_iterators_tIbNS6_6detail15normal_iteratorINS6_10device_ptrIKfEEEESL_NS6_8equal_toIfEEEENSG_9not_fun_tINSD_8identityEEEEENSD_19counting_iterator_tIlEES8_S8_S8_S8_S8_S8_S8_S8_EEEEPS9_S9_NSD_9__find_if7functorIS9_EEEE10hipError_tPvRmT1_T2_T3_mT4_P12ihipStream_tbEUlT_E0_NS1_11comp_targetILNS1_3genE5ELNS1_11target_archE942ELNS1_3gpuE9ELNS1_3repE0EEENS1_30default_config_static_selectorELNS0_4arch9wavefront6targetE0EEEvS14_,comdat
.Lfunc_end78:
	.size	_ZN7rocprim17ROCPRIM_400000_NS6detail17trampoline_kernelINS0_14default_configENS1_22reduce_config_selectorIN6thrust23THRUST_200600_302600_NS5tupleIblNS6_9null_typeES8_S8_S8_S8_S8_S8_S8_EEEEZNS1_11reduce_implILb1ES3_NS6_12zip_iteratorINS7_INS6_11hip_rocprim26transform_input_iterator_tIbNSD_35transform_pair_of_input_iterators_tIbNS6_6detail15normal_iteratorINS6_10device_ptrIKfEEEESL_NS6_8equal_toIfEEEENSG_9not_fun_tINSD_8identityEEEEENSD_19counting_iterator_tIlEES8_S8_S8_S8_S8_S8_S8_S8_EEEEPS9_S9_NSD_9__find_if7functorIS9_EEEE10hipError_tPvRmT1_T2_T3_mT4_P12ihipStream_tbEUlT_E0_NS1_11comp_targetILNS1_3genE5ELNS1_11target_archE942ELNS1_3gpuE9ELNS1_3repE0EEENS1_30default_config_static_selectorELNS0_4arch9wavefront6targetE0EEEvS14_, .Lfunc_end78-_ZN7rocprim17ROCPRIM_400000_NS6detail17trampoline_kernelINS0_14default_configENS1_22reduce_config_selectorIN6thrust23THRUST_200600_302600_NS5tupleIblNS6_9null_typeES8_S8_S8_S8_S8_S8_S8_EEEEZNS1_11reduce_implILb1ES3_NS6_12zip_iteratorINS7_INS6_11hip_rocprim26transform_input_iterator_tIbNSD_35transform_pair_of_input_iterators_tIbNS6_6detail15normal_iteratorINS6_10device_ptrIKfEEEESL_NS6_8equal_toIfEEEENSG_9not_fun_tINSD_8identityEEEEENSD_19counting_iterator_tIlEES8_S8_S8_S8_S8_S8_S8_S8_EEEEPS9_S9_NSD_9__find_if7functorIS9_EEEE10hipError_tPvRmT1_T2_T3_mT4_P12ihipStream_tbEUlT_E0_NS1_11comp_targetILNS1_3genE5ELNS1_11target_archE942ELNS1_3gpuE9ELNS1_3repE0EEENS1_30default_config_static_selectorELNS0_4arch9wavefront6targetE0EEEvS14_
                                        ; -- End function
	.set _ZN7rocprim17ROCPRIM_400000_NS6detail17trampoline_kernelINS0_14default_configENS1_22reduce_config_selectorIN6thrust23THRUST_200600_302600_NS5tupleIblNS6_9null_typeES8_S8_S8_S8_S8_S8_S8_EEEEZNS1_11reduce_implILb1ES3_NS6_12zip_iteratorINS7_INS6_11hip_rocprim26transform_input_iterator_tIbNSD_35transform_pair_of_input_iterators_tIbNS6_6detail15normal_iteratorINS6_10device_ptrIKfEEEESL_NS6_8equal_toIfEEEENSG_9not_fun_tINSD_8identityEEEEENSD_19counting_iterator_tIlEES8_S8_S8_S8_S8_S8_S8_S8_EEEEPS9_S9_NSD_9__find_if7functorIS9_EEEE10hipError_tPvRmT1_T2_T3_mT4_P12ihipStream_tbEUlT_E0_NS1_11comp_targetILNS1_3genE5ELNS1_11target_archE942ELNS1_3gpuE9ELNS1_3repE0EEENS1_30default_config_static_selectorELNS0_4arch9wavefront6targetE0EEEvS14_.num_vgpr, 0
	.set _ZN7rocprim17ROCPRIM_400000_NS6detail17trampoline_kernelINS0_14default_configENS1_22reduce_config_selectorIN6thrust23THRUST_200600_302600_NS5tupleIblNS6_9null_typeES8_S8_S8_S8_S8_S8_S8_EEEEZNS1_11reduce_implILb1ES3_NS6_12zip_iteratorINS7_INS6_11hip_rocprim26transform_input_iterator_tIbNSD_35transform_pair_of_input_iterators_tIbNS6_6detail15normal_iteratorINS6_10device_ptrIKfEEEESL_NS6_8equal_toIfEEEENSG_9not_fun_tINSD_8identityEEEEENSD_19counting_iterator_tIlEES8_S8_S8_S8_S8_S8_S8_S8_EEEEPS9_S9_NSD_9__find_if7functorIS9_EEEE10hipError_tPvRmT1_T2_T3_mT4_P12ihipStream_tbEUlT_E0_NS1_11comp_targetILNS1_3genE5ELNS1_11target_archE942ELNS1_3gpuE9ELNS1_3repE0EEENS1_30default_config_static_selectorELNS0_4arch9wavefront6targetE0EEEvS14_.num_agpr, 0
	.set _ZN7rocprim17ROCPRIM_400000_NS6detail17trampoline_kernelINS0_14default_configENS1_22reduce_config_selectorIN6thrust23THRUST_200600_302600_NS5tupleIblNS6_9null_typeES8_S8_S8_S8_S8_S8_S8_EEEEZNS1_11reduce_implILb1ES3_NS6_12zip_iteratorINS7_INS6_11hip_rocprim26transform_input_iterator_tIbNSD_35transform_pair_of_input_iterators_tIbNS6_6detail15normal_iteratorINS6_10device_ptrIKfEEEESL_NS6_8equal_toIfEEEENSG_9not_fun_tINSD_8identityEEEEENSD_19counting_iterator_tIlEES8_S8_S8_S8_S8_S8_S8_S8_EEEEPS9_S9_NSD_9__find_if7functorIS9_EEEE10hipError_tPvRmT1_T2_T3_mT4_P12ihipStream_tbEUlT_E0_NS1_11comp_targetILNS1_3genE5ELNS1_11target_archE942ELNS1_3gpuE9ELNS1_3repE0EEENS1_30default_config_static_selectorELNS0_4arch9wavefront6targetE0EEEvS14_.numbered_sgpr, 0
	.set _ZN7rocprim17ROCPRIM_400000_NS6detail17trampoline_kernelINS0_14default_configENS1_22reduce_config_selectorIN6thrust23THRUST_200600_302600_NS5tupleIblNS6_9null_typeES8_S8_S8_S8_S8_S8_S8_EEEEZNS1_11reduce_implILb1ES3_NS6_12zip_iteratorINS7_INS6_11hip_rocprim26transform_input_iterator_tIbNSD_35transform_pair_of_input_iterators_tIbNS6_6detail15normal_iteratorINS6_10device_ptrIKfEEEESL_NS6_8equal_toIfEEEENSG_9not_fun_tINSD_8identityEEEEENSD_19counting_iterator_tIlEES8_S8_S8_S8_S8_S8_S8_S8_EEEEPS9_S9_NSD_9__find_if7functorIS9_EEEE10hipError_tPvRmT1_T2_T3_mT4_P12ihipStream_tbEUlT_E0_NS1_11comp_targetILNS1_3genE5ELNS1_11target_archE942ELNS1_3gpuE9ELNS1_3repE0EEENS1_30default_config_static_selectorELNS0_4arch9wavefront6targetE0EEEvS14_.num_named_barrier, 0
	.set _ZN7rocprim17ROCPRIM_400000_NS6detail17trampoline_kernelINS0_14default_configENS1_22reduce_config_selectorIN6thrust23THRUST_200600_302600_NS5tupleIblNS6_9null_typeES8_S8_S8_S8_S8_S8_S8_EEEEZNS1_11reduce_implILb1ES3_NS6_12zip_iteratorINS7_INS6_11hip_rocprim26transform_input_iterator_tIbNSD_35transform_pair_of_input_iterators_tIbNS6_6detail15normal_iteratorINS6_10device_ptrIKfEEEESL_NS6_8equal_toIfEEEENSG_9not_fun_tINSD_8identityEEEEENSD_19counting_iterator_tIlEES8_S8_S8_S8_S8_S8_S8_S8_EEEEPS9_S9_NSD_9__find_if7functorIS9_EEEE10hipError_tPvRmT1_T2_T3_mT4_P12ihipStream_tbEUlT_E0_NS1_11comp_targetILNS1_3genE5ELNS1_11target_archE942ELNS1_3gpuE9ELNS1_3repE0EEENS1_30default_config_static_selectorELNS0_4arch9wavefront6targetE0EEEvS14_.private_seg_size, 0
	.set _ZN7rocprim17ROCPRIM_400000_NS6detail17trampoline_kernelINS0_14default_configENS1_22reduce_config_selectorIN6thrust23THRUST_200600_302600_NS5tupleIblNS6_9null_typeES8_S8_S8_S8_S8_S8_S8_EEEEZNS1_11reduce_implILb1ES3_NS6_12zip_iteratorINS7_INS6_11hip_rocprim26transform_input_iterator_tIbNSD_35transform_pair_of_input_iterators_tIbNS6_6detail15normal_iteratorINS6_10device_ptrIKfEEEESL_NS6_8equal_toIfEEEENSG_9not_fun_tINSD_8identityEEEEENSD_19counting_iterator_tIlEES8_S8_S8_S8_S8_S8_S8_S8_EEEEPS9_S9_NSD_9__find_if7functorIS9_EEEE10hipError_tPvRmT1_T2_T3_mT4_P12ihipStream_tbEUlT_E0_NS1_11comp_targetILNS1_3genE5ELNS1_11target_archE942ELNS1_3gpuE9ELNS1_3repE0EEENS1_30default_config_static_selectorELNS0_4arch9wavefront6targetE0EEEvS14_.uses_vcc, 0
	.set _ZN7rocprim17ROCPRIM_400000_NS6detail17trampoline_kernelINS0_14default_configENS1_22reduce_config_selectorIN6thrust23THRUST_200600_302600_NS5tupleIblNS6_9null_typeES8_S8_S8_S8_S8_S8_S8_EEEEZNS1_11reduce_implILb1ES3_NS6_12zip_iteratorINS7_INS6_11hip_rocprim26transform_input_iterator_tIbNSD_35transform_pair_of_input_iterators_tIbNS6_6detail15normal_iteratorINS6_10device_ptrIKfEEEESL_NS6_8equal_toIfEEEENSG_9not_fun_tINSD_8identityEEEEENSD_19counting_iterator_tIlEES8_S8_S8_S8_S8_S8_S8_S8_EEEEPS9_S9_NSD_9__find_if7functorIS9_EEEE10hipError_tPvRmT1_T2_T3_mT4_P12ihipStream_tbEUlT_E0_NS1_11comp_targetILNS1_3genE5ELNS1_11target_archE942ELNS1_3gpuE9ELNS1_3repE0EEENS1_30default_config_static_selectorELNS0_4arch9wavefront6targetE0EEEvS14_.uses_flat_scratch, 0
	.set _ZN7rocprim17ROCPRIM_400000_NS6detail17trampoline_kernelINS0_14default_configENS1_22reduce_config_selectorIN6thrust23THRUST_200600_302600_NS5tupleIblNS6_9null_typeES8_S8_S8_S8_S8_S8_S8_EEEEZNS1_11reduce_implILb1ES3_NS6_12zip_iteratorINS7_INS6_11hip_rocprim26transform_input_iterator_tIbNSD_35transform_pair_of_input_iterators_tIbNS6_6detail15normal_iteratorINS6_10device_ptrIKfEEEESL_NS6_8equal_toIfEEEENSG_9not_fun_tINSD_8identityEEEEENSD_19counting_iterator_tIlEES8_S8_S8_S8_S8_S8_S8_S8_EEEEPS9_S9_NSD_9__find_if7functorIS9_EEEE10hipError_tPvRmT1_T2_T3_mT4_P12ihipStream_tbEUlT_E0_NS1_11comp_targetILNS1_3genE5ELNS1_11target_archE942ELNS1_3gpuE9ELNS1_3repE0EEENS1_30default_config_static_selectorELNS0_4arch9wavefront6targetE0EEEvS14_.has_dyn_sized_stack, 0
	.set _ZN7rocprim17ROCPRIM_400000_NS6detail17trampoline_kernelINS0_14default_configENS1_22reduce_config_selectorIN6thrust23THRUST_200600_302600_NS5tupleIblNS6_9null_typeES8_S8_S8_S8_S8_S8_S8_EEEEZNS1_11reduce_implILb1ES3_NS6_12zip_iteratorINS7_INS6_11hip_rocprim26transform_input_iterator_tIbNSD_35transform_pair_of_input_iterators_tIbNS6_6detail15normal_iteratorINS6_10device_ptrIKfEEEESL_NS6_8equal_toIfEEEENSG_9not_fun_tINSD_8identityEEEEENSD_19counting_iterator_tIlEES8_S8_S8_S8_S8_S8_S8_S8_EEEEPS9_S9_NSD_9__find_if7functorIS9_EEEE10hipError_tPvRmT1_T2_T3_mT4_P12ihipStream_tbEUlT_E0_NS1_11comp_targetILNS1_3genE5ELNS1_11target_archE942ELNS1_3gpuE9ELNS1_3repE0EEENS1_30default_config_static_selectorELNS0_4arch9wavefront6targetE0EEEvS14_.has_recursion, 0
	.set _ZN7rocprim17ROCPRIM_400000_NS6detail17trampoline_kernelINS0_14default_configENS1_22reduce_config_selectorIN6thrust23THRUST_200600_302600_NS5tupleIblNS6_9null_typeES8_S8_S8_S8_S8_S8_S8_EEEEZNS1_11reduce_implILb1ES3_NS6_12zip_iteratorINS7_INS6_11hip_rocprim26transform_input_iterator_tIbNSD_35transform_pair_of_input_iterators_tIbNS6_6detail15normal_iteratorINS6_10device_ptrIKfEEEESL_NS6_8equal_toIfEEEENSG_9not_fun_tINSD_8identityEEEEENSD_19counting_iterator_tIlEES8_S8_S8_S8_S8_S8_S8_S8_EEEEPS9_S9_NSD_9__find_if7functorIS9_EEEE10hipError_tPvRmT1_T2_T3_mT4_P12ihipStream_tbEUlT_E0_NS1_11comp_targetILNS1_3genE5ELNS1_11target_archE942ELNS1_3gpuE9ELNS1_3repE0EEENS1_30default_config_static_selectorELNS0_4arch9wavefront6targetE0EEEvS14_.has_indirect_call, 0
	.section	.AMDGPU.csdata,"",@progbits
; Kernel info:
; codeLenInByte = 0
; TotalNumSgprs: 0
; NumVgprs: 0
; ScratchSize: 0
; MemoryBound: 0
; FloatMode: 240
; IeeeMode: 1
; LDSByteSize: 0 bytes/workgroup (compile time only)
; SGPRBlocks: 0
; VGPRBlocks: 0
; NumSGPRsForWavesPerEU: 1
; NumVGPRsForWavesPerEU: 1
; Occupancy: 16
; WaveLimiterHint : 0
; COMPUTE_PGM_RSRC2:SCRATCH_EN: 0
; COMPUTE_PGM_RSRC2:USER_SGPR: 6
; COMPUTE_PGM_RSRC2:TRAP_HANDLER: 0
; COMPUTE_PGM_RSRC2:TGID_X_EN: 1
; COMPUTE_PGM_RSRC2:TGID_Y_EN: 0
; COMPUTE_PGM_RSRC2:TGID_Z_EN: 0
; COMPUTE_PGM_RSRC2:TIDIG_COMP_CNT: 0
	.section	.text._ZN7rocprim17ROCPRIM_400000_NS6detail17trampoline_kernelINS0_14default_configENS1_22reduce_config_selectorIN6thrust23THRUST_200600_302600_NS5tupleIblNS6_9null_typeES8_S8_S8_S8_S8_S8_S8_EEEEZNS1_11reduce_implILb1ES3_NS6_12zip_iteratorINS7_INS6_11hip_rocprim26transform_input_iterator_tIbNSD_35transform_pair_of_input_iterators_tIbNS6_6detail15normal_iteratorINS6_10device_ptrIKfEEEESL_NS6_8equal_toIfEEEENSG_9not_fun_tINSD_8identityEEEEENSD_19counting_iterator_tIlEES8_S8_S8_S8_S8_S8_S8_S8_EEEEPS9_S9_NSD_9__find_if7functorIS9_EEEE10hipError_tPvRmT1_T2_T3_mT4_P12ihipStream_tbEUlT_E0_NS1_11comp_targetILNS1_3genE4ELNS1_11target_archE910ELNS1_3gpuE8ELNS1_3repE0EEENS1_30default_config_static_selectorELNS0_4arch9wavefront6targetE0EEEvS14_,"axG",@progbits,_ZN7rocprim17ROCPRIM_400000_NS6detail17trampoline_kernelINS0_14default_configENS1_22reduce_config_selectorIN6thrust23THRUST_200600_302600_NS5tupleIblNS6_9null_typeES8_S8_S8_S8_S8_S8_S8_EEEEZNS1_11reduce_implILb1ES3_NS6_12zip_iteratorINS7_INS6_11hip_rocprim26transform_input_iterator_tIbNSD_35transform_pair_of_input_iterators_tIbNS6_6detail15normal_iteratorINS6_10device_ptrIKfEEEESL_NS6_8equal_toIfEEEENSG_9not_fun_tINSD_8identityEEEEENSD_19counting_iterator_tIlEES8_S8_S8_S8_S8_S8_S8_S8_EEEEPS9_S9_NSD_9__find_if7functorIS9_EEEE10hipError_tPvRmT1_T2_T3_mT4_P12ihipStream_tbEUlT_E0_NS1_11comp_targetILNS1_3genE4ELNS1_11target_archE910ELNS1_3gpuE8ELNS1_3repE0EEENS1_30default_config_static_selectorELNS0_4arch9wavefront6targetE0EEEvS14_,comdat
	.protected	_ZN7rocprim17ROCPRIM_400000_NS6detail17trampoline_kernelINS0_14default_configENS1_22reduce_config_selectorIN6thrust23THRUST_200600_302600_NS5tupleIblNS6_9null_typeES8_S8_S8_S8_S8_S8_S8_EEEEZNS1_11reduce_implILb1ES3_NS6_12zip_iteratorINS7_INS6_11hip_rocprim26transform_input_iterator_tIbNSD_35transform_pair_of_input_iterators_tIbNS6_6detail15normal_iteratorINS6_10device_ptrIKfEEEESL_NS6_8equal_toIfEEEENSG_9not_fun_tINSD_8identityEEEEENSD_19counting_iterator_tIlEES8_S8_S8_S8_S8_S8_S8_S8_EEEEPS9_S9_NSD_9__find_if7functorIS9_EEEE10hipError_tPvRmT1_T2_T3_mT4_P12ihipStream_tbEUlT_E0_NS1_11comp_targetILNS1_3genE4ELNS1_11target_archE910ELNS1_3gpuE8ELNS1_3repE0EEENS1_30default_config_static_selectorELNS0_4arch9wavefront6targetE0EEEvS14_ ; -- Begin function _ZN7rocprim17ROCPRIM_400000_NS6detail17trampoline_kernelINS0_14default_configENS1_22reduce_config_selectorIN6thrust23THRUST_200600_302600_NS5tupleIblNS6_9null_typeES8_S8_S8_S8_S8_S8_S8_EEEEZNS1_11reduce_implILb1ES3_NS6_12zip_iteratorINS7_INS6_11hip_rocprim26transform_input_iterator_tIbNSD_35transform_pair_of_input_iterators_tIbNS6_6detail15normal_iteratorINS6_10device_ptrIKfEEEESL_NS6_8equal_toIfEEEENSG_9not_fun_tINSD_8identityEEEEENSD_19counting_iterator_tIlEES8_S8_S8_S8_S8_S8_S8_S8_EEEEPS9_S9_NSD_9__find_if7functorIS9_EEEE10hipError_tPvRmT1_T2_T3_mT4_P12ihipStream_tbEUlT_E0_NS1_11comp_targetILNS1_3genE4ELNS1_11target_archE910ELNS1_3gpuE8ELNS1_3repE0EEENS1_30default_config_static_selectorELNS0_4arch9wavefront6targetE0EEEvS14_
	.globl	_ZN7rocprim17ROCPRIM_400000_NS6detail17trampoline_kernelINS0_14default_configENS1_22reduce_config_selectorIN6thrust23THRUST_200600_302600_NS5tupleIblNS6_9null_typeES8_S8_S8_S8_S8_S8_S8_EEEEZNS1_11reduce_implILb1ES3_NS6_12zip_iteratorINS7_INS6_11hip_rocprim26transform_input_iterator_tIbNSD_35transform_pair_of_input_iterators_tIbNS6_6detail15normal_iteratorINS6_10device_ptrIKfEEEESL_NS6_8equal_toIfEEEENSG_9not_fun_tINSD_8identityEEEEENSD_19counting_iterator_tIlEES8_S8_S8_S8_S8_S8_S8_S8_EEEEPS9_S9_NSD_9__find_if7functorIS9_EEEE10hipError_tPvRmT1_T2_T3_mT4_P12ihipStream_tbEUlT_E0_NS1_11comp_targetILNS1_3genE4ELNS1_11target_archE910ELNS1_3gpuE8ELNS1_3repE0EEENS1_30default_config_static_selectorELNS0_4arch9wavefront6targetE0EEEvS14_
	.p2align	8
	.type	_ZN7rocprim17ROCPRIM_400000_NS6detail17trampoline_kernelINS0_14default_configENS1_22reduce_config_selectorIN6thrust23THRUST_200600_302600_NS5tupleIblNS6_9null_typeES8_S8_S8_S8_S8_S8_S8_EEEEZNS1_11reduce_implILb1ES3_NS6_12zip_iteratorINS7_INS6_11hip_rocprim26transform_input_iterator_tIbNSD_35transform_pair_of_input_iterators_tIbNS6_6detail15normal_iteratorINS6_10device_ptrIKfEEEESL_NS6_8equal_toIfEEEENSG_9not_fun_tINSD_8identityEEEEENSD_19counting_iterator_tIlEES8_S8_S8_S8_S8_S8_S8_S8_EEEEPS9_S9_NSD_9__find_if7functorIS9_EEEE10hipError_tPvRmT1_T2_T3_mT4_P12ihipStream_tbEUlT_E0_NS1_11comp_targetILNS1_3genE4ELNS1_11target_archE910ELNS1_3gpuE8ELNS1_3repE0EEENS1_30default_config_static_selectorELNS0_4arch9wavefront6targetE0EEEvS14_,@function
_ZN7rocprim17ROCPRIM_400000_NS6detail17trampoline_kernelINS0_14default_configENS1_22reduce_config_selectorIN6thrust23THRUST_200600_302600_NS5tupleIblNS6_9null_typeES8_S8_S8_S8_S8_S8_S8_EEEEZNS1_11reduce_implILb1ES3_NS6_12zip_iteratorINS7_INS6_11hip_rocprim26transform_input_iterator_tIbNSD_35transform_pair_of_input_iterators_tIbNS6_6detail15normal_iteratorINS6_10device_ptrIKfEEEESL_NS6_8equal_toIfEEEENSG_9not_fun_tINSD_8identityEEEEENSD_19counting_iterator_tIlEES8_S8_S8_S8_S8_S8_S8_S8_EEEEPS9_S9_NSD_9__find_if7functorIS9_EEEE10hipError_tPvRmT1_T2_T3_mT4_P12ihipStream_tbEUlT_E0_NS1_11comp_targetILNS1_3genE4ELNS1_11target_archE910ELNS1_3gpuE8ELNS1_3repE0EEENS1_30default_config_static_selectorELNS0_4arch9wavefront6targetE0EEEvS14_: ; @_ZN7rocprim17ROCPRIM_400000_NS6detail17trampoline_kernelINS0_14default_configENS1_22reduce_config_selectorIN6thrust23THRUST_200600_302600_NS5tupleIblNS6_9null_typeES8_S8_S8_S8_S8_S8_S8_EEEEZNS1_11reduce_implILb1ES3_NS6_12zip_iteratorINS7_INS6_11hip_rocprim26transform_input_iterator_tIbNSD_35transform_pair_of_input_iterators_tIbNS6_6detail15normal_iteratorINS6_10device_ptrIKfEEEESL_NS6_8equal_toIfEEEENSG_9not_fun_tINSD_8identityEEEEENSD_19counting_iterator_tIlEES8_S8_S8_S8_S8_S8_S8_S8_EEEEPS9_S9_NSD_9__find_if7functorIS9_EEEE10hipError_tPvRmT1_T2_T3_mT4_P12ihipStream_tbEUlT_E0_NS1_11comp_targetILNS1_3genE4ELNS1_11target_archE910ELNS1_3gpuE8ELNS1_3repE0EEENS1_30default_config_static_selectorELNS0_4arch9wavefront6targetE0EEEvS14_
; %bb.0:
	.section	.rodata,"a",@progbits
	.p2align	6, 0x0
	.amdhsa_kernel _ZN7rocprim17ROCPRIM_400000_NS6detail17trampoline_kernelINS0_14default_configENS1_22reduce_config_selectorIN6thrust23THRUST_200600_302600_NS5tupleIblNS6_9null_typeES8_S8_S8_S8_S8_S8_S8_EEEEZNS1_11reduce_implILb1ES3_NS6_12zip_iteratorINS7_INS6_11hip_rocprim26transform_input_iterator_tIbNSD_35transform_pair_of_input_iterators_tIbNS6_6detail15normal_iteratorINS6_10device_ptrIKfEEEESL_NS6_8equal_toIfEEEENSG_9not_fun_tINSD_8identityEEEEENSD_19counting_iterator_tIlEES8_S8_S8_S8_S8_S8_S8_S8_EEEEPS9_S9_NSD_9__find_if7functorIS9_EEEE10hipError_tPvRmT1_T2_T3_mT4_P12ihipStream_tbEUlT_E0_NS1_11comp_targetILNS1_3genE4ELNS1_11target_archE910ELNS1_3gpuE8ELNS1_3repE0EEENS1_30default_config_static_selectorELNS0_4arch9wavefront6targetE0EEEvS14_
		.amdhsa_group_segment_fixed_size 0
		.amdhsa_private_segment_fixed_size 0
		.amdhsa_kernarg_size 104
		.amdhsa_user_sgpr_count 6
		.amdhsa_user_sgpr_private_segment_buffer 1
		.amdhsa_user_sgpr_dispatch_ptr 0
		.amdhsa_user_sgpr_queue_ptr 0
		.amdhsa_user_sgpr_kernarg_segment_ptr 1
		.amdhsa_user_sgpr_dispatch_id 0
		.amdhsa_user_sgpr_flat_scratch_init 0
		.amdhsa_user_sgpr_private_segment_size 0
		.amdhsa_wavefront_size32 1
		.amdhsa_uses_dynamic_stack 0
		.amdhsa_system_sgpr_private_segment_wavefront_offset 0
		.amdhsa_system_sgpr_workgroup_id_x 1
		.amdhsa_system_sgpr_workgroup_id_y 0
		.amdhsa_system_sgpr_workgroup_id_z 0
		.amdhsa_system_sgpr_workgroup_info 0
		.amdhsa_system_vgpr_workitem_id 0
		.amdhsa_next_free_vgpr 1
		.amdhsa_next_free_sgpr 1
		.amdhsa_reserve_vcc 0
		.amdhsa_reserve_flat_scratch 0
		.amdhsa_float_round_mode_32 0
		.amdhsa_float_round_mode_16_64 0
		.amdhsa_float_denorm_mode_32 3
		.amdhsa_float_denorm_mode_16_64 3
		.amdhsa_dx10_clamp 1
		.amdhsa_ieee_mode 1
		.amdhsa_fp16_overflow 0
		.amdhsa_workgroup_processor_mode 1
		.amdhsa_memory_ordered 1
		.amdhsa_forward_progress 1
		.amdhsa_shared_vgpr_count 0
		.amdhsa_exception_fp_ieee_invalid_op 0
		.amdhsa_exception_fp_denorm_src 0
		.amdhsa_exception_fp_ieee_div_zero 0
		.amdhsa_exception_fp_ieee_overflow 0
		.amdhsa_exception_fp_ieee_underflow 0
		.amdhsa_exception_fp_ieee_inexact 0
		.amdhsa_exception_int_div_zero 0
	.end_amdhsa_kernel
	.section	.text._ZN7rocprim17ROCPRIM_400000_NS6detail17trampoline_kernelINS0_14default_configENS1_22reduce_config_selectorIN6thrust23THRUST_200600_302600_NS5tupleIblNS6_9null_typeES8_S8_S8_S8_S8_S8_S8_EEEEZNS1_11reduce_implILb1ES3_NS6_12zip_iteratorINS7_INS6_11hip_rocprim26transform_input_iterator_tIbNSD_35transform_pair_of_input_iterators_tIbNS6_6detail15normal_iteratorINS6_10device_ptrIKfEEEESL_NS6_8equal_toIfEEEENSG_9not_fun_tINSD_8identityEEEEENSD_19counting_iterator_tIlEES8_S8_S8_S8_S8_S8_S8_S8_EEEEPS9_S9_NSD_9__find_if7functorIS9_EEEE10hipError_tPvRmT1_T2_T3_mT4_P12ihipStream_tbEUlT_E0_NS1_11comp_targetILNS1_3genE4ELNS1_11target_archE910ELNS1_3gpuE8ELNS1_3repE0EEENS1_30default_config_static_selectorELNS0_4arch9wavefront6targetE0EEEvS14_,"axG",@progbits,_ZN7rocprim17ROCPRIM_400000_NS6detail17trampoline_kernelINS0_14default_configENS1_22reduce_config_selectorIN6thrust23THRUST_200600_302600_NS5tupleIblNS6_9null_typeES8_S8_S8_S8_S8_S8_S8_EEEEZNS1_11reduce_implILb1ES3_NS6_12zip_iteratorINS7_INS6_11hip_rocprim26transform_input_iterator_tIbNSD_35transform_pair_of_input_iterators_tIbNS6_6detail15normal_iteratorINS6_10device_ptrIKfEEEESL_NS6_8equal_toIfEEEENSG_9not_fun_tINSD_8identityEEEEENSD_19counting_iterator_tIlEES8_S8_S8_S8_S8_S8_S8_S8_EEEEPS9_S9_NSD_9__find_if7functorIS9_EEEE10hipError_tPvRmT1_T2_T3_mT4_P12ihipStream_tbEUlT_E0_NS1_11comp_targetILNS1_3genE4ELNS1_11target_archE910ELNS1_3gpuE8ELNS1_3repE0EEENS1_30default_config_static_selectorELNS0_4arch9wavefront6targetE0EEEvS14_,comdat
.Lfunc_end79:
	.size	_ZN7rocprim17ROCPRIM_400000_NS6detail17trampoline_kernelINS0_14default_configENS1_22reduce_config_selectorIN6thrust23THRUST_200600_302600_NS5tupleIblNS6_9null_typeES8_S8_S8_S8_S8_S8_S8_EEEEZNS1_11reduce_implILb1ES3_NS6_12zip_iteratorINS7_INS6_11hip_rocprim26transform_input_iterator_tIbNSD_35transform_pair_of_input_iterators_tIbNS6_6detail15normal_iteratorINS6_10device_ptrIKfEEEESL_NS6_8equal_toIfEEEENSG_9not_fun_tINSD_8identityEEEEENSD_19counting_iterator_tIlEES8_S8_S8_S8_S8_S8_S8_S8_EEEEPS9_S9_NSD_9__find_if7functorIS9_EEEE10hipError_tPvRmT1_T2_T3_mT4_P12ihipStream_tbEUlT_E0_NS1_11comp_targetILNS1_3genE4ELNS1_11target_archE910ELNS1_3gpuE8ELNS1_3repE0EEENS1_30default_config_static_selectorELNS0_4arch9wavefront6targetE0EEEvS14_, .Lfunc_end79-_ZN7rocprim17ROCPRIM_400000_NS6detail17trampoline_kernelINS0_14default_configENS1_22reduce_config_selectorIN6thrust23THRUST_200600_302600_NS5tupleIblNS6_9null_typeES8_S8_S8_S8_S8_S8_S8_EEEEZNS1_11reduce_implILb1ES3_NS6_12zip_iteratorINS7_INS6_11hip_rocprim26transform_input_iterator_tIbNSD_35transform_pair_of_input_iterators_tIbNS6_6detail15normal_iteratorINS6_10device_ptrIKfEEEESL_NS6_8equal_toIfEEEENSG_9not_fun_tINSD_8identityEEEEENSD_19counting_iterator_tIlEES8_S8_S8_S8_S8_S8_S8_S8_EEEEPS9_S9_NSD_9__find_if7functorIS9_EEEE10hipError_tPvRmT1_T2_T3_mT4_P12ihipStream_tbEUlT_E0_NS1_11comp_targetILNS1_3genE4ELNS1_11target_archE910ELNS1_3gpuE8ELNS1_3repE0EEENS1_30default_config_static_selectorELNS0_4arch9wavefront6targetE0EEEvS14_
                                        ; -- End function
	.set _ZN7rocprim17ROCPRIM_400000_NS6detail17trampoline_kernelINS0_14default_configENS1_22reduce_config_selectorIN6thrust23THRUST_200600_302600_NS5tupleIblNS6_9null_typeES8_S8_S8_S8_S8_S8_S8_EEEEZNS1_11reduce_implILb1ES3_NS6_12zip_iteratorINS7_INS6_11hip_rocprim26transform_input_iterator_tIbNSD_35transform_pair_of_input_iterators_tIbNS6_6detail15normal_iteratorINS6_10device_ptrIKfEEEESL_NS6_8equal_toIfEEEENSG_9not_fun_tINSD_8identityEEEEENSD_19counting_iterator_tIlEES8_S8_S8_S8_S8_S8_S8_S8_EEEEPS9_S9_NSD_9__find_if7functorIS9_EEEE10hipError_tPvRmT1_T2_T3_mT4_P12ihipStream_tbEUlT_E0_NS1_11comp_targetILNS1_3genE4ELNS1_11target_archE910ELNS1_3gpuE8ELNS1_3repE0EEENS1_30default_config_static_selectorELNS0_4arch9wavefront6targetE0EEEvS14_.num_vgpr, 0
	.set _ZN7rocprim17ROCPRIM_400000_NS6detail17trampoline_kernelINS0_14default_configENS1_22reduce_config_selectorIN6thrust23THRUST_200600_302600_NS5tupleIblNS6_9null_typeES8_S8_S8_S8_S8_S8_S8_EEEEZNS1_11reduce_implILb1ES3_NS6_12zip_iteratorINS7_INS6_11hip_rocprim26transform_input_iterator_tIbNSD_35transform_pair_of_input_iterators_tIbNS6_6detail15normal_iteratorINS6_10device_ptrIKfEEEESL_NS6_8equal_toIfEEEENSG_9not_fun_tINSD_8identityEEEEENSD_19counting_iterator_tIlEES8_S8_S8_S8_S8_S8_S8_S8_EEEEPS9_S9_NSD_9__find_if7functorIS9_EEEE10hipError_tPvRmT1_T2_T3_mT4_P12ihipStream_tbEUlT_E0_NS1_11comp_targetILNS1_3genE4ELNS1_11target_archE910ELNS1_3gpuE8ELNS1_3repE0EEENS1_30default_config_static_selectorELNS0_4arch9wavefront6targetE0EEEvS14_.num_agpr, 0
	.set _ZN7rocprim17ROCPRIM_400000_NS6detail17trampoline_kernelINS0_14default_configENS1_22reduce_config_selectorIN6thrust23THRUST_200600_302600_NS5tupleIblNS6_9null_typeES8_S8_S8_S8_S8_S8_S8_EEEEZNS1_11reduce_implILb1ES3_NS6_12zip_iteratorINS7_INS6_11hip_rocprim26transform_input_iterator_tIbNSD_35transform_pair_of_input_iterators_tIbNS6_6detail15normal_iteratorINS6_10device_ptrIKfEEEESL_NS6_8equal_toIfEEEENSG_9not_fun_tINSD_8identityEEEEENSD_19counting_iterator_tIlEES8_S8_S8_S8_S8_S8_S8_S8_EEEEPS9_S9_NSD_9__find_if7functorIS9_EEEE10hipError_tPvRmT1_T2_T3_mT4_P12ihipStream_tbEUlT_E0_NS1_11comp_targetILNS1_3genE4ELNS1_11target_archE910ELNS1_3gpuE8ELNS1_3repE0EEENS1_30default_config_static_selectorELNS0_4arch9wavefront6targetE0EEEvS14_.numbered_sgpr, 0
	.set _ZN7rocprim17ROCPRIM_400000_NS6detail17trampoline_kernelINS0_14default_configENS1_22reduce_config_selectorIN6thrust23THRUST_200600_302600_NS5tupleIblNS6_9null_typeES8_S8_S8_S8_S8_S8_S8_EEEEZNS1_11reduce_implILb1ES3_NS6_12zip_iteratorINS7_INS6_11hip_rocprim26transform_input_iterator_tIbNSD_35transform_pair_of_input_iterators_tIbNS6_6detail15normal_iteratorINS6_10device_ptrIKfEEEESL_NS6_8equal_toIfEEEENSG_9not_fun_tINSD_8identityEEEEENSD_19counting_iterator_tIlEES8_S8_S8_S8_S8_S8_S8_S8_EEEEPS9_S9_NSD_9__find_if7functorIS9_EEEE10hipError_tPvRmT1_T2_T3_mT4_P12ihipStream_tbEUlT_E0_NS1_11comp_targetILNS1_3genE4ELNS1_11target_archE910ELNS1_3gpuE8ELNS1_3repE0EEENS1_30default_config_static_selectorELNS0_4arch9wavefront6targetE0EEEvS14_.num_named_barrier, 0
	.set _ZN7rocprim17ROCPRIM_400000_NS6detail17trampoline_kernelINS0_14default_configENS1_22reduce_config_selectorIN6thrust23THRUST_200600_302600_NS5tupleIblNS6_9null_typeES8_S8_S8_S8_S8_S8_S8_EEEEZNS1_11reduce_implILb1ES3_NS6_12zip_iteratorINS7_INS6_11hip_rocprim26transform_input_iterator_tIbNSD_35transform_pair_of_input_iterators_tIbNS6_6detail15normal_iteratorINS6_10device_ptrIKfEEEESL_NS6_8equal_toIfEEEENSG_9not_fun_tINSD_8identityEEEEENSD_19counting_iterator_tIlEES8_S8_S8_S8_S8_S8_S8_S8_EEEEPS9_S9_NSD_9__find_if7functorIS9_EEEE10hipError_tPvRmT1_T2_T3_mT4_P12ihipStream_tbEUlT_E0_NS1_11comp_targetILNS1_3genE4ELNS1_11target_archE910ELNS1_3gpuE8ELNS1_3repE0EEENS1_30default_config_static_selectorELNS0_4arch9wavefront6targetE0EEEvS14_.private_seg_size, 0
	.set _ZN7rocprim17ROCPRIM_400000_NS6detail17trampoline_kernelINS0_14default_configENS1_22reduce_config_selectorIN6thrust23THRUST_200600_302600_NS5tupleIblNS6_9null_typeES8_S8_S8_S8_S8_S8_S8_EEEEZNS1_11reduce_implILb1ES3_NS6_12zip_iteratorINS7_INS6_11hip_rocprim26transform_input_iterator_tIbNSD_35transform_pair_of_input_iterators_tIbNS6_6detail15normal_iteratorINS6_10device_ptrIKfEEEESL_NS6_8equal_toIfEEEENSG_9not_fun_tINSD_8identityEEEEENSD_19counting_iterator_tIlEES8_S8_S8_S8_S8_S8_S8_S8_EEEEPS9_S9_NSD_9__find_if7functorIS9_EEEE10hipError_tPvRmT1_T2_T3_mT4_P12ihipStream_tbEUlT_E0_NS1_11comp_targetILNS1_3genE4ELNS1_11target_archE910ELNS1_3gpuE8ELNS1_3repE0EEENS1_30default_config_static_selectorELNS0_4arch9wavefront6targetE0EEEvS14_.uses_vcc, 0
	.set _ZN7rocprim17ROCPRIM_400000_NS6detail17trampoline_kernelINS0_14default_configENS1_22reduce_config_selectorIN6thrust23THRUST_200600_302600_NS5tupleIblNS6_9null_typeES8_S8_S8_S8_S8_S8_S8_EEEEZNS1_11reduce_implILb1ES3_NS6_12zip_iteratorINS7_INS6_11hip_rocprim26transform_input_iterator_tIbNSD_35transform_pair_of_input_iterators_tIbNS6_6detail15normal_iteratorINS6_10device_ptrIKfEEEESL_NS6_8equal_toIfEEEENSG_9not_fun_tINSD_8identityEEEEENSD_19counting_iterator_tIlEES8_S8_S8_S8_S8_S8_S8_S8_EEEEPS9_S9_NSD_9__find_if7functorIS9_EEEE10hipError_tPvRmT1_T2_T3_mT4_P12ihipStream_tbEUlT_E0_NS1_11comp_targetILNS1_3genE4ELNS1_11target_archE910ELNS1_3gpuE8ELNS1_3repE0EEENS1_30default_config_static_selectorELNS0_4arch9wavefront6targetE0EEEvS14_.uses_flat_scratch, 0
	.set _ZN7rocprim17ROCPRIM_400000_NS6detail17trampoline_kernelINS0_14default_configENS1_22reduce_config_selectorIN6thrust23THRUST_200600_302600_NS5tupleIblNS6_9null_typeES8_S8_S8_S8_S8_S8_S8_EEEEZNS1_11reduce_implILb1ES3_NS6_12zip_iteratorINS7_INS6_11hip_rocprim26transform_input_iterator_tIbNSD_35transform_pair_of_input_iterators_tIbNS6_6detail15normal_iteratorINS6_10device_ptrIKfEEEESL_NS6_8equal_toIfEEEENSG_9not_fun_tINSD_8identityEEEEENSD_19counting_iterator_tIlEES8_S8_S8_S8_S8_S8_S8_S8_EEEEPS9_S9_NSD_9__find_if7functorIS9_EEEE10hipError_tPvRmT1_T2_T3_mT4_P12ihipStream_tbEUlT_E0_NS1_11comp_targetILNS1_3genE4ELNS1_11target_archE910ELNS1_3gpuE8ELNS1_3repE0EEENS1_30default_config_static_selectorELNS0_4arch9wavefront6targetE0EEEvS14_.has_dyn_sized_stack, 0
	.set _ZN7rocprim17ROCPRIM_400000_NS6detail17trampoline_kernelINS0_14default_configENS1_22reduce_config_selectorIN6thrust23THRUST_200600_302600_NS5tupleIblNS6_9null_typeES8_S8_S8_S8_S8_S8_S8_EEEEZNS1_11reduce_implILb1ES3_NS6_12zip_iteratorINS7_INS6_11hip_rocprim26transform_input_iterator_tIbNSD_35transform_pair_of_input_iterators_tIbNS6_6detail15normal_iteratorINS6_10device_ptrIKfEEEESL_NS6_8equal_toIfEEEENSG_9not_fun_tINSD_8identityEEEEENSD_19counting_iterator_tIlEES8_S8_S8_S8_S8_S8_S8_S8_EEEEPS9_S9_NSD_9__find_if7functorIS9_EEEE10hipError_tPvRmT1_T2_T3_mT4_P12ihipStream_tbEUlT_E0_NS1_11comp_targetILNS1_3genE4ELNS1_11target_archE910ELNS1_3gpuE8ELNS1_3repE0EEENS1_30default_config_static_selectorELNS0_4arch9wavefront6targetE0EEEvS14_.has_recursion, 0
	.set _ZN7rocprim17ROCPRIM_400000_NS6detail17trampoline_kernelINS0_14default_configENS1_22reduce_config_selectorIN6thrust23THRUST_200600_302600_NS5tupleIblNS6_9null_typeES8_S8_S8_S8_S8_S8_S8_EEEEZNS1_11reduce_implILb1ES3_NS6_12zip_iteratorINS7_INS6_11hip_rocprim26transform_input_iterator_tIbNSD_35transform_pair_of_input_iterators_tIbNS6_6detail15normal_iteratorINS6_10device_ptrIKfEEEESL_NS6_8equal_toIfEEEENSG_9not_fun_tINSD_8identityEEEEENSD_19counting_iterator_tIlEES8_S8_S8_S8_S8_S8_S8_S8_EEEEPS9_S9_NSD_9__find_if7functorIS9_EEEE10hipError_tPvRmT1_T2_T3_mT4_P12ihipStream_tbEUlT_E0_NS1_11comp_targetILNS1_3genE4ELNS1_11target_archE910ELNS1_3gpuE8ELNS1_3repE0EEENS1_30default_config_static_selectorELNS0_4arch9wavefront6targetE0EEEvS14_.has_indirect_call, 0
	.section	.AMDGPU.csdata,"",@progbits
; Kernel info:
; codeLenInByte = 0
; TotalNumSgprs: 0
; NumVgprs: 0
; ScratchSize: 0
; MemoryBound: 0
; FloatMode: 240
; IeeeMode: 1
; LDSByteSize: 0 bytes/workgroup (compile time only)
; SGPRBlocks: 0
; VGPRBlocks: 0
; NumSGPRsForWavesPerEU: 1
; NumVGPRsForWavesPerEU: 1
; Occupancy: 16
; WaveLimiterHint : 0
; COMPUTE_PGM_RSRC2:SCRATCH_EN: 0
; COMPUTE_PGM_RSRC2:USER_SGPR: 6
; COMPUTE_PGM_RSRC2:TRAP_HANDLER: 0
; COMPUTE_PGM_RSRC2:TGID_X_EN: 1
; COMPUTE_PGM_RSRC2:TGID_Y_EN: 0
; COMPUTE_PGM_RSRC2:TGID_Z_EN: 0
; COMPUTE_PGM_RSRC2:TIDIG_COMP_CNT: 0
	.section	.text._ZN7rocprim17ROCPRIM_400000_NS6detail17trampoline_kernelINS0_14default_configENS1_22reduce_config_selectorIN6thrust23THRUST_200600_302600_NS5tupleIblNS6_9null_typeES8_S8_S8_S8_S8_S8_S8_EEEEZNS1_11reduce_implILb1ES3_NS6_12zip_iteratorINS7_INS6_11hip_rocprim26transform_input_iterator_tIbNSD_35transform_pair_of_input_iterators_tIbNS6_6detail15normal_iteratorINS6_10device_ptrIKfEEEESL_NS6_8equal_toIfEEEENSG_9not_fun_tINSD_8identityEEEEENSD_19counting_iterator_tIlEES8_S8_S8_S8_S8_S8_S8_S8_EEEEPS9_S9_NSD_9__find_if7functorIS9_EEEE10hipError_tPvRmT1_T2_T3_mT4_P12ihipStream_tbEUlT_E0_NS1_11comp_targetILNS1_3genE3ELNS1_11target_archE908ELNS1_3gpuE7ELNS1_3repE0EEENS1_30default_config_static_selectorELNS0_4arch9wavefront6targetE0EEEvS14_,"axG",@progbits,_ZN7rocprim17ROCPRIM_400000_NS6detail17trampoline_kernelINS0_14default_configENS1_22reduce_config_selectorIN6thrust23THRUST_200600_302600_NS5tupleIblNS6_9null_typeES8_S8_S8_S8_S8_S8_S8_EEEEZNS1_11reduce_implILb1ES3_NS6_12zip_iteratorINS7_INS6_11hip_rocprim26transform_input_iterator_tIbNSD_35transform_pair_of_input_iterators_tIbNS6_6detail15normal_iteratorINS6_10device_ptrIKfEEEESL_NS6_8equal_toIfEEEENSG_9not_fun_tINSD_8identityEEEEENSD_19counting_iterator_tIlEES8_S8_S8_S8_S8_S8_S8_S8_EEEEPS9_S9_NSD_9__find_if7functorIS9_EEEE10hipError_tPvRmT1_T2_T3_mT4_P12ihipStream_tbEUlT_E0_NS1_11comp_targetILNS1_3genE3ELNS1_11target_archE908ELNS1_3gpuE7ELNS1_3repE0EEENS1_30default_config_static_selectorELNS0_4arch9wavefront6targetE0EEEvS14_,comdat
	.protected	_ZN7rocprim17ROCPRIM_400000_NS6detail17trampoline_kernelINS0_14default_configENS1_22reduce_config_selectorIN6thrust23THRUST_200600_302600_NS5tupleIblNS6_9null_typeES8_S8_S8_S8_S8_S8_S8_EEEEZNS1_11reduce_implILb1ES3_NS6_12zip_iteratorINS7_INS6_11hip_rocprim26transform_input_iterator_tIbNSD_35transform_pair_of_input_iterators_tIbNS6_6detail15normal_iteratorINS6_10device_ptrIKfEEEESL_NS6_8equal_toIfEEEENSG_9not_fun_tINSD_8identityEEEEENSD_19counting_iterator_tIlEES8_S8_S8_S8_S8_S8_S8_S8_EEEEPS9_S9_NSD_9__find_if7functorIS9_EEEE10hipError_tPvRmT1_T2_T3_mT4_P12ihipStream_tbEUlT_E0_NS1_11comp_targetILNS1_3genE3ELNS1_11target_archE908ELNS1_3gpuE7ELNS1_3repE0EEENS1_30default_config_static_selectorELNS0_4arch9wavefront6targetE0EEEvS14_ ; -- Begin function _ZN7rocprim17ROCPRIM_400000_NS6detail17trampoline_kernelINS0_14default_configENS1_22reduce_config_selectorIN6thrust23THRUST_200600_302600_NS5tupleIblNS6_9null_typeES8_S8_S8_S8_S8_S8_S8_EEEEZNS1_11reduce_implILb1ES3_NS6_12zip_iteratorINS7_INS6_11hip_rocprim26transform_input_iterator_tIbNSD_35transform_pair_of_input_iterators_tIbNS6_6detail15normal_iteratorINS6_10device_ptrIKfEEEESL_NS6_8equal_toIfEEEENSG_9not_fun_tINSD_8identityEEEEENSD_19counting_iterator_tIlEES8_S8_S8_S8_S8_S8_S8_S8_EEEEPS9_S9_NSD_9__find_if7functorIS9_EEEE10hipError_tPvRmT1_T2_T3_mT4_P12ihipStream_tbEUlT_E0_NS1_11comp_targetILNS1_3genE3ELNS1_11target_archE908ELNS1_3gpuE7ELNS1_3repE0EEENS1_30default_config_static_selectorELNS0_4arch9wavefront6targetE0EEEvS14_
	.globl	_ZN7rocprim17ROCPRIM_400000_NS6detail17trampoline_kernelINS0_14default_configENS1_22reduce_config_selectorIN6thrust23THRUST_200600_302600_NS5tupleIblNS6_9null_typeES8_S8_S8_S8_S8_S8_S8_EEEEZNS1_11reduce_implILb1ES3_NS6_12zip_iteratorINS7_INS6_11hip_rocprim26transform_input_iterator_tIbNSD_35transform_pair_of_input_iterators_tIbNS6_6detail15normal_iteratorINS6_10device_ptrIKfEEEESL_NS6_8equal_toIfEEEENSG_9not_fun_tINSD_8identityEEEEENSD_19counting_iterator_tIlEES8_S8_S8_S8_S8_S8_S8_S8_EEEEPS9_S9_NSD_9__find_if7functorIS9_EEEE10hipError_tPvRmT1_T2_T3_mT4_P12ihipStream_tbEUlT_E0_NS1_11comp_targetILNS1_3genE3ELNS1_11target_archE908ELNS1_3gpuE7ELNS1_3repE0EEENS1_30default_config_static_selectorELNS0_4arch9wavefront6targetE0EEEvS14_
	.p2align	8
	.type	_ZN7rocprim17ROCPRIM_400000_NS6detail17trampoline_kernelINS0_14default_configENS1_22reduce_config_selectorIN6thrust23THRUST_200600_302600_NS5tupleIblNS6_9null_typeES8_S8_S8_S8_S8_S8_S8_EEEEZNS1_11reduce_implILb1ES3_NS6_12zip_iteratorINS7_INS6_11hip_rocprim26transform_input_iterator_tIbNSD_35transform_pair_of_input_iterators_tIbNS6_6detail15normal_iteratorINS6_10device_ptrIKfEEEESL_NS6_8equal_toIfEEEENSG_9not_fun_tINSD_8identityEEEEENSD_19counting_iterator_tIlEES8_S8_S8_S8_S8_S8_S8_S8_EEEEPS9_S9_NSD_9__find_if7functorIS9_EEEE10hipError_tPvRmT1_T2_T3_mT4_P12ihipStream_tbEUlT_E0_NS1_11comp_targetILNS1_3genE3ELNS1_11target_archE908ELNS1_3gpuE7ELNS1_3repE0EEENS1_30default_config_static_selectorELNS0_4arch9wavefront6targetE0EEEvS14_,@function
_ZN7rocprim17ROCPRIM_400000_NS6detail17trampoline_kernelINS0_14default_configENS1_22reduce_config_selectorIN6thrust23THRUST_200600_302600_NS5tupleIblNS6_9null_typeES8_S8_S8_S8_S8_S8_S8_EEEEZNS1_11reduce_implILb1ES3_NS6_12zip_iteratorINS7_INS6_11hip_rocprim26transform_input_iterator_tIbNSD_35transform_pair_of_input_iterators_tIbNS6_6detail15normal_iteratorINS6_10device_ptrIKfEEEESL_NS6_8equal_toIfEEEENSG_9not_fun_tINSD_8identityEEEEENSD_19counting_iterator_tIlEES8_S8_S8_S8_S8_S8_S8_S8_EEEEPS9_S9_NSD_9__find_if7functorIS9_EEEE10hipError_tPvRmT1_T2_T3_mT4_P12ihipStream_tbEUlT_E0_NS1_11comp_targetILNS1_3genE3ELNS1_11target_archE908ELNS1_3gpuE7ELNS1_3repE0EEENS1_30default_config_static_selectorELNS0_4arch9wavefront6targetE0EEEvS14_: ; @_ZN7rocprim17ROCPRIM_400000_NS6detail17trampoline_kernelINS0_14default_configENS1_22reduce_config_selectorIN6thrust23THRUST_200600_302600_NS5tupleIblNS6_9null_typeES8_S8_S8_S8_S8_S8_S8_EEEEZNS1_11reduce_implILb1ES3_NS6_12zip_iteratorINS7_INS6_11hip_rocprim26transform_input_iterator_tIbNSD_35transform_pair_of_input_iterators_tIbNS6_6detail15normal_iteratorINS6_10device_ptrIKfEEEESL_NS6_8equal_toIfEEEENSG_9not_fun_tINSD_8identityEEEEENSD_19counting_iterator_tIlEES8_S8_S8_S8_S8_S8_S8_S8_EEEEPS9_S9_NSD_9__find_if7functorIS9_EEEE10hipError_tPvRmT1_T2_T3_mT4_P12ihipStream_tbEUlT_E0_NS1_11comp_targetILNS1_3genE3ELNS1_11target_archE908ELNS1_3gpuE7ELNS1_3repE0EEENS1_30default_config_static_selectorELNS0_4arch9wavefront6targetE0EEEvS14_
; %bb.0:
	.section	.rodata,"a",@progbits
	.p2align	6, 0x0
	.amdhsa_kernel _ZN7rocprim17ROCPRIM_400000_NS6detail17trampoline_kernelINS0_14default_configENS1_22reduce_config_selectorIN6thrust23THRUST_200600_302600_NS5tupleIblNS6_9null_typeES8_S8_S8_S8_S8_S8_S8_EEEEZNS1_11reduce_implILb1ES3_NS6_12zip_iteratorINS7_INS6_11hip_rocprim26transform_input_iterator_tIbNSD_35transform_pair_of_input_iterators_tIbNS6_6detail15normal_iteratorINS6_10device_ptrIKfEEEESL_NS6_8equal_toIfEEEENSG_9not_fun_tINSD_8identityEEEEENSD_19counting_iterator_tIlEES8_S8_S8_S8_S8_S8_S8_S8_EEEEPS9_S9_NSD_9__find_if7functorIS9_EEEE10hipError_tPvRmT1_T2_T3_mT4_P12ihipStream_tbEUlT_E0_NS1_11comp_targetILNS1_3genE3ELNS1_11target_archE908ELNS1_3gpuE7ELNS1_3repE0EEENS1_30default_config_static_selectorELNS0_4arch9wavefront6targetE0EEEvS14_
		.amdhsa_group_segment_fixed_size 0
		.amdhsa_private_segment_fixed_size 0
		.amdhsa_kernarg_size 104
		.amdhsa_user_sgpr_count 6
		.amdhsa_user_sgpr_private_segment_buffer 1
		.amdhsa_user_sgpr_dispatch_ptr 0
		.amdhsa_user_sgpr_queue_ptr 0
		.amdhsa_user_sgpr_kernarg_segment_ptr 1
		.amdhsa_user_sgpr_dispatch_id 0
		.amdhsa_user_sgpr_flat_scratch_init 0
		.amdhsa_user_sgpr_private_segment_size 0
		.amdhsa_wavefront_size32 1
		.amdhsa_uses_dynamic_stack 0
		.amdhsa_system_sgpr_private_segment_wavefront_offset 0
		.amdhsa_system_sgpr_workgroup_id_x 1
		.amdhsa_system_sgpr_workgroup_id_y 0
		.amdhsa_system_sgpr_workgroup_id_z 0
		.amdhsa_system_sgpr_workgroup_info 0
		.amdhsa_system_vgpr_workitem_id 0
		.amdhsa_next_free_vgpr 1
		.amdhsa_next_free_sgpr 1
		.amdhsa_reserve_vcc 0
		.amdhsa_reserve_flat_scratch 0
		.amdhsa_float_round_mode_32 0
		.amdhsa_float_round_mode_16_64 0
		.amdhsa_float_denorm_mode_32 3
		.amdhsa_float_denorm_mode_16_64 3
		.amdhsa_dx10_clamp 1
		.amdhsa_ieee_mode 1
		.amdhsa_fp16_overflow 0
		.amdhsa_workgroup_processor_mode 1
		.amdhsa_memory_ordered 1
		.amdhsa_forward_progress 1
		.amdhsa_shared_vgpr_count 0
		.amdhsa_exception_fp_ieee_invalid_op 0
		.amdhsa_exception_fp_denorm_src 0
		.amdhsa_exception_fp_ieee_div_zero 0
		.amdhsa_exception_fp_ieee_overflow 0
		.amdhsa_exception_fp_ieee_underflow 0
		.amdhsa_exception_fp_ieee_inexact 0
		.amdhsa_exception_int_div_zero 0
	.end_amdhsa_kernel
	.section	.text._ZN7rocprim17ROCPRIM_400000_NS6detail17trampoline_kernelINS0_14default_configENS1_22reduce_config_selectorIN6thrust23THRUST_200600_302600_NS5tupleIblNS6_9null_typeES8_S8_S8_S8_S8_S8_S8_EEEEZNS1_11reduce_implILb1ES3_NS6_12zip_iteratorINS7_INS6_11hip_rocprim26transform_input_iterator_tIbNSD_35transform_pair_of_input_iterators_tIbNS6_6detail15normal_iteratorINS6_10device_ptrIKfEEEESL_NS6_8equal_toIfEEEENSG_9not_fun_tINSD_8identityEEEEENSD_19counting_iterator_tIlEES8_S8_S8_S8_S8_S8_S8_S8_EEEEPS9_S9_NSD_9__find_if7functorIS9_EEEE10hipError_tPvRmT1_T2_T3_mT4_P12ihipStream_tbEUlT_E0_NS1_11comp_targetILNS1_3genE3ELNS1_11target_archE908ELNS1_3gpuE7ELNS1_3repE0EEENS1_30default_config_static_selectorELNS0_4arch9wavefront6targetE0EEEvS14_,"axG",@progbits,_ZN7rocprim17ROCPRIM_400000_NS6detail17trampoline_kernelINS0_14default_configENS1_22reduce_config_selectorIN6thrust23THRUST_200600_302600_NS5tupleIblNS6_9null_typeES8_S8_S8_S8_S8_S8_S8_EEEEZNS1_11reduce_implILb1ES3_NS6_12zip_iteratorINS7_INS6_11hip_rocprim26transform_input_iterator_tIbNSD_35transform_pair_of_input_iterators_tIbNS6_6detail15normal_iteratorINS6_10device_ptrIKfEEEESL_NS6_8equal_toIfEEEENSG_9not_fun_tINSD_8identityEEEEENSD_19counting_iterator_tIlEES8_S8_S8_S8_S8_S8_S8_S8_EEEEPS9_S9_NSD_9__find_if7functorIS9_EEEE10hipError_tPvRmT1_T2_T3_mT4_P12ihipStream_tbEUlT_E0_NS1_11comp_targetILNS1_3genE3ELNS1_11target_archE908ELNS1_3gpuE7ELNS1_3repE0EEENS1_30default_config_static_selectorELNS0_4arch9wavefront6targetE0EEEvS14_,comdat
.Lfunc_end80:
	.size	_ZN7rocprim17ROCPRIM_400000_NS6detail17trampoline_kernelINS0_14default_configENS1_22reduce_config_selectorIN6thrust23THRUST_200600_302600_NS5tupleIblNS6_9null_typeES8_S8_S8_S8_S8_S8_S8_EEEEZNS1_11reduce_implILb1ES3_NS6_12zip_iteratorINS7_INS6_11hip_rocprim26transform_input_iterator_tIbNSD_35transform_pair_of_input_iterators_tIbNS6_6detail15normal_iteratorINS6_10device_ptrIKfEEEESL_NS6_8equal_toIfEEEENSG_9not_fun_tINSD_8identityEEEEENSD_19counting_iterator_tIlEES8_S8_S8_S8_S8_S8_S8_S8_EEEEPS9_S9_NSD_9__find_if7functorIS9_EEEE10hipError_tPvRmT1_T2_T3_mT4_P12ihipStream_tbEUlT_E0_NS1_11comp_targetILNS1_3genE3ELNS1_11target_archE908ELNS1_3gpuE7ELNS1_3repE0EEENS1_30default_config_static_selectorELNS0_4arch9wavefront6targetE0EEEvS14_, .Lfunc_end80-_ZN7rocprim17ROCPRIM_400000_NS6detail17trampoline_kernelINS0_14default_configENS1_22reduce_config_selectorIN6thrust23THRUST_200600_302600_NS5tupleIblNS6_9null_typeES8_S8_S8_S8_S8_S8_S8_EEEEZNS1_11reduce_implILb1ES3_NS6_12zip_iteratorINS7_INS6_11hip_rocprim26transform_input_iterator_tIbNSD_35transform_pair_of_input_iterators_tIbNS6_6detail15normal_iteratorINS6_10device_ptrIKfEEEESL_NS6_8equal_toIfEEEENSG_9not_fun_tINSD_8identityEEEEENSD_19counting_iterator_tIlEES8_S8_S8_S8_S8_S8_S8_S8_EEEEPS9_S9_NSD_9__find_if7functorIS9_EEEE10hipError_tPvRmT1_T2_T3_mT4_P12ihipStream_tbEUlT_E0_NS1_11comp_targetILNS1_3genE3ELNS1_11target_archE908ELNS1_3gpuE7ELNS1_3repE0EEENS1_30default_config_static_selectorELNS0_4arch9wavefront6targetE0EEEvS14_
                                        ; -- End function
	.set _ZN7rocprim17ROCPRIM_400000_NS6detail17trampoline_kernelINS0_14default_configENS1_22reduce_config_selectorIN6thrust23THRUST_200600_302600_NS5tupleIblNS6_9null_typeES8_S8_S8_S8_S8_S8_S8_EEEEZNS1_11reduce_implILb1ES3_NS6_12zip_iteratorINS7_INS6_11hip_rocprim26transform_input_iterator_tIbNSD_35transform_pair_of_input_iterators_tIbNS6_6detail15normal_iteratorINS6_10device_ptrIKfEEEESL_NS6_8equal_toIfEEEENSG_9not_fun_tINSD_8identityEEEEENSD_19counting_iterator_tIlEES8_S8_S8_S8_S8_S8_S8_S8_EEEEPS9_S9_NSD_9__find_if7functorIS9_EEEE10hipError_tPvRmT1_T2_T3_mT4_P12ihipStream_tbEUlT_E0_NS1_11comp_targetILNS1_3genE3ELNS1_11target_archE908ELNS1_3gpuE7ELNS1_3repE0EEENS1_30default_config_static_selectorELNS0_4arch9wavefront6targetE0EEEvS14_.num_vgpr, 0
	.set _ZN7rocprim17ROCPRIM_400000_NS6detail17trampoline_kernelINS0_14default_configENS1_22reduce_config_selectorIN6thrust23THRUST_200600_302600_NS5tupleIblNS6_9null_typeES8_S8_S8_S8_S8_S8_S8_EEEEZNS1_11reduce_implILb1ES3_NS6_12zip_iteratorINS7_INS6_11hip_rocprim26transform_input_iterator_tIbNSD_35transform_pair_of_input_iterators_tIbNS6_6detail15normal_iteratorINS6_10device_ptrIKfEEEESL_NS6_8equal_toIfEEEENSG_9not_fun_tINSD_8identityEEEEENSD_19counting_iterator_tIlEES8_S8_S8_S8_S8_S8_S8_S8_EEEEPS9_S9_NSD_9__find_if7functorIS9_EEEE10hipError_tPvRmT1_T2_T3_mT4_P12ihipStream_tbEUlT_E0_NS1_11comp_targetILNS1_3genE3ELNS1_11target_archE908ELNS1_3gpuE7ELNS1_3repE0EEENS1_30default_config_static_selectorELNS0_4arch9wavefront6targetE0EEEvS14_.num_agpr, 0
	.set _ZN7rocprim17ROCPRIM_400000_NS6detail17trampoline_kernelINS0_14default_configENS1_22reduce_config_selectorIN6thrust23THRUST_200600_302600_NS5tupleIblNS6_9null_typeES8_S8_S8_S8_S8_S8_S8_EEEEZNS1_11reduce_implILb1ES3_NS6_12zip_iteratorINS7_INS6_11hip_rocprim26transform_input_iterator_tIbNSD_35transform_pair_of_input_iterators_tIbNS6_6detail15normal_iteratorINS6_10device_ptrIKfEEEESL_NS6_8equal_toIfEEEENSG_9not_fun_tINSD_8identityEEEEENSD_19counting_iterator_tIlEES8_S8_S8_S8_S8_S8_S8_S8_EEEEPS9_S9_NSD_9__find_if7functorIS9_EEEE10hipError_tPvRmT1_T2_T3_mT4_P12ihipStream_tbEUlT_E0_NS1_11comp_targetILNS1_3genE3ELNS1_11target_archE908ELNS1_3gpuE7ELNS1_3repE0EEENS1_30default_config_static_selectorELNS0_4arch9wavefront6targetE0EEEvS14_.numbered_sgpr, 0
	.set _ZN7rocprim17ROCPRIM_400000_NS6detail17trampoline_kernelINS0_14default_configENS1_22reduce_config_selectorIN6thrust23THRUST_200600_302600_NS5tupleIblNS6_9null_typeES8_S8_S8_S8_S8_S8_S8_EEEEZNS1_11reduce_implILb1ES3_NS6_12zip_iteratorINS7_INS6_11hip_rocprim26transform_input_iterator_tIbNSD_35transform_pair_of_input_iterators_tIbNS6_6detail15normal_iteratorINS6_10device_ptrIKfEEEESL_NS6_8equal_toIfEEEENSG_9not_fun_tINSD_8identityEEEEENSD_19counting_iterator_tIlEES8_S8_S8_S8_S8_S8_S8_S8_EEEEPS9_S9_NSD_9__find_if7functorIS9_EEEE10hipError_tPvRmT1_T2_T3_mT4_P12ihipStream_tbEUlT_E0_NS1_11comp_targetILNS1_3genE3ELNS1_11target_archE908ELNS1_3gpuE7ELNS1_3repE0EEENS1_30default_config_static_selectorELNS0_4arch9wavefront6targetE0EEEvS14_.num_named_barrier, 0
	.set _ZN7rocprim17ROCPRIM_400000_NS6detail17trampoline_kernelINS0_14default_configENS1_22reduce_config_selectorIN6thrust23THRUST_200600_302600_NS5tupleIblNS6_9null_typeES8_S8_S8_S8_S8_S8_S8_EEEEZNS1_11reduce_implILb1ES3_NS6_12zip_iteratorINS7_INS6_11hip_rocprim26transform_input_iterator_tIbNSD_35transform_pair_of_input_iterators_tIbNS6_6detail15normal_iteratorINS6_10device_ptrIKfEEEESL_NS6_8equal_toIfEEEENSG_9not_fun_tINSD_8identityEEEEENSD_19counting_iterator_tIlEES8_S8_S8_S8_S8_S8_S8_S8_EEEEPS9_S9_NSD_9__find_if7functorIS9_EEEE10hipError_tPvRmT1_T2_T3_mT4_P12ihipStream_tbEUlT_E0_NS1_11comp_targetILNS1_3genE3ELNS1_11target_archE908ELNS1_3gpuE7ELNS1_3repE0EEENS1_30default_config_static_selectorELNS0_4arch9wavefront6targetE0EEEvS14_.private_seg_size, 0
	.set _ZN7rocprim17ROCPRIM_400000_NS6detail17trampoline_kernelINS0_14default_configENS1_22reduce_config_selectorIN6thrust23THRUST_200600_302600_NS5tupleIblNS6_9null_typeES8_S8_S8_S8_S8_S8_S8_EEEEZNS1_11reduce_implILb1ES3_NS6_12zip_iteratorINS7_INS6_11hip_rocprim26transform_input_iterator_tIbNSD_35transform_pair_of_input_iterators_tIbNS6_6detail15normal_iteratorINS6_10device_ptrIKfEEEESL_NS6_8equal_toIfEEEENSG_9not_fun_tINSD_8identityEEEEENSD_19counting_iterator_tIlEES8_S8_S8_S8_S8_S8_S8_S8_EEEEPS9_S9_NSD_9__find_if7functorIS9_EEEE10hipError_tPvRmT1_T2_T3_mT4_P12ihipStream_tbEUlT_E0_NS1_11comp_targetILNS1_3genE3ELNS1_11target_archE908ELNS1_3gpuE7ELNS1_3repE0EEENS1_30default_config_static_selectorELNS0_4arch9wavefront6targetE0EEEvS14_.uses_vcc, 0
	.set _ZN7rocprim17ROCPRIM_400000_NS6detail17trampoline_kernelINS0_14default_configENS1_22reduce_config_selectorIN6thrust23THRUST_200600_302600_NS5tupleIblNS6_9null_typeES8_S8_S8_S8_S8_S8_S8_EEEEZNS1_11reduce_implILb1ES3_NS6_12zip_iteratorINS7_INS6_11hip_rocprim26transform_input_iterator_tIbNSD_35transform_pair_of_input_iterators_tIbNS6_6detail15normal_iteratorINS6_10device_ptrIKfEEEESL_NS6_8equal_toIfEEEENSG_9not_fun_tINSD_8identityEEEEENSD_19counting_iterator_tIlEES8_S8_S8_S8_S8_S8_S8_S8_EEEEPS9_S9_NSD_9__find_if7functorIS9_EEEE10hipError_tPvRmT1_T2_T3_mT4_P12ihipStream_tbEUlT_E0_NS1_11comp_targetILNS1_3genE3ELNS1_11target_archE908ELNS1_3gpuE7ELNS1_3repE0EEENS1_30default_config_static_selectorELNS0_4arch9wavefront6targetE0EEEvS14_.uses_flat_scratch, 0
	.set _ZN7rocprim17ROCPRIM_400000_NS6detail17trampoline_kernelINS0_14default_configENS1_22reduce_config_selectorIN6thrust23THRUST_200600_302600_NS5tupleIblNS6_9null_typeES8_S8_S8_S8_S8_S8_S8_EEEEZNS1_11reduce_implILb1ES3_NS6_12zip_iteratorINS7_INS6_11hip_rocprim26transform_input_iterator_tIbNSD_35transform_pair_of_input_iterators_tIbNS6_6detail15normal_iteratorINS6_10device_ptrIKfEEEESL_NS6_8equal_toIfEEEENSG_9not_fun_tINSD_8identityEEEEENSD_19counting_iterator_tIlEES8_S8_S8_S8_S8_S8_S8_S8_EEEEPS9_S9_NSD_9__find_if7functorIS9_EEEE10hipError_tPvRmT1_T2_T3_mT4_P12ihipStream_tbEUlT_E0_NS1_11comp_targetILNS1_3genE3ELNS1_11target_archE908ELNS1_3gpuE7ELNS1_3repE0EEENS1_30default_config_static_selectorELNS0_4arch9wavefront6targetE0EEEvS14_.has_dyn_sized_stack, 0
	.set _ZN7rocprim17ROCPRIM_400000_NS6detail17trampoline_kernelINS0_14default_configENS1_22reduce_config_selectorIN6thrust23THRUST_200600_302600_NS5tupleIblNS6_9null_typeES8_S8_S8_S8_S8_S8_S8_EEEEZNS1_11reduce_implILb1ES3_NS6_12zip_iteratorINS7_INS6_11hip_rocprim26transform_input_iterator_tIbNSD_35transform_pair_of_input_iterators_tIbNS6_6detail15normal_iteratorINS6_10device_ptrIKfEEEESL_NS6_8equal_toIfEEEENSG_9not_fun_tINSD_8identityEEEEENSD_19counting_iterator_tIlEES8_S8_S8_S8_S8_S8_S8_S8_EEEEPS9_S9_NSD_9__find_if7functorIS9_EEEE10hipError_tPvRmT1_T2_T3_mT4_P12ihipStream_tbEUlT_E0_NS1_11comp_targetILNS1_3genE3ELNS1_11target_archE908ELNS1_3gpuE7ELNS1_3repE0EEENS1_30default_config_static_selectorELNS0_4arch9wavefront6targetE0EEEvS14_.has_recursion, 0
	.set _ZN7rocprim17ROCPRIM_400000_NS6detail17trampoline_kernelINS0_14default_configENS1_22reduce_config_selectorIN6thrust23THRUST_200600_302600_NS5tupleIblNS6_9null_typeES8_S8_S8_S8_S8_S8_S8_EEEEZNS1_11reduce_implILb1ES3_NS6_12zip_iteratorINS7_INS6_11hip_rocprim26transform_input_iterator_tIbNSD_35transform_pair_of_input_iterators_tIbNS6_6detail15normal_iteratorINS6_10device_ptrIKfEEEESL_NS6_8equal_toIfEEEENSG_9not_fun_tINSD_8identityEEEEENSD_19counting_iterator_tIlEES8_S8_S8_S8_S8_S8_S8_S8_EEEEPS9_S9_NSD_9__find_if7functorIS9_EEEE10hipError_tPvRmT1_T2_T3_mT4_P12ihipStream_tbEUlT_E0_NS1_11comp_targetILNS1_3genE3ELNS1_11target_archE908ELNS1_3gpuE7ELNS1_3repE0EEENS1_30default_config_static_selectorELNS0_4arch9wavefront6targetE0EEEvS14_.has_indirect_call, 0
	.section	.AMDGPU.csdata,"",@progbits
; Kernel info:
; codeLenInByte = 0
; TotalNumSgprs: 0
; NumVgprs: 0
; ScratchSize: 0
; MemoryBound: 0
; FloatMode: 240
; IeeeMode: 1
; LDSByteSize: 0 bytes/workgroup (compile time only)
; SGPRBlocks: 0
; VGPRBlocks: 0
; NumSGPRsForWavesPerEU: 1
; NumVGPRsForWavesPerEU: 1
; Occupancy: 16
; WaveLimiterHint : 0
; COMPUTE_PGM_RSRC2:SCRATCH_EN: 0
; COMPUTE_PGM_RSRC2:USER_SGPR: 6
; COMPUTE_PGM_RSRC2:TRAP_HANDLER: 0
; COMPUTE_PGM_RSRC2:TGID_X_EN: 1
; COMPUTE_PGM_RSRC2:TGID_Y_EN: 0
; COMPUTE_PGM_RSRC2:TGID_Z_EN: 0
; COMPUTE_PGM_RSRC2:TIDIG_COMP_CNT: 0
	.section	.text._ZN7rocprim17ROCPRIM_400000_NS6detail17trampoline_kernelINS0_14default_configENS1_22reduce_config_selectorIN6thrust23THRUST_200600_302600_NS5tupleIblNS6_9null_typeES8_S8_S8_S8_S8_S8_S8_EEEEZNS1_11reduce_implILb1ES3_NS6_12zip_iteratorINS7_INS6_11hip_rocprim26transform_input_iterator_tIbNSD_35transform_pair_of_input_iterators_tIbNS6_6detail15normal_iteratorINS6_10device_ptrIKfEEEESL_NS6_8equal_toIfEEEENSG_9not_fun_tINSD_8identityEEEEENSD_19counting_iterator_tIlEES8_S8_S8_S8_S8_S8_S8_S8_EEEEPS9_S9_NSD_9__find_if7functorIS9_EEEE10hipError_tPvRmT1_T2_T3_mT4_P12ihipStream_tbEUlT_E0_NS1_11comp_targetILNS1_3genE2ELNS1_11target_archE906ELNS1_3gpuE6ELNS1_3repE0EEENS1_30default_config_static_selectorELNS0_4arch9wavefront6targetE0EEEvS14_,"axG",@progbits,_ZN7rocprim17ROCPRIM_400000_NS6detail17trampoline_kernelINS0_14default_configENS1_22reduce_config_selectorIN6thrust23THRUST_200600_302600_NS5tupleIblNS6_9null_typeES8_S8_S8_S8_S8_S8_S8_EEEEZNS1_11reduce_implILb1ES3_NS6_12zip_iteratorINS7_INS6_11hip_rocprim26transform_input_iterator_tIbNSD_35transform_pair_of_input_iterators_tIbNS6_6detail15normal_iteratorINS6_10device_ptrIKfEEEESL_NS6_8equal_toIfEEEENSG_9not_fun_tINSD_8identityEEEEENSD_19counting_iterator_tIlEES8_S8_S8_S8_S8_S8_S8_S8_EEEEPS9_S9_NSD_9__find_if7functorIS9_EEEE10hipError_tPvRmT1_T2_T3_mT4_P12ihipStream_tbEUlT_E0_NS1_11comp_targetILNS1_3genE2ELNS1_11target_archE906ELNS1_3gpuE6ELNS1_3repE0EEENS1_30default_config_static_selectorELNS0_4arch9wavefront6targetE0EEEvS14_,comdat
	.protected	_ZN7rocprim17ROCPRIM_400000_NS6detail17trampoline_kernelINS0_14default_configENS1_22reduce_config_selectorIN6thrust23THRUST_200600_302600_NS5tupleIblNS6_9null_typeES8_S8_S8_S8_S8_S8_S8_EEEEZNS1_11reduce_implILb1ES3_NS6_12zip_iteratorINS7_INS6_11hip_rocprim26transform_input_iterator_tIbNSD_35transform_pair_of_input_iterators_tIbNS6_6detail15normal_iteratorINS6_10device_ptrIKfEEEESL_NS6_8equal_toIfEEEENSG_9not_fun_tINSD_8identityEEEEENSD_19counting_iterator_tIlEES8_S8_S8_S8_S8_S8_S8_S8_EEEEPS9_S9_NSD_9__find_if7functorIS9_EEEE10hipError_tPvRmT1_T2_T3_mT4_P12ihipStream_tbEUlT_E0_NS1_11comp_targetILNS1_3genE2ELNS1_11target_archE906ELNS1_3gpuE6ELNS1_3repE0EEENS1_30default_config_static_selectorELNS0_4arch9wavefront6targetE0EEEvS14_ ; -- Begin function _ZN7rocprim17ROCPRIM_400000_NS6detail17trampoline_kernelINS0_14default_configENS1_22reduce_config_selectorIN6thrust23THRUST_200600_302600_NS5tupleIblNS6_9null_typeES8_S8_S8_S8_S8_S8_S8_EEEEZNS1_11reduce_implILb1ES3_NS6_12zip_iteratorINS7_INS6_11hip_rocprim26transform_input_iterator_tIbNSD_35transform_pair_of_input_iterators_tIbNS6_6detail15normal_iteratorINS6_10device_ptrIKfEEEESL_NS6_8equal_toIfEEEENSG_9not_fun_tINSD_8identityEEEEENSD_19counting_iterator_tIlEES8_S8_S8_S8_S8_S8_S8_S8_EEEEPS9_S9_NSD_9__find_if7functorIS9_EEEE10hipError_tPvRmT1_T2_T3_mT4_P12ihipStream_tbEUlT_E0_NS1_11comp_targetILNS1_3genE2ELNS1_11target_archE906ELNS1_3gpuE6ELNS1_3repE0EEENS1_30default_config_static_selectorELNS0_4arch9wavefront6targetE0EEEvS14_
	.globl	_ZN7rocprim17ROCPRIM_400000_NS6detail17trampoline_kernelINS0_14default_configENS1_22reduce_config_selectorIN6thrust23THRUST_200600_302600_NS5tupleIblNS6_9null_typeES8_S8_S8_S8_S8_S8_S8_EEEEZNS1_11reduce_implILb1ES3_NS6_12zip_iteratorINS7_INS6_11hip_rocprim26transform_input_iterator_tIbNSD_35transform_pair_of_input_iterators_tIbNS6_6detail15normal_iteratorINS6_10device_ptrIKfEEEESL_NS6_8equal_toIfEEEENSG_9not_fun_tINSD_8identityEEEEENSD_19counting_iterator_tIlEES8_S8_S8_S8_S8_S8_S8_S8_EEEEPS9_S9_NSD_9__find_if7functorIS9_EEEE10hipError_tPvRmT1_T2_T3_mT4_P12ihipStream_tbEUlT_E0_NS1_11comp_targetILNS1_3genE2ELNS1_11target_archE906ELNS1_3gpuE6ELNS1_3repE0EEENS1_30default_config_static_selectorELNS0_4arch9wavefront6targetE0EEEvS14_
	.p2align	8
	.type	_ZN7rocprim17ROCPRIM_400000_NS6detail17trampoline_kernelINS0_14default_configENS1_22reduce_config_selectorIN6thrust23THRUST_200600_302600_NS5tupleIblNS6_9null_typeES8_S8_S8_S8_S8_S8_S8_EEEEZNS1_11reduce_implILb1ES3_NS6_12zip_iteratorINS7_INS6_11hip_rocprim26transform_input_iterator_tIbNSD_35transform_pair_of_input_iterators_tIbNS6_6detail15normal_iteratorINS6_10device_ptrIKfEEEESL_NS6_8equal_toIfEEEENSG_9not_fun_tINSD_8identityEEEEENSD_19counting_iterator_tIlEES8_S8_S8_S8_S8_S8_S8_S8_EEEEPS9_S9_NSD_9__find_if7functorIS9_EEEE10hipError_tPvRmT1_T2_T3_mT4_P12ihipStream_tbEUlT_E0_NS1_11comp_targetILNS1_3genE2ELNS1_11target_archE906ELNS1_3gpuE6ELNS1_3repE0EEENS1_30default_config_static_selectorELNS0_4arch9wavefront6targetE0EEEvS14_,@function
_ZN7rocprim17ROCPRIM_400000_NS6detail17trampoline_kernelINS0_14default_configENS1_22reduce_config_selectorIN6thrust23THRUST_200600_302600_NS5tupleIblNS6_9null_typeES8_S8_S8_S8_S8_S8_S8_EEEEZNS1_11reduce_implILb1ES3_NS6_12zip_iteratorINS7_INS6_11hip_rocprim26transform_input_iterator_tIbNSD_35transform_pair_of_input_iterators_tIbNS6_6detail15normal_iteratorINS6_10device_ptrIKfEEEESL_NS6_8equal_toIfEEEENSG_9not_fun_tINSD_8identityEEEEENSD_19counting_iterator_tIlEES8_S8_S8_S8_S8_S8_S8_S8_EEEEPS9_S9_NSD_9__find_if7functorIS9_EEEE10hipError_tPvRmT1_T2_T3_mT4_P12ihipStream_tbEUlT_E0_NS1_11comp_targetILNS1_3genE2ELNS1_11target_archE906ELNS1_3gpuE6ELNS1_3repE0EEENS1_30default_config_static_selectorELNS0_4arch9wavefront6targetE0EEEvS14_: ; @_ZN7rocprim17ROCPRIM_400000_NS6detail17trampoline_kernelINS0_14default_configENS1_22reduce_config_selectorIN6thrust23THRUST_200600_302600_NS5tupleIblNS6_9null_typeES8_S8_S8_S8_S8_S8_S8_EEEEZNS1_11reduce_implILb1ES3_NS6_12zip_iteratorINS7_INS6_11hip_rocprim26transform_input_iterator_tIbNSD_35transform_pair_of_input_iterators_tIbNS6_6detail15normal_iteratorINS6_10device_ptrIKfEEEESL_NS6_8equal_toIfEEEENSG_9not_fun_tINSD_8identityEEEEENSD_19counting_iterator_tIlEES8_S8_S8_S8_S8_S8_S8_S8_EEEEPS9_S9_NSD_9__find_if7functorIS9_EEEE10hipError_tPvRmT1_T2_T3_mT4_P12ihipStream_tbEUlT_E0_NS1_11comp_targetILNS1_3genE2ELNS1_11target_archE906ELNS1_3gpuE6ELNS1_3repE0EEENS1_30default_config_static_selectorELNS0_4arch9wavefront6targetE0EEEvS14_
; %bb.0:
	.section	.rodata,"a",@progbits
	.p2align	6, 0x0
	.amdhsa_kernel _ZN7rocprim17ROCPRIM_400000_NS6detail17trampoline_kernelINS0_14default_configENS1_22reduce_config_selectorIN6thrust23THRUST_200600_302600_NS5tupleIblNS6_9null_typeES8_S8_S8_S8_S8_S8_S8_EEEEZNS1_11reduce_implILb1ES3_NS6_12zip_iteratorINS7_INS6_11hip_rocprim26transform_input_iterator_tIbNSD_35transform_pair_of_input_iterators_tIbNS6_6detail15normal_iteratorINS6_10device_ptrIKfEEEESL_NS6_8equal_toIfEEEENSG_9not_fun_tINSD_8identityEEEEENSD_19counting_iterator_tIlEES8_S8_S8_S8_S8_S8_S8_S8_EEEEPS9_S9_NSD_9__find_if7functorIS9_EEEE10hipError_tPvRmT1_T2_T3_mT4_P12ihipStream_tbEUlT_E0_NS1_11comp_targetILNS1_3genE2ELNS1_11target_archE906ELNS1_3gpuE6ELNS1_3repE0EEENS1_30default_config_static_selectorELNS0_4arch9wavefront6targetE0EEEvS14_
		.amdhsa_group_segment_fixed_size 0
		.amdhsa_private_segment_fixed_size 0
		.amdhsa_kernarg_size 104
		.amdhsa_user_sgpr_count 6
		.amdhsa_user_sgpr_private_segment_buffer 1
		.amdhsa_user_sgpr_dispatch_ptr 0
		.amdhsa_user_sgpr_queue_ptr 0
		.amdhsa_user_sgpr_kernarg_segment_ptr 1
		.amdhsa_user_sgpr_dispatch_id 0
		.amdhsa_user_sgpr_flat_scratch_init 0
		.amdhsa_user_sgpr_private_segment_size 0
		.amdhsa_wavefront_size32 1
		.amdhsa_uses_dynamic_stack 0
		.amdhsa_system_sgpr_private_segment_wavefront_offset 0
		.amdhsa_system_sgpr_workgroup_id_x 1
		.amdhsa_system_sgpr_workgroup_id_y 0
		.amdhsa_system_sgpr_workgroup_id_z 0
		.amdhsa_system_sgpr_workgroup_info 0
		.amdhsa_system_vgpr_workitem_id 0
		.amdhsa_next_free_vgpr 1
		.amdhsa_next_free_sgpr 1
		.amdhsa_reserve_vcc 0
		.amdhsa_reserve_flat_scratch 0
		.amdhsa_float_round_mode_32 0
		.amdhsa_float_round_mode_16_64 0
		.amdhsa_float_denorm_mode_32 3
		.amdhsa_float_denorm_mode_16_64 3
		.amdhsa_dx10_clamp 1
		.amdhsa_ieee_mode 1
		.amdhsa_fp16_overflow 0
		.amdhsa_workgroup_processor_mode 1
		.amdhsa_memory_ordered 1
		.amdhsa_forward_progress 1
		.amdhsa_shared_vgpr_count 0
		.amdhsa_exception_fp_ieee_invalid_op 0
		.amdhsa_exception_fp_denorm_src 0
		.amdhsa_exception_fp_ieee_div_zero 0
		.amdhsa_exception_fp_ieee_overflow 0
		.amdhsa_exception_fp_ieee_underflow 0
		.amdhsa_exception_fp_ieee_inexact 0
		.amdhsa_exception_int_div_zero 0
	.end_amdhsa_kernel
	.section	.text._ZN7rocprim17ROCPRIM_400000_NS6detail17trampoline_kernelINS0_14default_configENS1_22reduce_config_selectorIN6thrust23THRUST_200600_302600_NS5tupleIblNS6_9null_typeES8_S8_S8_S8_S8_S8_S8_EEEEZNS1_11reduce_implILb1ES3_NS6_12zip_iteratorINS7_INS6_11hip_rocprim26transform_input_iterator_tIbNSD_35transform_pair_of_input_iterators_tIbNS6_6detail15normal_iteratorINS6_10device_ptrIKfEEEESL_NS6_8equal_toIfEEEENSG_9not_fun_tINSD_8identityEEEEENSD_19counting_iterator_tIlEES8_S8_S8_S8_S8_S8_S8_S8_EEEEPS9_S9_NSD_9__find_if7functorIS9_EEEE10hipError_tPvRmT1_T2_T3_mT4_P12ihipStream_tbEUlT_E0_NS1_11comp_targetILNS1_3genE2ELNS1_11target_archE906ELNS1_3gpuE6ELNS1_3repE0EEENS1_30default_config_static_selectorELNS0_4arch9wavefront6targetE0EEEvS14_,"axG",@progbits,_ZN7rocprim17ROCPRIM_400000_NS6detail17trampoline_kernelINS0_14default_configENS1_22reduce_config_selectorIN6thrust23THRUST_200600_302600_NS5tupleIblNS6_9null_typeES8_S8_S8_S8_S8_S8_S8_EEEEZNS1_11reduce_implILb1ES3_NS6_12zip_iteratorINS7_INS6_11hip_rocprim26transform_input_iterator_tIbNSD_35transform_pair_of_input_iterators_tIbNS6_6detail15normal_iteratorINS6_10device_ptrIKfEEEESL_NS6_8equal_toIfEEEENSG_9not_fun_tINSD_8identityEEEEENSD_19counting_iterator_tIlEES8_S8_S8_S8_S8_S8_S8_S8_EEEEPS9_S9_NSD_9__find_if7functorIS9_EEEE10hipError_tPvRmT1_T2_T3_mT4_P12ihipStream_tbEUlT_E0_NS1_11comp_targetILNS1_3genE2ELNS1_11target_archE906ELNS1_3gpuE6ELNS1_3repE0EEENS1_30default_config_static_selectorELNS0_4arch9wavefront6targetE0EEEvS14_,comdat
.Lfunc_end81:
	.size	_ZN7rocprim17ROCPRIM_400000_NS6detail17trampoline_kernelINS0_14default_configENS1_22reduce_config_selectorIN6thrust23THRUST_200600_302600_NS5tupleIblNS6_9null_typeES8_S8_S8_S8_S8_S8_S8_EEEEZNS1_11reduce_implILb1ES3_NS6_12zip_iteratorINS7_INS6_11hip_rocprim26transform_input_iterator_tIbNSD_35transform_pair_of_input_iterators_tIbNS6_6detail15normal_iteratorINS6_10device_ptrIKfEEEESL_NS6_8equal_toIfEEEENSG_9not_fun_tINSD_8identityEEEEENSD_19counting_iterator_tIlEES8_S8_S8_S8_S8_S8_S8_S8_EEEEPS9_S9_NSD_9__find_if7functorIS9_EEEE10hipError_tPvRmT1_T2_T3_mT4_P12ihipStream_tbEUlT_E0_NS1_11comp_targetILNS1_3genE2ELNS1_11target_archE906ELNS1_3gpuE6ELNS1_3repE0EEENS1_30default_config_static_selectorELNS0_4arch9wavefront6targetE0EEEvS14_, .Lfunc_end81-_ZN7rocprim17ROCPRIM_400000_NS6detail17trampoline_kernelINS0_14default_configENS1_22reduce_config_selectorIN6thrust23THRUST_200600_302600_NS5tupleIblNS6_9null_typeES8_S8_S8_S8_S8_S8_S8_EEEEZNS1_11reduce_implILb1ES3_NS6_12zip_iteratorINS7_INS6_11hip_rocprim26transform_input_iterator_tIbNSD_35transform_pair_of_input_iterators_tIbNS6_6detail15normal_iteratorINS6_10device_ptrIKfEEEESL_NS6_8equal_toIfEEEENSG_9not_fun_tINSD_8identityEEEEENSD_19counting_iterator_tIlEES8_S8_S8_S8_S8_S8_S8_S8_EEEEPS9_S9_NSD_9__find_if7functorIS9_EEEE10hipError_tPvRmT1_T2_T3_mT4_P12ihipStream_tbEUlT_E0_NS1_11comp_targetILNS1_3genE2ELNS1_11target_archE906ELNS1_3gpuE6ELNS1_3repE0EEENS1_30default_config_static_selectorELNS0_4arch9wavefront6targetE0EEEvS14_
                                        ; -- End function
	.set _ZN7rocprim17ROCPRIM_400000_NS6detail17trampoline_kernelINS0_14default_configENS1_22reduce_config_selectorIN6thrust23THRUST_200600_302600_NS5tupleIblNS6_9null_typeES8_S8_S8_S8_S8_S8_S8_EEEEZNS1_11reduce_implILb1ES3_NS6_12zip_iteratorINS7_INS6_11hip_rocprim26transform_input_iterator_tIbNSD_35transform_pair_of_input_iterators_tIbNS6_6detail15normal_iteratorINS6_10device_ptrIKfEEEESL_NS6_8equal_toIfEEEENSG_9not_fun_tINSD_8identityEEEEENSD_19counting_iterator_tIlEES8_S8_S8_S8_S8_S8_S8_S8_EEEEPS9_S9_NSD_9__find_if7functorIS9_EEEE10hipError_tPvRmT1_T2_T3_mT4_P12ihipStream_tbEUlT_E0_NS1_11comp_targetILNS1_3genE2ELNS1_11target_archE906ELNS1_3gpuE6ELNS1_3repE0EEENS1_30default_config_static_selectorELNS0_4arch9wavefront6targetE0EEEvS14_.num_vgpr, 0
	.set _ZN7rocprim17ROCPRIM_400000_NS6detail17trampoline_kernelINS0_14default_configENS1_22reduce_config_selectorIN6thrust23THRUST_200600_302600_NS5tupleIblNS6_9null_typeES8_S8_S8_S8_S8_S8_S8_EEEEZNS1_11reduce_implILb1ES3_NS6_12zip_iteratorINS7_INS6_11hip_rocprim26transform_input_iterator_tIbNSD_35transform_pair_of_input_iterators_tIbNS6_6detail15normal_iteratorINS6_10device_ptrIKfEEEESL_NS6_8equal_toIfEEEENSG_9not_fun_tINSD_8identityEEEEENSD_19counting_iterator_tIlEES8_S8_S8_S8_S8_S8_S8_S8_EEEEPS9_S9_NSD_9__find_if7functorIS9_EEEE10hipError_tPvRmT1_T2_T3_mT4_P12ihipStream_tbEUlT_E0_NS1_11comp_targetILNS1_3genE2ELNS1_11target_archE906ELNS1_3gpuE6ELNS1_3repE0EEENS1_30default_config_static_selectorELNS0_4arch9wavefront6targetE0EEEvS14_.num_agpr, 0
	.set _ZN7rocprim17ROCPRIM_400000_NS6detail17trampoline_kernelINS0_14default_configENS1_22reduce_config_selectorIN6thrust23THRUST_200600_302600_NS5tupleIblNS6_9null_typeES8_S8_S8_S8_S8_S8_S8_EEEEZNS1_11reduce_implILb1ES3_NS6_12zip_iteratorINS7_INS6_11hip_rocprim26transform_input_iterator_tIbNSD_35transform_pair_of_input_iterators_tIbNS6_6detail15normal_iteratorINS6_10device_ptrIKfEEEESL_NS6_8equal_toIfEEEENSG_9not_fun_tINSD_8identityEEEEENSD_19counting_iterator_tIlEES8_S8_S8_S8_S8_S8_S8_S8_EEEEPS9_S9_NSD_9__find_if7functorIS9_EEEE10hipError_tPvRmT1_T2_T3_mT4_P12ihipStream_tbEUlT_E0_NS1_11comp_targetILNS1_3genE2ELNS1_11target_archE906ELNS1_3gpuE6ELNS1_3repE0EEENS1_30default_config_static_selectorELNS0_4arch9wavefront6targetE0EEEvS14_.numbered_sgpr, 0
	.set _ZN7rocprim17ROCPRIM_400000_NS6detail17trampoline_kernelINS0_14default_configENS1_22reduce_config_selectorIN6thrust23THRUST_200600_302600_NS5tupleIblNS6_9null_typeES8_S8_S8_S8_S8_S8_S8_EEEEZNS1_11reduce_implILb1ES3_NS6_12zip_iteratorINS7_INS6_11hip_rocprim26transform_input_iterator_tIbNSD_35transform_pair_of_input_iterators_tIbNS6_6detail15normal_iteratorINS6_10device_ptrIKfEEEESL_NS6_8equal_toIfEEEENSG_9not_fun_tINSD_8identityEEEEENSD_19counting_iterator_tIlEES8_S8_S8_S8_S8_S8_S8_S8_EEEEPS9_S9_NSD_9__find_if7functorIS9_EEEE10hipError_tPvRmT1_T2_T3_mT4_P12ihipStream_tbEUlT_E0_NS1_11comp_targetILNS1_3genE2ELNS1_11target_archE906ELNS1_3gpuE6ELNS1_3repE0EEENS1_30default_config_static_selectorELNS0_4arch9wavefront6targetE0EEEvS14_.num_named_barrier, 0
	.set _ZN7rocprim17ROCPRIM_400000_NS6detail17trampoline_kernelINS0_14default_configENS1_22reduce_config_selectorIN6thrust23THRUST_200600_302600_NS5tupleIblNS6_9null_typeES8_S8_S8_S8_S8_S8_S8_EEEEZNS1_11reduce_implILb1ES3_NS6_12zip_iteratorINS7_INS6_11hip_rocprim26transform_input_iterator_tIbNSD_35transform_pair_of_input_iterators_tIbNS6_6detail15normal_iteratorINS6_10device_ptrIKfEEEESL_NS6_8equal_toIfEEEENSG_9not_fun_tINSD_8identityEEEEENSD_19counting_iterator_tIlEES8_S8_S8_S8_S8_S8_S8_S8_EEEEPS9_S9_NSD_9__find_if7functorIS9_EEEE10hipError_tPvRmT1_T2_T3_mT4_P12ihipStream_tbEUlT_E0_NS1_11comp_targetILNS1_3genE2ELNS1_11target_archE906ELNS1_3gpuE6ELNS1_3repE0EEENS1_30default_config_static_selectorELNS0_4arch9wavefront6targetE0EEEvS14_.private_seg_size, 0
	.set _ZN7rocprim17ROCPRIM_400000_NS6detail17trampoline_kernelINS0_14default_configENS1_22reduce_config_selectorIN6thrust23THRUST_200600_302600_NS5tupleIblNS6_9null_typeES8_S8_S8_S8_S8_S8_S8_EEEEZNS1_11reduce_implILb1ES3_NS6_12zip_iteratorINS7_INS6_11hip_rocprim26transform_input_iterator_tIbNSD_35transform_pair_of_input_iterators_tIbNS6_6detail15normal_iteratorINS6_10device_ptrIKfEEEESL_NS6_8equal_toIfEEEENSG_9not_fun_tINSD_8identityEEEEENSD_19counting_iterator_tIlEES8_S8_S8_S8_S8_S8_S8_S8_EEEEPS9_S9_NSD_9__find_if7functorIS9_EEEE10hipError_tPvRmT1_T2_T3_mT4_P12ihipStream_tbEUlT_E0_NS1_11comp_targetILNS1_3genE2ELNS1_11target_archE906ELNS1_3gpuE6ELNS1_3repE0EEENS1_30default_config_static_selectorELNS0_4arch9wavefront6targetE0EEEvS14_.uses_vcc, 0
	.set _ZN7rocprim17ROCPRIM_400000_NS6detail17trampoline_kernelINS0_14default_configENS1_22reduce_config_selectorIN6thrust23THRUST_200600_302600_NS5tupleIblNS6_9null_typeES8_S8_S8_S8_S8_S8_S8_EEEEZNS1_11reduce_implILb1ES3_NS6_12zip_iteratorINS7_INS6_11hip_rocprim26transform_input_iterator_tIbNSD_35transform_pair_of_input_iterators_tIbNS6_6detail15normal_iteratorINS6_10device_ptrIKfEEEESL_NS6_8equal_toIfEEEENSG_9not_fun_tINSD_8identityEEEEENSD_19counting_iterator_tIlEES8_S8_S8_S8_S8_S8_S8_S8_EEEEPS9_S9_NSD_9__find_if7functorIS9_EEEE10hipError_tPvRmT1_T2_T3_mT4_P12ihipStream_tbEUlT_E0_NS1_11comp_targetILNS1_3genE2ELNS1_11target_archE906ELNS1_3gpuE6ELNS1_3repE0EEENS1_30default_config_static_selectorELNS0_4arch9wavefront6targetE0EEEvS14_.uses_flat_scratch, 0
	.set _ZN7rocprim17ROCPRIM_400000_NS6detail17trampoline_kernelINS0_14default_configENS1_22reduce_config_selectorIN6thrust23THRUST_200600_302600_NS5tupleIblNS6_9null_typeES8_S8_S8_S8_S8_S8_S8_EEEEZNS1_11reduce_implILb1ES3_NS6_12zip_iteratorINS7_INS6_11hip_rocprim26transform_input_iterator_tIbNSD_35transform_pair_of_input_iterators_tIbNS6_6detail15normal_iteratorINS6_10device_ptrIKfEEEESL_NS6_8equal_toIfEEEENSG_9not_fun_tINSD_8identityEEEEENSD_19counting_iterator_tIlEES8_S8_S8_S8_S8_S8_S8_S8_EEEEPS9_S9_NSD_9__find_if7functorIS9_EEEE10hipError_tPvRmT1_T2_T3_mT4_P12ihipStream_tbEUlT_E0_NS1_11comp_targetILNS1_3genE2ELNS1_11target_archE906ELNS1_3gpuE6ELNS1_3repE0EEENS1_30default_config_static_selectorELNS0_4arch9wavefront6targetE0EEEvS14_.has_dyn_sized_stack, 0
	.set _ZN7rocprim17ROCPRIM_400000_NS6detail17trampoline_kernelINS0_14default_configENS1_22reduce_config_selectorIN6thrust23THRUST_200600_302600_NS5tupleIblNS6_9null_typeES8_S8_S8_S8_S8_S8_S8_EEEEZNS1_11reduce_implILb1ES3_NS6_12zip_iteratorINS7_INS6_11hip_rocprim26transform_input_iterator_tIbNSD_35transform_pair_of_input_iterators_tIbNS6_6detail15normal_iteratorINS6_10device_ptrIKfEEEESL_NS6_8equal_toIfEEEENSG_9not_fun_tINSD_8identityEEEEENSD_19counting_iterator_tIlEES8_S8_S8_S8_S8_S8_S8_S8_EEEEPS9_S9_NSD_9__find_if7functorIS9_EEEE10hipError_tPvRmT1_T2_T3_mT4_P12ihipStream_tbEUlT_E0_NS1_11comp_targetILNS1_3genE2ELNS1_11target_archE906ELNS1_3gpuE6ELNS1_3repE0EEENS1_30default_config_static_selectorELNS0_4arch9wavefront6targetE0EEEvS14_.has_recursion, 0
	.set _ZN7rocprim17ROCPRIM_400000_NS6detail17trampoline_kernelINS0_14default_configENS1_22reduce_config_selectorIN6thrust23THRUST_200600_302600_NS5tupleIblNS6_9null_typeES8_S8_S8_S8_S8_S8_S8_EEEEZNS1_11reduce_implILb1ES3_NS6_12zip_iteratorINS7_INS6_11hip_rocprim26transform_input_iterator_tIbNSD_35transform_pair_of_input_iterators_tIbNS6_6detail15normal_iteratorINS6_10device_ptrIKfEEEESL_NS6_8equal_toIfEEEENSG_9not_fun_tINSD_8identityEEEEENSD_19counting_iterator_tIlEES8_S8_S8_S8_S8_S8_S8_S8_EEEEPS9_S9_NSD_9__find_if7functorIS9_EEEE10hipError_tPvRmT1_T2_T3_mT4_P12ihipStream_tbEUlT_E0_NS1_11comp_targetILNS1_3genE2ELNS1_11target_archE906ELNS1_3gpuE6ELNS1_3repE0EEENS1_30default_config_static_selectorELNS0_4arch9wavefront6targetE0EEEvS14_.has_indirect_call, 0
	.section	.AMDGPU.csdata,"",@progbits
; Kernel info:
; codeLenInByte = 0
; TotalNumSgprs: 0
; NumVgprs: 0
; ScratchSize: 0
; MemoryBound: 0
; FloatMode: 240
; IeeeMode: 1
; LDSByteSize: 0 bytes/workgroup (compile time only)
; SGPRBlocks: 0
; VGPRBlocks: 0
; NumSGPRsForWavesPerEU: 1
; NumVGPRsForWavesPerEU: 1
; Occupancy: 16
; WaveLimiterHint : 0
; COMPUTE_PGM_RSRC2:SCRATCH_EN: 0
; COMPUTE_PGM_RSRC2:USER_SGPR: 6
; COMPUTE_PGM_RSRC2:TRAP_HANDLER: 0
; COMPUTE_PGM_RSRC2:TGID_X_EN: 1
; COMPUTE_PGM_RSRC2:TGID_Y_EN: 0
; COMPUTE_PGM_RSRC2:TGID_Z_EN: 0
; COMPUTE_PGM_RSRC2:TIDIG_COMP_CNT: 0
	.section	.text._ZN7rocprim17ROCPRIM_400000_NS6detail17trampoline_kernelINS0_14default_configENS1_22reduce_config_selectorIN6thrust23THRUST_200600_302600_NS5tupleIblNS6_9null_typeES8_S8_S8_S8_S8_S8_S8_EEEEZNS1_11reduce_implILb1ES3_NS6_12zip_iteratorINS7_INS6_11hip_rocprim26transform_input_iterator_tIbNSD_35transform_pair_of_input_iterators_tIbNS6_6detail15normal_iteratorINS6_10device_ptrIKfEEEESL_NS6_8equal_toIfEEEENSG_9not_fun_tINSD_8identityEEEEENSD_19counting_iterator_tIlEES8_S8_S8_S8_S8_S8_S8_S8_EEEEPS9_S9_NSD_9__find_if7functorIS9_EEEE10hipError_tPvRmT1_T2_T3_mT4_P12ihipStream_tbEUlT_E0_NS1_11comp_targetILNS1_3genE10ELNS1_11target_archE1201ELNS1_3gpuE5ELNS1_3repE0EEENS1_30default_config_static_selectorELNS0_4arch9wavefront6targetE0EEEvS14_,"axG",@progbits,_ZN7rocprim17ROCPRIM_400000_NS6detail17trampoline_kernelINS0_14default_configENS1_22reduce_config_selectorIN6thrust23THRUST_200600_302600_NS5tupleIblNS6_9null_typeES8_S8_S8_S8_S8_S8_S8_EEEEZNS1_11reduce_implILb1ES3_NS6_12zip_iteratorINS7_INS6_11hip_rocprim26transform_input_iterator_tIbNSD_35transform_pair_of_input_iterators_tIbNS6_6detail15normal_iteratorINS6_10device_ptrIKfEEEESL_NS6_8equal_toIfEEEENSG_9not_fun_tINSD_8identityEEEEENSD_19counting_iterator_tIlEES8_S8_S8_S8_S8_S8_S8_S8_EEEEPS9_S9_NSD_9__find_if7functorIS9_EEEE10hipError_tPvRmT1_T2_T3_mT4_P12ihipStream_tbEUlT_E0_NS1_11comp_targetILNS1_3genE10ELNS1_11target_archE1201ELNS1_3gpuE5ELNS1_3repE0EEENS1_30default_config_static_selectorELNS0_4arch9wavefront6targetE0EEEvS14_,comdat
	.protected	_ZN7rocprim17ROCPRIM_400000_NS6detail17trampoline_kernelINS0_14default_configENS1_22reduce_config_selectorIN6thrust23THRUST_200600_302600_NS5tupleIblNS6_9null_typeES8_S8_S8_S8_S8_S8_S8_EEEEZNS1_11reduce_implILb1ES3_NS6_12zip_iteratorINS7_INS6_11hip_rocprim26transform_input_iterator_tIbNSD_35transform_pair_of_input_iterators_tIbNS6_6detail15normal_iteratorINS6_10device_ptrIKfEEEESL_NS6_8equal_toIfEEEENSG_9not_fun_tINSD_8identityEEEEENSD_19counting_iterator_tIlEES8_S8_S8_S8_S8_S8_S8_S8_EEEEPS9_S9_NSD_9__find_if7functorIS9_EEEE10hipError_tPvRmT1_T2_T3_mT4_P12ihipStream_tbEUlT_E0_NS1_11comp_targetILNS1_3genE10ELNS1_11target_archE1201ELNS1_3gpuE5ELNS1_3repE0EEENS1_30default_config_static_selectorELNS0_4arch9wavefront6targetE0EEEvS14_ ; -- Begin function _ZN7rocprim17ROCPRIM_400000_NS6detail17trampoline_kernelINS0_14default_configENS1_22reduce_config_selectorIN6thrust23THRUST_200600_302600_NS5tupleIblNS6_9null_typeES8_S8_S8_S8_S8_S8_S8_EEEEZNS1_11reduce_implILb1ES3_NS6_12zip_iteratorINS7_INS6_11hip_rocprim26transform_input_iterator_tIbNSD_35transform_pair_of_input_iterators_tIbNS6_6detail15normal_iteratorINS6_10device_ptrIKfEEEESL_NS6_8equal_toIfEEEENSG_9not_fun_tINSD_8identityEEEEENSD_19counting_iterator_tIlEES8_S8_S8_S8_S8_S8_S8_S8_EEEEPS9_S9_NSD_9__find_if7functorIS9_EEEE10hipError_tPvRmT1_T2_T3_mT4_P12ihipStream_tbEUlT_E0_NS1_11comp_targetILNS1_3genE10ELNS1_11target_archE1201ELNS1_3gpuE5ELNS1_3repE0EEENS1_30default_config_static_selectorELNS0_4arch9wavefront6targetE0EEEvS14_
	.globl	_ZN7rocprim17ROCPRIM_400000_NS6detail17trampoline_kernelINS0_14default_configENS1_22reduce_config_selectorIN6thrust23THRUST_200600_302600_NS5tupleIblNS6_9null_typeES8_S8_S8_S8_S8_S8_S8_EEEEZNS1_11reduce_implILb1ES3_NS6_12zip_iteratorINS7_INS6_11hip_rocprim26transform_input_iterator_tIbNSD_35transform_pair_of_input_iterators_tIbNS6_6detail15normal_iteratorINS6_10device_ptrIKfEEEESL_NS6_8equal_toIfEEEENSG_9not_fun_tINSD_8identityEEEEENSD_19counting_iterator_tIlEES8_S8_S8_S8_S8_S8_S8_S8_EEEEPS9_S9_NSD_9__find_if7functorIS9_EEEE10hipError_tPvRmT1_T2_T3_mT4_P12ihipStream_tbEUlT_E0_NS1_11comp_targetILNS1_3genE10ELNS1_11target_archE1201ELNS1_3gpuE5ELNS1_3repE0EEENS1_30default_config_static_selectorELNS0_4arch9wavefront6targetE0EEEvS14_
	.p2align	8
	.type	_ZN7rocprim17ROCPRIM_400000_NS6detail17trampoline_kernelINS0_14default_configENS1_22reduce_config_selectorIN6thrust23THRUST_200600_302600_NS5tupleIblNS6_9null_typeES8_S8_S8_S8_S8_S8_S8_EEEEZNS1_11reduce_implILb1ES3_NS6_12zip_iteratorINS7_INS6_11hip_rocprim26transform_input_iterator_tIbNSD_35transform_pair_of_input_iterators_tIbNS6_6detail15normal_iteratorINS6_10device_ptrIKfEEEESL_NS6_8equal_toIfEEEENSG_9not_fun_tINSD_8identityEEEEENSD_19counting_iterator_tIlEES8_S8_S8_S8_S8_S8_S8_S8_EEEEPS9_S9_NSD_9__find_if7functorIS9_EEEE10hipError_tPvRmT1_T2_T3_mT4_P12ihipStream_tbEUlT_E0_NS1_11comp_targetILNS1_3genE10ELNS1_11target_archE1201ELNS1_3gpuE5ELNS1_3repE0EEENS1_30default_config_static_selectorELNS0_4arch9wavefront6targetE0EEEvS14_,@function
_ZN7rocprim17ROCPRIM_400000_NS6detail17trampoline_kernelINS0_14default_configENS1_22reduce_config_selectorIN6thrust23THRUST_200600_302600_NS5tupleIblNS6_9null_typeES8_S8_S8_S8_S8_S8_S8_EEEEZNS1_11reduce_implILb1ES3_NS6_12zip_iteratorINS7_INS6_11hip_rocprim26transform_input_iterator_tIbNSD_35transform_pair_of_input_iterators_tIbNS6_6detail15normal_iteratorINS6_10device_ptrIKfEEEESL_NS6_8equal_toIfEEEENSG_9not_fun_tINSD_8identityEEEEENSD_19counting_iterator_tIlEES8_S8_S8_S8_S8_S8_S8_S8_EEEEPS9_S9_NSD_9__find_if7functorIS9_EEEE10hipError_tPvRmT1_T2_T3_mT4_P12ihipStream_tbEUlT_E0_NS1_11comp_targetILNS1_3genE10ELNS1_11target_archE1201ELNS1_3gpuE5ELNS1_3repE0EEENS1_30default_config_static_selectorELNS0_4arch9wavefront6targetE0EEEvS14_: ; @_ZN7rocprim17ROCPRIM_400000_NS6detail17trampoline_kernelINS0_14default_configENS1_22reduce_config_selectorIN6thrust23THRUST_200600_302600_NS5tupleIblNS6_9null_typeES8_S8_S8_S8_S8_S8_S8_EEEEZNS1_11reduce_implILb1ES3_NS6_12zip_iteratorINS7_INS6_11hip_rocprim26transform_input_iterator_tIbNSD_35transform_pair_of_input_iterators_tIbNS6_6detail15normal_iteratorINS6_10device_ptrIKfEEEESL_NS6_8equal_toIfEEEENSG_9not_fun_tINSD_8identityEEEEENSD_19counting_iterator_tIlEES8_S8_S8_S8_S8_S8_S8_S8_EEEEPS9_S9_NSD_9__find_if7functorIS9_EEEE10hipError_tPvRmT1_T2_T3_mT4_P12ihipStream_tbEUlT_E0_NS1_11comp_targetILNS1_3genE10ELNS1_11target_archE1201ELNS1_3gpuE5ELNS1_3repE0EEENS1_30default_config_static_selectorELNS0_4arch9wavefront6targetE0EEEvS14_
; %bb.0:
	.section	.rodata,"a",@progbits
	.p2align	6, 0x0
	.amdhsa_kernel _ZN7rocprim17ROCPRIM_400000_NS6detail17trampoline_kernelINS0_14default_configENS1_22reduce_config_selectorIN6thrust23THRUST_200600_302600_NS5tupleIblNS6_9null_typeES8_S8_S8_S8_S8_S8_S8_EEEEZNS1_11reduce_implILb1ES3_NS6_12zip_iteratorINS7_INS6_11hip_rocprim26transform_input_iterator_tIbNSD_35transform_pair_of_input_iterators_tIbNS6_6detail15normal_iteratorINS6_10device_ptrIKfEEEESL_NS6_8equal_toIfEEEENSG_9not_fun_tINSD_8identityEEEEENSD_19counting_iterator_tIlEES8_S8_S8_S8_S8_S8_S8_S8_EEEEPS9_S9_NSD_9__find_if7functorIS9_EEEE10hipError_tPvRmT1_T2_T3_mT4_P12ihipStream_tbEUlT_E0_NS1_11comp_targetILNS1_3genE10ELNS1_11target_archE1201ELNS1_3gpuE5ELNS1_3repE0EEENS1_30default_config_static_selectorELNS0_4arch9wavefront6targetE0EEEvS14_
		.amdhsa_group_segment_fixed_size 0
		.amdhsa_private_segment_fixed_size 0
		.amdhsa_kernarg_size 104
		.amdhsa_user_sgpr_count 6
		.amdhsa_user_sgpr_private_segment_buffer 1
		.amdhsa_user_sgpr_dispatch_ptr 0
		.amdhsa_user_sgpr_queue_ptr 0
		.amdhsa_user_sgpr_kernarg_segment_ptr 1
		.amdhsa_user_sgpr_dispatch_id 0
		.amdhsa_user_sgpr_flat_scratch_init 0
		.amdhsa_user_sgpr_private_segment_size 0
		.amdhsa_wavefront_size32 1
		.amdhsa_uses_dynamic_stack 0
		.amdhsa_system_sgpr_private_segment_wavefront_offset 0
		.amdhsa_system_sgpr_workgroup_id_x 1
		.amdhsa_system_sgpr_workgroup_id_y 0
		.amdhsa_system_sgpr_workgroup_id_z 0
		.amdhsa_system_sgpr_workgroup_info 0
		.amdhsa_system_vgpr_workitem_id 0
		.amdhsa_next_free_vgpr 1
		.amdhsa_next_free_sgpr 1
		.amdhsa_reserve_vcc 0
		.amdhsa_reserve_flat_scratch 0
		.amdhsa_float_round_mode_32 0
		.amdhsa_float_round_mode_16_64 0
		.amdhsa_float_denorm_mode_32 3
		.amdhsa_float_denorm_mode_16_64 3
		.amdhsa_dx10_clamp 1
		.amdhsa_ieee_mode 1
		.amdhsa_fp16_overflow 0
		.amdhsa_workgroup_processor_mode 1
		.amdhsa_memory_ordered 1
		.amdhsa_forward_progress 1
		.amdhsa_shared_vgpr_count 0
		.amdhsa_exception_fp_ieee_invalid_op 0
		.amdhsa_exception_fp_denorm_src 0
		.amdhsa_exception_fp_ieee_div_zero 0
		.amdhsa_exception_fp_ieee_overflow 0
		.amdhsa_exception_fp_ieee_underflow 0
		.amdhsa_exception_fp_ieee_inexact 0
		.amdhsa_exception_int_div_zero 0
	.end_amdhsa_kernel
	.section	.text._ZN7rocprim17ROCPRIM_400000_NS6detail17trampoline_kernelINS0_14default_configENS1_22reduce_config_selectorIN6thrust23THRUST_200600_302600_NS5tupleIblNS6_9null_typeES8_S8_S8_S8_S8_S8_S8_EEEEZNS1_11reduce_implILb1ES3_NS6_12zip_iteratorINS7_INS6_11hip_rocprim26transform_input_iterator_tIbNSD_35transform_pair_of_input_iterators_tIbNS6_6detail15normal_iteratorINS6_10device_ptrIKfEEEESL_NS6_8equal_toIfEEEENSG_9not_fun_tINSD_8identityEEEEENSD_19counting_iterator_tIlEES8_S8_S8_S8_S8_S8_S8_S8_EEEEPS9_S9_NSD_9__find_if7functorIS9_EEEE10hipError_tPvRmT1_T2_T3_mT4_P12ihipStream_tbEUlT_E0_NS1_11comp_targetILNS1_3genE10ELNS1_11target_archE1201ELNS1_3gpuE5ELNS1_3repE0EEENS1_30default_config_static_selectorELNS0_4arch9wavefront6targetE0EEEvS14_,"axG",@progbits,_ZN7rocprim17ROCPRIM_400000_NS6detail17trampoline_kernelINS0_14default_configENS1_22reduce_config_selectorIN6thrust23THRUST_200600_302600_NS5tupleIblNS6_9null_typeES8_S8_S8_S8_S8_S8_S8_EEEEZNS1_11reduce_implILb1ES3_NS6_12zip_iteratorINS7_INS6_11hip_rocprim26transform_input_iterator_tIbNSD_35transform_pair_of_input_iterators_tIbNS6_6detail15normal_iteratorINS6_10device_ptrIKfEEEESL_NS6_8equal_toIfEEEENSG_9not_fun_tINSD_8identityEEEEENSD_19counting_iterator_tIlEES8_S8_S8_S8_S8_S8_S8_S8_EEEEPS9_S9_NSD_9__find_if7functorIS9_EEEE10hipError_tPvRmT1_T2_T3_mT4_P12ihipStream_tbEUlT_E0_NS1_11comp_targetILNS1_3genE10ELNS1_11target_archE1201ELNS1_3gpuE5ELNS1_3repE0EEENS1_30default_config_static_selectorELNS0_4arch9wavefront6targetE0EEEvS14_,comdat
.Lfunc_end82:
	.size	_ZN7rocprim17ROCPRIM_400000_NS6detail17trampoline_kernelINS0_14default_configENS1_22reduce_config_selectorIN6thrust23THRUST_200600_302600_NS5tupleIblNS6_9null_typeES8_S8_S8_S8_S8_S8_S8_EEEEZNS1_11reduce_implILb1ES3_NS6_12zip_iteratorINS7_INS6_11hip_rocprim26transform_input_iterator_tIbNSD_35transform_pair_of_input_iterators_tIbNS6_6detail15normal_iteratorINS6_10device_ptrIKfEEEESL_NS6_8equal_toIfEEEENSG_9not_fun_tINSD_8identityEEEEENSD_19counting_iterator_tIlEES8_S8_S8_S8_S8_S8_S8_S8_EEEEPS9_S9_NSD_9__find_if7functorIS9_EEEE10hipError_tPvRmT1_T2_T3_mT4_P12ihipStream_tbEUlT_E0_NS1_11comp_targetILNS1_3genE10ELNS1_11target_archE1201ELNS1_3gpuE5ELNS1_3repE0EEENS1_30default_config_static_selectorELNS0_4arch9wavefront6targetE0EEEvS14_, .Lfunc_end82-_ZN7rocprim17ROCPRIM_400000_NS6detail17trampoline_kernelINS0_14default_configENS1_22reduce_config_selectorIN6thrust23THRUST_200600_302600_NS5tupleIblNS6_9null_typeES8_S8_S8_S8_S8_S8_S8_EEEEZNS1_11reduce_implILb1ES3_NS6_12zip_iteratorINS7_INS6_11hip_rocprim26transform_input_iterator_tIbNSD_35transform_pair_of_input_iterators_tIbNS6_6detail15normal_iteratorINS6_10device_ptrIKfEEEESL_NS6_8equal_toIfEEEENSG_9not_fun_tINSD_8identityEEEEENSD_19counting_iterator_tIlEES8_S8_S8_S8_S8_S8_S8_S8_EEEEPS9_S9_NSD_9__find_if7functorIS9_EEEE10hipError_tPvRmT1_T2_T3_mT4_P12ihipStream_tbEUlT_E0_NS1_11comp_targetILNS1_3genE10ELNS1_11target_archE1201ELNS1_3gpuE5ELNS1_3repE0EEENS1_30default_config_static_selectorELNS0_4arch9wavefront6targetE0EEEvS14_
                                        ; -- End function
	.set _ZN7rocprim17ROCPRIM_400000_NS6detail17trampoline_kernelINS0_14default_configENS1_22reduce_config_selectorIN6thrust23THRUST_200600_302600_NS5tupleIblNS6_9null_typeES8_S8_S8_S8_S8_S8_S8_EEEEZNS1_11reduce_implILb1ES3_NS6_12zip_iteratorINS7_INS6_11hip_rocprim26transform_input_iterator_tIbNSD_35transform_pair_of_input_iterators_tIbNS6_6detail15normal_iteratorINS6_10device_ptrIKfEEEESL_NS6_8equal_toIfEEEENSG_9not_fun_tINSD_8identityEEEEENSD_19counting_iterator_tIlEES8_S8_S8_S8_S8_S8_S8_S8_EEEEPS9_S9_NSD_9__find_if7functorIS9_EEEE10hipError_tPvRmT1_T2_T3_mT4_P12ihipStream_tbEUlT_E0_NS1_11comp_targetILNS1_3genE10ELNS1_11target_archE1201ELNS1_3gpuE5ELNS1_3repE0EEENS1_30default_config_static_selectorELNS0_4arch9wavefront6targetE0EEEvS14_.num_vgpr, 0
	.set _ZN7rocprim17ROCPRIM_400000_NS6detail17trampoline_kernelINS0_14default_configENS1_22reduce_config_selectorIN6thrust23THRUST_200600_302600_NS5tupleIblNS6_9null_typeES8_S8_S8_S8_S8_S8_S8_EEEEZNS1_11reduce_implILb1ES3_NS6_12zip_iteratorINS7_INS6_11hip_rocprim26transform_input_iterator_tIbNSD_35transform_pair_of_input_iterators_tIbNS6_6detail15normal_iteratorINS6_10device_ptrIKfEEEESL_NS6_8equal_toIfEEEENSG_9not_fun_tINSD_8identityEEEEENSD_19counting_iterator_tIlEES8_S8_S8_S8_S8_S8_S8_S8_EEEEPS9_S9_NSD_9__find_if7functorIS9_EEEE10hipError_tPvRmT1_T2_T3_mT4_P12ihipStream_tbEUlT_E0_NS1_11comp_targetILNS1_3genE10ELNS1_11target_archE1201ELNS1_3gpuE5ELNS1_3repE0EEENS1_30default_config_static_selectorELNS0_4arch9wavefront6targetE0EEEvS14_.num_agpr, 0
	.set _ZN7rocprim17ROCPRIM_400000_NS6detail17trampoline_kernelINS0_14default_configENS1_22reduce_config_selectorIN6thrust23THRUST_200600_302600_NS5tupleIblNS6_9null_typeES8_S8_S8_S8_S8_S8_S8_EEEEZNS1_11reduce_implILb1ES3_NS6_12zip_iteratorINS7_INS6_11hip_rocprim26transform_input_iterator_tIbNSD_35transform_pair_of_input_iterators_tIbNS6_6detail15normal_iteratorINS6_10device_ptrIKfEEEESL_NS6_8equal_toIfEEEENSG_9not_fun_tINSD_8identityEEEEENSD_19counting_iterator_tIlEES8_S8_S8_S8_S8_S8_S8_S8_EEEEPS9_S9_NSD_9__find_if7functorIS9_EEEE10hipError_tPvRmT1_T2_T3_mT4_P12ihipStream_tbEUlT_E0_NS1_11comp_targetILNS1_3genE10ELNS1_11target_archE1201ELNS1_3gpuE5ELNS1_3repE0EEENS1_30default_config_static_selectorELNS0_4arch9wavefront6targetE0EEEvS14_.numbered_sgpr, 0
	.set _ZN7rocprim17ROCPRIM_400000_NS6detail17trampoline_kernelINS0_14default_configENS1_22reduce_config_selectorIN6thrust23THRUST_200600_302600_NS5tupleIblNS6_9null_typeES8_S8_S8_S8_S8_S8_S8_EEEEZNS1_11reduce_implILb1ES3_NS6_12zip_iteratorINS7_INS6_11hip_rocprim26transform_input_iterator_tIbNSD_35transform_pair_of_input_iterators_tIbNS6_6detail15normal_iteratorINS6_10device_ptrIKfEEEESL_NS6_8equal_toIfEEEENSG_9not_fun_tINSD_8identityEEEEENSD_19counting_iterator_tIlEES8_S8_S8_S8_S8_S8_S8_S8_EEEEPS9_S9_NSD_9__find_if7functorIS9_EEEE10hipError_tPvRmT1_T2_T3_mT4_P12ihipStream_tbEUlT_E0_NS1_11comp_targetILNS1_3genE10ELNS1_11target_archE1201ELNS1_3gpuE5ELNS1_3repE0EEENS1_30default_config_static_selectorELNS0_4arch9wavefront6targetE0EEEvS14_.num_named_barrier, 0
	.set _ZN7rocprim17ROCPRIM_400000_NS6detail17trampoline_kernelINS0_14default_configENS1_22reduce_config_selectorIN6thrust23THRUST_200600_302600_NS5tupleIblNS6_9null_typeES8_S8_S8_S8_S8_S8_S8_EEEEZNS1_11reduce_implILb1ES3_NS6_12zip_iteratorINS7_INS6_11hip_rocprim26transform_input_iterator_tIbNSD_35transform_pair_of_input_iterators_tIbNS6_6detail15normal_iteratorINS6_10device_ptrIKfEEEESL_NS6_8equal_toIfEEEENSG_9not_fun_tINSD_8identityEEEEENSD_19counting_iterator_tIlEES8_S8_S8_S8_S8_S8_S8_S8_EEEEPS9_S9_NSD_9__find_if7functorIS9_EEEE10hipError_tPvRmT1_T2_T3_mT4_P12ihipStream_tbEUlT_E0_NS1_11comp_targetILNS1_3genE10ELNS1_11target_archE1201ELNS1_3gpuE5ELNS1_3repE0EEENS1_30default_config_static_selectorELNS0_4arch9wavefront6targetE0EEEvS14_.private_seg_size, 0
	.set _ZN7rocprim17ROCPRIM_400000_NS6detail17trampoline_kernelINS0_14default_configENS1_22reduce_config_selectorIN6thrust23THRUST_200600_302600_NS5tupleIblNS6_9null_typeES8_S8_S8_S8_S8_S8_S8_EEEEZNS1_11reduce_implILb1ES3_NS6_12zip_iteratorINS7_INS6_11hip_rocprim26transform_input_iterator_tIbNSD_35transform_pair_of_input_iterators_tIbNS6_6detail15normal_iteratorINS6_10device_ptrIKfEEEESL_NS6_8equal_toIfEEEENSG_9not_fun_tINSD_8identityEEEEENSD_19counting_iterator_tIlEES8_S8_S8_S8_S8_S8_S8_S8_EEEEPS9_S9_NSD_9__find_if7functorIS9_EEEE10hipError_tPvRmT1_T2_T3_mT4_P12ihipStream_tbEUlT_E0_NS1_11comp_targetILNS1_3genE10ELNS1_11target_archE1201ELNS1_3gpuE5ELNS1_3repE0EEENS1_30default_config_static_selectorELNS0_4arch9wavefront6targetE0EEEvS14_.uses_vcc, 0
	.set _ZN7rocprim17ROCPRIM_400000_NS6detail17trampoline_kernelINS0_14default_configENS1_22reduce_config_selectorIN6thrust23THRUST_200600_302600_NS5tupleIblNS6_9null_typeES8_S8_S8_S8_S8_S8_S8_EEEEZNS1_11reduce_implILb1ES3_NS6_12zip_iteratorINS7_INS6_11hip_rocprim26transform_input_iterator_tIbNSD_35transform_pair_of_input_iterators_tIbNS6_6detail15normal_iteratorINS6_10device_ptrIKfEEEESL_NS6_8equal_toIfEEEENSG_9not_fun_tINSD_8identityEEEEENSD_19counting_iterator_tIlEES8_S8_S8_S8_S8_S8_S8_S8_EEEEPS9_S9_NSD_9__find_if7functorIS9_EEEE10hipError_tPvRmT1_T2_T3_mT4_P12ihipStream_tbEUlT_E0_NS1_11comp_targetILNS1_3genE10ELNS1_11target_archE1201ELNS1_3gpuE5ELNS1_3repE0EEENS1_30default_config_static_selectorELNS0_4arch9wavefront6targetE0EEEvS14_.uses_flat_scratch, 0
	.set _ZN7rocprim17ROCPRIM_400000_NS6detail17trampoline_kernelINS0_14default_configENS1_22reduce_config_selectorIN6thrust23THRUST_200600_302600_NS5tupleIblNS6_9null_typeES8_S8_S8_S8_S8_S8_S8_EEEEZNS1_11reduce_implILb1ES3_NS6_12zip_iteratorINS7_INS6_11hip_rocprim26transform_input_iterator_tIbNSD_35transform_pair_of_input_iterators_tIbNS6_6detail15normal_iteratorINS6_10device_ptrIKfEEEESL_NS6_8equal_toIfEEEENSG_9not_fun_tINSD_8identityEEEEENSD_19counting_iterator_tIlEES8_S8_S8_S8_S8_S8_S8_S8_EEEEPS9_S9_NSD_9__find_if7functorIS9_EEEE10hipError_tPvRmT1_T2_T3_mT4_P12ihipStream_tbEUlT_E0_NS1_11comp_targetILNS1_3genE10ELNS1_11target_archE1201ELNS1_3gpuE5ELNS1_3repE0EEENS1_30default_config_static_selectorELNS0_4arch9wavefront6targetE0EEEvS14_.has_dyn_sized_stack, 0
	.set _ZN7rocprim17ROCPRIM_400000_NS6detail17trampoline_kernelINS0_14default_configENS1_22reduce_config_selectorIN6thrust23THRUST_200600_302600_NS5tupleIblNS6_9null_typeES8_S8_S8_S8_S8_S8_S8_EEEEZNS1_11reduce_implILb1ES3_NS6_12zip_iteratorINS7_INS6_11hip_rocprim26transform_input_iterator_tIbNSD_35transform_pair_of_input_iterators_tIbNS6_6detail15normal_iteratorINS6_10device_ptrIKfEEEESL_NS6_8equal_toIfEEEENSG_9not_fun_tINSD_8identityEEEEENSD_19counting_iterator_tIlEES8_S8_S8_S8_S8_S8_S8_S8_EEEEPS9_S9_NSD_9__find_if7functorIS9_EEEE10hipError_tPvRmT1_T2_T3_mT4_P12ihipStream_tbEUlT_E0_NS1_11comp_targetILNS1_3genE10ELNS1_11target_archE1201ELNS1_3gpuE5ELNS1_3repE0EEENS1_30default_config_static_selectorELNS0_4arch9wavefront6targetE0EEEvS14_.has_recursion, 0
	.set _ZN7rocprim17ROCPRIM_400000_NS6detail17trampoline_kernelINS0_14default_configENS1_22reduce_config_selectorIN6thrust23THRUST_200600_302600_NS5tupleIblNS6_9null_typeES8_S8_S8_S8_S8_S8_S8_EEEEZNS1_11reduce_implILb1ES3_NS6_12zip_iteratorINS7_INS6_11hip_rocprim26transform_input_iterator_tIbNSD_35transform_pair_of_input_iterators_tIbNS6_6detail15normal_iteratorINS6_10device_ptrIKfEEEESL_NS6_8equal_toIfEEEENSG_9not_fun_tINSD_8identityEEEEENSD_19counting_iterator_tIlEES8_S8_S8_S8_S8_S8_S8_S8_EEEEPS9_S9_NSD_9__find_if7functorIS9_EEEE10hipError_tPvRmT1_T2_T3_mT4_P12ihipStream_tbEUlT_E0_NS1_11comp_targetILNS1_3genE10ELNS1_11target_archE1201ELNS1_3gpuE5ELNS1_3repE0EEENS1_30default_config_static_selectorELNS0_4arch9wavefront6targetE0EEEvS14_.has_indirect_call, 0
	.section	.AMDGPU.csdata,"",@progbits
; Kernel info:
; codeLenInByte = 0
; TotalNumSgprs: 0
; NumVgprs: 0
; ScratchSize: 0
; MemoryBound: 0
; FloatMode: 240
; IeeeMode: 1
; LDSByteSize: 0 bytes/workgroup (compile time only)
; SGPRBlocks: 0
; VGPRBlocks: 0
; NumSGPRsForWavesPerEU: 1
; NumVGPRsForWavesPerEU: 1
; Occupancy: 16
; WaveLimiterHint : 0
; COMPUTE_PGM_RSRC2:SCRATCH_EN: 0
; COMPUTE_PGM_RSRC2:USER_SGPR: 6
; COMPUTE_PGM_RSRC2:TRAP_HANDLER: 0
; COMPUTE_PGM_RSRC2:TGID_X_EN: 1
; COMPUTE_PGM_RSRC2:TGID_Y_EN: 0
; COMPUTE_PGM_RSRC2:TGID_Z_EN: 0
; COMPUTE_PGM_RSRC2:TIDIG_COMP_CNT: 0
	.section	.text._ZN7rocprim17ROCPRIM_400000_NS6detail17trampoline_kernelINS0_14default_configENS1_22reduce_config_selectorIN6thrust23THRUST_200600_302600_NS5tupleIblNS6_9null_typeES8_S8_S8_S8_S8_S8_S8_EEEEZNS1_11reduce_implILb1ES3_NS6_12zip_iteratorINS7_INS6_11hip_rocprim26transform_input_iterator_tIbNSD_35transform_pair_of_input_iterators_tIbNS6_6detail15normal_iteratorINS6_10device_ptrIKfEEEESL_NS6_8equal_toIfEEEENSG_9not_fun_tINSD_8identityEEEEENSD_19counting_iterator_tIlEES8_S8_S8_S8_S8_S8_S8_S8_EEEEPS9_S9_NSD_9__find_if7functorIS9_EEEE10hipError_tPvRmT1_T2_T3_mT4_P12ihipStream_tbEUlT_E0_NS1_11comp_targetILNS1_3genE10ELNS1_11target_archE1200ELNS1_3gpuE4ELNS1_3repE0EEENS1_30default_config_static_selectorELNS0_4arch9wavefront6targetE0EEEvS14_,"axG",@progbits,_ZN7rocprim17ROCPRIM_400000_NS6detail17trampoline_kernelINS0_14default_configENS1_22reduce_config_selectorIN6thrust23THRUST_200600_302600_NS5tupleIblNS6_9null_typeES8_S8_S8_S8_S8_S8_S8_EEEEZNS1_11reduce_implILb1ES3_NS6_12zip_iteratorINS7_INS6_11hip_rocprim26transform_input_iterator_tIbNSD_35transform_pair_of_input_iterators_tIbNS6_6detail15normal_iteratorINS6_10device_ptrIKfEEEESL_NS6_8equal_toIfEEEENSG_9not_fun_tINSD_8identityEEEEENSD_19counting_iterator_tIlEES8_S8_S8_S8_S8_S8_S8_S8_EEEEPS9_S9_NSD_9__find_if7functorIS9_EEEE10hipError_tPvRmT1_T2_T3_mT4_P12ihipStream_tbEUlT_E0_NS1_11comp_targetILNS1_3genE10ELNS1_11target_archE1200ELNS1_3gpuE4ELNS1_3repE0EEENS1_30default_config_static_selectorELNS0_4arch9wavefront6targetE0EEEvS14_,comdat
	.protected	_ZN7rocprim17ROCPRIM_400000_NS6detail17trampoline_kernelINS0_14default_configENS1_22reduce_config_selectorIN6thrust23THRUST_200600_302600_NS5tupleIblNS6_9null_typeES8_S8_S8_S8_S8_S8_S8_EEEEZNS1_11reduce_implILb1ES3_NS6_12zip_iteratorINS7_INS6_11hip_rocprim26transform_input_iterator_tIbNSD_35transform_pair_of_input_iterators_tIbNS6_6detail15normal_iteratorINS6_10device_ptrIKfEEEESL_NS6_8equal_toIfEEEENSG_9not_fun_tINSD_8identityEEEEENSD_19counting_iterator_tIlEES8_S8_S8_S8_S8_S8_S8_S8_EEEEPS9_S9_NSD_9__find_if7functorIS9_EEEE10hipError_tPvRmT1_T2_T3_mT4_P12ihipStream_tbEUlT_E0_NS1_11comp_targetILNS1_3genE10ELNS1_11target_archE1200ELNS1_3gpuE4ELNS1_3repE0EEENS1_30default_config_static_selectorELNS0_4arch9wavefront6targetE0EEEvS14_ ; -- Begin function _ZN7rocprim17ROCPRIM_400000_NS6detail17trampoline_kernelINS0_14default_configENS1_22reduce_config_selectorIN6thrust23THRUST_200600_302600_NS5tupleIblNS6_9null_typeES8_S8_S8_S8_S8_S8_S8_EEEEZNS1_11reduce_implILb1ES3_NS6_12zip_iteratorINS7_INS6_11hip_rocprim26transform_input_iterator_tIbNSD_35transform_pair_of_input_iterators_tIbNS6_6detail15normal_iteratorINS6_10device_ptrIKfEEEESL_NS6_8equal_toIfEEEENSG_9not_fun_tINSD_8identityEEEEENSD_19counting_iterator_tIlEES8_S8_S8_S8_S8_S8_S8_S8_EEEEPS9_S9_NSD_9__find_if7functorIS9_EEEE10hipError_tPvRmT1_T2_T3_mT4_P12ihipStream_tbEUlT_E0_NS1_11comp_targetILNS1_3genE10ELNS1_11target_archE1200ELNS1_3gpuE4ELNS1_3repE0EEENS1_30default_config_static_selectorELNS0_4arch9wavefront6targetE0EEEvS14_
	.globl	_ZN7rocprim17ROCPRIM_400000_NS6detail17trampoline_kernelINS0_14default_configENS1_22reduce_config_selectorIN6thrust23THRUST_200600_302600_NS5tupleIblNS6_9null_typeES8_S8_S8_S8_S8_S8_S8_EEEEZNS1_11reduce_implILb1ES3_NS6_12zip_iteratorINS7_INS6_11hip_rocprim26transform_input_iterator_tIbNSD_35transform_pair_of_input_iterators_tIbNS6_6detail15normal_iteratorINS6_10device_ptrIKfEEEESL_NS6_8equal_toIfEEEENSG_9not_fun_tINSD_8identityEEEEENSD_19counting_iterator_tIlEES8_S8_S8_S8_S8_S8_S8_S8_EEEEPS9_S9_NSD_9__find_if7functorIS9_EEEE10hipError_tPvRmT1_T2_T3_mT4_P12ihipStream_tbEUlT_E0_NS1_11comp_targetILNS1_3genE10ELNS1_11target_archE1200ELNS1_3gpuE4ELNS1_3repE0EEENS1_30default_config_static_selectorELNS0_4arch9wavefront6targetE0EEEvS14_
	.p2align	8
	.type	_ZN7rocprim17ROCPRIM_400000_NS6detail17trampoline_kernelINS0_14default_configENS1_22reduce_config_selectorIN6thrust23THRUST_200600_302600_NS5tupleIblNS6_9null_typeES8_S8_S8_S8_S8_S8_S8_EEEEZNS1_11reduce_implILb1ES3_NS6_12zip_iteratorINS7_INS6_11hip_rocprim26transform_input_iterator_tIbNSD_35transform_pair_of_input_iterators_tIbNS6_6detail15normal_iteratorINS6_10device_ptrIKfEEEESL_NS6_8equal_toIfEEEENSG_9not_fun_tINSD_8identityEEEEENSD_19counting_iterator_tIlEES8_S8_S8_S8_S8_S8_S8_S8_EEEEPS9_S9_NSD_9__find_if7functorIS9_EEEE10hipError_tPvRmT1_T2_T3_mT4_P12ihipStream_tbEUlT_E0_NS1_11comp_targetILNS1_3genE10ELNS1_11target_archE1200ELNS1_3gpuE4ELNS1_3repE0EEENS1_30default_config_static_selectorELNS0_4arch9wavefront6targetE0EEEvS14_,@function
_ZN7rocprim17ROCPRIM_400000_NS6detail17trampoline_kernelINS0_14default_configENS1_22reduce_config_selectorIN6thrust23THRUST_200600_302600_NS5tupleIblNS6_9null_typeES8_S8_S8_S8_S8_S8_S8_EEEEZNS1_11reduce_implILb1ES3_NS6_12zip_iteratorINS7_INS6_11hip_rocprim26transform_input_iterator_tIbNSD_35transform_pair_of_input_iterators_tIbNS6_6detail15normal_iteratorINS6_10device_ptrIKfEEEESL_NS6_8equal_toIfEEEENSG_9not_fun_tINSD_8identityEEEEENSD_19counting_iterator_tIlEES8_S8_S8_S8_S8_S8_S8_S8_EEEEPS9_S9_NSD_9__find_if7functorIS9_EEEE10hipError_tPvRmT1_T2_T3_mT4_P12ihipStream_tbEUlT_E0_NS1_11comp_targetILNS1_3genE10ELNS1_11target_archE1200ELNS1_3gpuE4ELNS1_3repE0EEENS1_30default_config_static_selectorELNS0_4arch9wavefront6targetE0EEEvS14_: ; @_ZN7rocprim17ROCPRIM_400000_NS6detail17trampoline_kernelINS0_14default_configENS1_22reduce_config_selectorIN6thrust23THRUST_200600_302600_NS5tupleIblNS6_9null_typeES8_S8_S8_S8_S8_S8_S8_EEEEZNS1_11reduce_implILb1ES3_NS6_12zip_iteratorINS7_INS6_11hip_rocprim26transform_input_iterator_tIbNSD_35transform_pair_of_input_iterators_tIbNS6_6detail15normal_iteratorINS6_10device_ptrIKfEEEESL_NS6_8equal_toIfEEEENSG_9not_fun_tINSD_8identityEEEEENSD_19counting_iterator_tIlEES8_S8_S8_S8_S8_S8_S8_S8_EEEEPS9_S9_NSD_9__find_if7functorIS9_EEEE10hipError_tPvRmT1_T2_T3_mT4_P12ihipStream_tbEUlT_E0_NS1_11comp_targetILNS1_3genE10ELNS1_11target_archE1200ELNS1_3gpuE4ELNS1_3repE0EEENS1_30default_config_static_selectorELNS0_4arch9wavefront6targetE0EEEvS14_
; %bb.0:
	.section	.rodata,"a",@progbits
	.p2align	6, 0x0
	.amdhsa_kernel _ZN7rocprim17ROCPRIM_400000_NS6detail17trampoline_kernelINS0_14default_configENS1_22reduce_config_selectorIN6thrust23THRUST_200600_302600_NS5tupleIblNS6_9null_typeES8_S8_S8_S8_S8_S8_S8_EEEEZNS1_11reduce_implILb1ES3_NS6_12zip_iteratorINS7_INS6_11hip_rocprim26transform_input_iterator_tIbNSD_35transform_pair_of_input_iterators_tIbNS6_6detail15normal_iteratorINS6_10device_ptrIKfEEEESL_NS6_8equal_toIfEEEENSG_9not_fun_tINSD_8identityEEEEENSD_19counting_iterator_tIlEES8_S8_S8_S8_S8_S8_S8_S8_EEEEPS9_S9_NSD_9__find_if7functorIS9_EEEE10hipError_tPvRmT1_T2_T3_mT4_P12ihipStream_tbEUlT_E0_NS1_11comp_targetILNS1_3genE10ELNS1_11target_archE1200ELNS1_3gpuE4ELNS1_3repE0EEENS1_30default_config_static_selectorELNS0_4arch9wavefront6targetE0EEEvS14_
		.amdhsa_group_segment_fixed_size 0
		.amdhsa_private_segment_fixed_size 0
		.amdhsa_kernarg_size 104
		.amdhsa_user_sgpr_count 6
		.amdhsa_user_sgpr_private_segment_buffer 1
		.amdhsa_user_sgpr_dispatch_ptr 0
		.amdhsa_user_sgpr_queue_ptr 0
		.amdhsa_user_sgpr_kernarg_segment_ptr 1
		.amdhsa_user_sgpr_dispatch_id 0
		.amdhsa_user_sgpr_flat_scratch_init 0
		.amdhsa_user_sgpr_private_segment_size 0
		.amdhsa_wavefront_size32 1
		.amdhsa_uses_dynamic_stack 0
		.amdhsa_system_sgpr_private_segment_wavefront_offset 0
		.amdhsa_system_sgpr_workgroup_id_x 1
		.amdhsa_system_sgpr_workgroup_id_y 0
		.amdhsa_system_sgpr_workgroup_id_z 0
		.amdhsa_system_sgpr_workgroup_info 0
		.amdhsa_system_vgpr_workitem_id 0
		.amdhsa_next_free_vgpr 1
		.amdhsa_next_free_sgpr 1
		.amdhsa_reserve_vcc 0
		.amdhsa_reserve_flat_scratch 0
		.amdhsa_float_round_mode_32 0
		.amdhsa_float_round_mode_16_64 0
		.amdhsa_float_denorm_mode_32 3
		.amdhsa_float_denorm_mode_16_64 3
		.amdhsa_dx10_clamp 1
		.amdhsa_ieee_mode 1
		.amdhsa_fp16_overflow 0
		.amdhsa_workgroup_processor_mode 1
		.amdhsa_memory_ordered 1
		.amdhsa_forward_progress 1
		.amdhsa_shared_vgpr_count 0
		.amdhsa_exception_fp_ieee_invalid_op 0
		.amdhsa_exception_fp_denorm_src 0
		.amdhsa_exception_fp_ieee_div_zero 0
		.amdhsa_exception_fp_ieee_overflow 0
		.amdhsa_exception_fp_ieee_underflow 0
		.amdhsa_exception_fp_ieee_inexact 0
		.amdhsa_exception_int_div_zero 0
	.end_amdhsa_kernel
	.section	.text._ZN7rocprim17ROCPRIM_400000_NS6detail17trampoline_kernelINS0_14default_configENS1_22reduce_config_selectorIN6thrust23THRUST_200600_302600_NS5tupleIblNS6_9null_typeES8_S8_S8_S8_S8_S8_S8_EEEEZNS1_11reduce_implILb1ES3_NS6_12zip_iteratorINS7_INS6_11hip_rocprim26transform_input_iterator_tIbNSD_35transform_pair_of_input_iterators_tIbNS6_6detail15normal_iteratorINS6_10device_ptrIKfEEEESL_NS6_8equal_toIfEEEENSG_9not_fun_tINSD_8identityEEEEENSD_19counting_iterator_tIlEES8_S8_S8_S8_S8_S8_S8_S8_EEEEPS9_S9_NSD_9__find_if7functorIS9_EEEE10hipError_tPvRmT1_T2_T3_mT4_P12ihipStream_tbEUlT_E0_NS1_11comp_targetILNS1_3genE10ELNS1_11target_archE1200ELNS1_3gpuE4ELNS1_3repE0EEENS1_30default_config_static_selectorELNS0_4arch9wavefront6targetE0EEEvS14_,"axG",@progbits,_ZN7rocprim17ROCPRIM_400000_NS6detail17trampoline_kernelINS0_14default_configENS1_22reduce_config_selectorIN6thrust23THRUST_200600_302600_NS5tupleIblNS6_9null_typeES8_S8_S8_S8_S8_S8_S8_EEEEZNS1_11reduce_implILb1ES3_NS6_12zip_iteratorINS7_INS6_11hip_rocprim26transform_input_iterator_tIbNSD_35transform_pair_of_input_iterators_tIbNS6_6detail15normal_iteratorINS6_10device_ptrIKfEEEESL_NS6_8equal_toIfEEEENSG_9not_fun_tINSD_8identityEEEEENSD_19counting_iterator_tIlEES8_S8_S8_S8_S8_S8_S8_S8_EEEEPS9_S9_NSD_9__find_if7functorIS9_EEEE10hipError_tPvRmT1_T2_T3_mT4_P12ihipStream_tbEUlT_E0_NS1_11comp_targetILNS1_3genE10ELNS1_11target_archE1200ELNS1_3gpuE4ELNS1_3repE0EEENS1_30default_config_static_selectorELNS0_4arch9wavefront6targetE0EEEvS14_,comdat
.Lfunc_end83:
	.size	_ZN7rocprim17ROCPRIM_400000_NS6detail17trampoline_kernelINS0_14default_configENS1_22reduce_config_selectorIN6thrust23THRUST_200600_302600_NS5tupleIblNS6_9null_typeES8_S8_S8_S8_S8_S8_S8_EEEEZNS1_11reduce_implILb1ES3_NS6_12zip_iteratorINS7_INS6_11hip_rocprim26transform_input_iterator_tIbNSD_35transform_pair_of_input_iterators_tIbNS6_6detail15normal_iteratorINS6_10device_ptrIKfEEEESL_NS6_8equal_toIfEEEENSG_9not_fun_tINSD_8identityEEEEENSD_19counting_iterator_tIlEES8_S8_S8_S8_S8_S8_S8_S8_EEEEPS9_S9_NSD_9__find_if7functorIS9_EEEE10hipError_tPvRmT1_T2_T3_mT4_P12ihipStream_tbEUlT_E0_NS1_11comp_targetILNS1_3genE10ELNS1_11target_archE1200ELNS1_3gpuE4ELNS1_3repE0EEENS1_30default_config_static_selectorELNS0_4arch9wavefront6targetE0EEEvS14_, .Lfunc_end83-_ZN7rocprim17ROCPRIM_400000_NS6detail17trampoline_kernelINS0_14default_configENS1_22reduce_config_selectorIN6thrust23THRUST_200600_302600_NS5tupleIblNS6_9null_typeES8_S8_S8_S8_S8_S8_S8_EEEEZNS1_11reduce_implILb1ES3_NS6_12zip_iteratorINS7_INS6_11hip_rocprim26transform_input_iterator_tIbNSD_35transform_pair_of_input_iterators_tIbNS6_6detail15normal_iteratorINS6_10device_ptrIKfEEEESL_NS6_8equal_toIfEEEENSG_9not_fun_tINSD_8identityEEEEENSD_19counting_iterator_tIlEES8_S8_S8_S8_S8_S8_S8_S8_EEEEPS9_S9_NSD_9__find_if7functorIS9_EEEE10hipError_tPvRmT1_T2_T3_mT4_P12ihipStream_tbEUlT_E0_NS1_11comp_targetILNS1_3genE10ELNS1_11target_archE1200ELNS1_3gpuE4ELNS1_3repE0EEENS1_30default_config_static_selectorELNS0_4arch9wavefront6targetE0EEEvS14_
                                        ; -- End function
	.set _ZN7rocprim17ROCPRIM_400000_NS6detail17trampoline_kernelINS0_14default_configENS1_22reduce_config_selectorIN6thrust23THRUST_200600_302600_NS5tupleIblNS6_9null_typeES8_S8_S8_S8_S8_S8_S8_EEEEZNS1_11reduce_implILb1ES3_NS6_12zip_iteratorINS7_INS6_11hip_rocprim26transform_input_iterator_tIbNSD_35transform_pair_of_input_iterators_tIbNS6_6detail15normal_iteratorINS6_10device_ptrIKfEEEESL_NS6_8equal_toIfEEEENSG_9not_fun_tINSD_8identityEEEEENSD_19counting_iterator_tIlEES8_S8_S8_S8_S8_S8_S8_S8_EEEEPS9_S9_NSD_9__find_if7functorIS9_EEEE10hipError_tPvRmT1_T2_T3_mT4_P12ihipStream_tbEUlT_E0_NS1_11comp_targetILNS1_3genE10ELNS1_11target_archE1200ELNS1_3gpuE4ELNS1_3repE0EEENS1_30default_config_static_selectorELNS0_4arch9wavefront6targetE0EEEvS14_.num_vgpr, 0
	.set _ZN7rocprim17ROCPRIM_400000_NS6detail17trampoline_kernelINS0_14default_configENS1_22reduce_config_selectorIN6thrust23THRUST_200600_302600_NS5tupleIblNS6_9null_typeES8_S8_S8_S8_S8_S8_S8_EEEEZNS1_11reduce_implILb1ES3_NS6_12zip_iteratorINS7_INS6_11hip_rocprim26transform_input_iterator_tIbNSD_35transform_pair_of_input_iterators_tIbNS6_6detail15normal_iteratorINS6_10device_ptrIKfEEEESL_NS6_8equal_toIfEEEENSG_9not_fun_tINSD_8identityEEEEENSD_19counting_iterator_tIlEES8_S8_S8_S8_S8_S8_S8_S8_EEEEPS9_S9_NSD_9__find_if7functorIS9_EEEE10hipError_tPvRmT1_T2_T3_mT4_P12ihipStream_tbEUlT_E0_NS1_11comp_targetILNS1_3genE10ELNS1_11target_archE1200ELNS1_3gpuE4ELNS1_3repE0EEENS1_30default_config_static_selectorELNS0_4arch9wavefront6targetE0EEEvS14_.num_agpr, 0
	.set _ZN7rocprim17ROCPRIM_400000_NS6detail17trampoline_kernelINS0_14default_configENS1_22reduce_config_selectorIN6thrust23THRUST_200600_302600_NS5tupleIblNS6_9null_typeES8_S8_S8_S8_S8_S8_S8_EEEEZNS1_11reduce_implILb1ES3_NS6_12zip_iteratorINS7_INS6_11hip_rocprim26transform_input_iterator_tIbNSD_35transform_pair_of_input_iterators_tIbNS6_6detail15normal_iteratorINS6_10device_ptrIKfEEEESL_NS6_8equal_toIfEEEENSG_9not_fun_tINSD_8identityEEEEENSD_19counting_iterator_tIlEES8_S8_S8_S8_S8_S8_S8_S8_EEEEPS9_S9_NSD_9__find_if7functorIS9_EEEE10hipError_tPvRmT1_T2_T3_mT4_P12ihipStream_tbEUlT_E0_NS1_11comp_targetILNS1_3genE10ELNS1_11target_archE1200ELNS1_3gpuE4ELNS1_3repE0EEENS1_30default_config_static_selectorELNS0_4arch9wavefront6targetE0EEEvS14_.numbered_sgpr, 0
	.set _ZN7rocprim17ROCPRIM_400000_NS6detail17trampoline_kernelINS0_14default_configENS1_22reduce_config_selectorIN6thrust23THRUST_200600_302600_NS5tupleIblNS6_9null_typeES8_S8_S8_S8_S8_S8_S8_EEEEZNS1_11reduce_implILb1ES3_NS6_12zip_iteratorINS7_INS6_11hip_rocprim26transform_input_iterator_tIbNSD_35transform_pair_of_input_iterators_tIbNS6_6detail15normal_iteratorINS6_10device_ptrIKfEEEESL_NS6_8equal_toIfEEEENSG_9not_fun_tINSD_8identityEEEEENSD_19counting_iterator_tIlEES8_S8_S8_S8_S8_S8_S8_S8_EEEEPS9_S9_NSD_9__find_if7functorIS9_EEEE10hipError_tPvRmT1_T2_T3_mT4_P12ihipStream_tbEUlT_E0_NS1_11comp_targetILNS1_3genE10ELNS1_11target_archE1200ELNS1_3gpuE4ELNS1_3repE0EEENS1_30default_config_static_selectorELNS0_4arch9wavefront6targetE0EEEvS14_.num_named_barrier, 0
	.set _ZN7rocprim17ROCPRIM_400000_NS6detail17trampoline_kernelINS0_14default_configENS1_22reduce_config_selectorIN6thrust23THRUST_200600_302600_NS5tupleIblNS6_9null_typeES8_S8_S8_S8_S8_S8_S8_EEEEZNS1_11reduce_implILb1ES3_NS6_12zip_iteratorINS7_INS6_11hip_rocprim26transform_input_iterator_tIbNSD_35transform_pair_of_input_iterators_tIbNS6_6detail15normal_iteratorINS6_10device_ptrIKfEEEESL_NS6_8equal_toIfEEEENSG_9not_fun_tINSD_8identityEEEEENSD_19counting_iterator_tIlEES8_S8_S8_S8_S8_S8_S8_S8_EEEEPS9_S9_NSD_9__find_if7functorIS9_EEEE10hipError_tPvRmT1_T2_T3_mT4_P12ihipStream_tbEUlT_E0_NS1_11comp_targetILNS1_3genE10ELNS1_11target_archE1200ELNS1_3gpuE4ELNS1_3repE0EEENS1_30default_config_static_selectorELNS0_4arch9wavefront6targetE0EEEvS14_.private_seg_size, 0
	.set _ZN7rocprim17ROCPRIM_400000_NS6detail17trampoline_kernelINS0_14default_configENS1_22reduce_config_selectorIN6thrust23THRUST_200600_302600_NS5tupleIblNS6_9null_typeES8_S8_S8_S8_S8_S8_S8_EEEEZNS1_11reduce_implILb1ES3_NS6_12zip_iteratorINS7_INS6_11hip_rocprim26transform_input_iterator_tIbNSD_35transform_pair_of_input_iterators_tIbNS6_6detail15normal_iteratorINS6_10device_ptrIKfEEEESL_NS6_8equal_toIfEEEENSG_9not_fun_tINSD_8identityEEEEENSD_19counting_iterator_tIlEES8_S8_S8_S8_S8_S8_S8_S8_EEEEPS9_S9_NSD_9__find_if7functorIS9_EEEE10hipError_tPvRmT1_T2_T3_mT4_P12ihipStream_tbEUlT_E0_NS1_11comp_targetILNS1_3genE10ELNS1_11target_archE1200ELNS1_3gpuE4ELNS1_3repE0EEENS1_30default_config_static_selectorELNS0_4arch9wavefront6targetE0EEEvS14_.uses_vcc, 0
	.set _ZN7rocprim17ROCPRIM_400000_NS6detail17trampoline_kernelINS0_14default_configENS1_22reduce_config_selectorIN6thrust23THRUST_200600_302600_NS5tupleIblNS6_9null_typeES8_S8_S8_S8_S8_S8_S8_EEEEZNS1_11reduce_implILb1ES3_NS6_12zip_iteratorINS7_INS6_11hip_rocprim26transform_input_iterator_tIbNSD_35transform_pair_of_input_iterators_tIbNS6_6detail15normal_iteratorINS6_10device_ptrIKfEEEESL_NS6_8equal_toIfEEEENSG_9not_fun_tINSD_8identityEEEEENSD_19counting_iterator_tIlEES8_S8_S8_S8_S8_S8_S8_S8_EEEEPS9_S9_NSD_9__find_if7functorIS9_EEEE10hipError_tPvRmT1_T2_T3_mT4_P12ihipStream_tbEUlT_E0_NS1_11comp_targetILNS1_3genE10ELNS1_11target_archE1200ELNS1_3gpuE4ELNS1_3repE0EEENS1_30default_config_static_selectorELNS0_4arch9wavefront6targetE0EEEvS14_.uses_flat_scratch, 0
	.set _ZN7rocprim17ROCPRIM_400000_NS6detail17trampoline_kernelINS0_14default_configENS1_22reduce_config_selectorIN6thrust23THRUST_200600_302600_NS5tupleIblNS6_9null_typeES8_S8_S8_S8_S8_S8_S8_EEEEZNS1_11reduce_implILb1ES3_NS6_12zip_iteratorINS7_INS6_11hip_rocprim26transform_input_iterator_tIbNSD_35transform_pair_of_input_iterators_tIbNS6_6detail15normal_iteratorINS6_10device_ptrIKfEEEESL_NS6_8equal_toIfEEEENSG_9not_fun_tINSD_8identityEEEEENSD_19counting_iterator_tIlEES8_S8_S8_S8_S8_S8_S8_S8_EEEEPS9_S9_NSD_9__find_if7functorIS9_EEEE10hipError_tPvRmT1_T2_T3_mT4_P12ihipStream_tbEUlT_E0_NS1_11comp_targetILNS1_3genE10ELNS1_11target_archE1200ELNS1_3gpuE4ELNS1_3repE0EEENS1_30default_config_static_selectorELNS0_4arch9wavefront6targetE0EEEvS14_.has_dyn_sized_stack, 0
	.set _ZN7rocprim17ROCPRIM_400000_NS6detail17trampoline_kernelINS0_14default_configENS1_22reduce_config_selectorIN6thrust23THRUST_200600_302600_NS5tupleIblNS6_9null_typeES8_S8_S8_S8_S8_S8_S8_EEEEZNS1_11reduce_implILb1ES3_NS6_12zip_iteratorINS7_INS6_11hip_rocprim26transform_input_iterator_tIbNSD_35transform_pair_of_input_iterators_tIbNS6_6detail15normal_iteratorINS6_10device_ptrIKfEEEESL_NS6_8equal_toIfEEEENSG_9not_fun_tINSD_8identityEEEEENSD_19counting_iterator_tIlEES8_S8_S8_S8_S8_S8_S8_S8_EEEEPS9_S9_NSD_9__find_if7functorIS9_EEEE10hipError_tPvRmT1_T2_T3_mT4_P12ihipStream_tbEUlT_E0_NS1_11comp_targetILNS1_3genE10ELNS1_11target_archE1200ELNS1_3gpuE4ELNS1_3repE0EEENS1_30default_config_static_selectorELNS0_4arch9wavefront6targetE0EEEvS14_.has_recursion, 0
	.set _ZN7rocprim17ROCPRIM_400000_NS6detail17trampoline_kernelINS0_14default_configENS1_22reduce_config_selectorIN6thrust23THRUST_200600_302600_NS5tupleIblNS6_9null_typeES8_S8_S8_S8_S8_S8_S8_EEEEZNS1_11reduce_implILb1ES3_NS6_12zip_iteratorINS7_INS6_11hip_rocprim26transform_input_iterator_tIbNSD_35transform_pair_of_input_iterators_tIbNS6_6detail15normal_iteratorINS6_10device_ptrIKfEEEESL_NS6_8equal_toIfEEEENSG_9not_fun_tINSD_8identityEEEEENSD_19counting_iterator_tIlEES8_S8_S8_S8_S8_S8_S8_S8_EEEEPS9_S9_NSD_9__find_if7functorIS9_EEEE10hipError_tPvRmT1_T2_T3_mT4_P12ihipStream_tbEUlT_E0_NS1_11comp_targetILNS1_3genE10ELNS1_11target_archE1200ELNS1_3gpuE4ELNS1_3repE0EEENS1_30default_config_static_selectorELNS0_4arch9wavefront6targetE0EEEvS14_.has_indirect_call, 0
	.section	.AMDGPU.csdata,"",@progbits
; Kernel info:
; codeLenInByte = 0
; TotalNumSgprs: 0
; NumVgprs: 0
; ScratchSize: 0
; MemoryBound: 0
; FloatMode: 240
; IeeeMode: 1
; LDSByteSize: 0 bytes/workgroup (compile time only)
; SGPRBlocks: 0
; VGPRBlocks: 0
; NumSGPRsForWavesPerEU: 1
; NumVGPRsForWavesPerEU: 1
; Occupancy: 16
; WaveLimiterHint : 0
; COMPUTE_PGM_RSRC2:SCRATCH_EN: 0
; COMPUTE_PGM_RSRC2:USER_SGPR: 6
; COMPUTE_PGM_RSRC2:TRAP_HANDLER: 0
; COMPUTE_PGM_RSRC2:TGID_X_EN: 1
; COMPUTE_PGM_RSRC2:TGID_Y_EN: 0
; COMPUTE_PGM_RSRC2:TGID_Z_EN: 0
; COMPUTE_PGM_RSRC2:TIDIG_COMP_CNT: 0
	.section	.text._ZN7rocprim17ROCPRIM_400000_NS6detail17trampoline_kernelINS0_14default_configENS1_22reduce_config_selectorIN6thrust23THRUST_200600_302600_NS5tupleIblNS6_9null_typeES8_S8_S8_S8_S8_S8_S8_EEEEZNS1_11reduce_implILb1ES3_NS6_12zip_iteratorINS7_INS6_11hip_rocprim26transform_input_iterator_tIbNSD_35transform_pair_of_input_iterators_tIbNS6_6detail15normal_iteratorINS6_10device_ptrIKfEEEESL_NS6_8equal_toIfEEEENSG_9not_fun_tINSD_8identityEEEEENSD_19counting_iterator_tIlEES8_S8_S8_S8_S8_S8_S8_S8_EEEEPS9_S9_NSD_9__find_if7functorIS9_EEEE10hipError_tPvRmT1_T2_T3_mT4_P12ihipStream_tbEUlT_E0_NS1_11comp_targetILNS1_3genE9ELNS1_11target_archE1100ELNS1_3gpuE3ELNS1_3repE0EEENS1_30default_config_static_selectorELNS0_4arch9wavefront6targetE0EEEvS14_,"axG",@progbits,_ZN7rocprim17ROCPRIM_400000_NS6detail17trampoline_kernelINS0_14default_configENS1_22reduce_config_selectorIN6thrust23THRUST_200600_302600_NS5tupleIblNS6_9null_typeES8_S8_S8_S8_S8_S8_S8_EEEEZNS1_11reduce_implILb1ES3_NS6_12zip_iteratorINS7_INS6_11hip_rocprim26transform_input_iterator_tIbNSD_35transform_pair_of_input_iterators_tIbNS6_6detail15normal_iteratorINS6_10device_ptrIKfEEEESL_NS6_8equal_toIfEEEENSG_9not_fun_tINSD_8identityEEEEENSD_19counting_iterator_tIlEES8_S8_S8_S8_S8_S8_S8_S8_EEEEPS9_S9_NSD_9__find_if7functorIS9_EEEE10hipError_tPvRmT1_T2_T3_mT4_P12ihipStream_tbEUlT_E0_NS1_11comp_targetILNS1_3genE9ELNS1_11target_archE1100ELNS1_3gpuE3ELNS1_3repE0EEENS1_30default_config_static_selectorELNS0_4arch9wavefront6targetE0EEEvS14_,comdat
	.protected	_ZN7rocprim17ROCPRIM_400000_NS6detail17trampoline_kernelINS0_14default_configENS1_22reduce_config_selectorIN6thrust23THRUST_200600_302600_NS5tupleIblNS6_9null_typeES8_S8_S8_S8_S8_S8_S8_EEEEZNS1_11reduce_implILb1ES3_NS6_12zip_iteratorINS7_INS6_11hip_rocprim26transform_input_iterator_tIbNSD_35transform_pair_of_input_iterators_tIbNS6_6detail15normal_iteratorINS6_10device_ptrIKfEEEESL_NS6_8equal_toIfEEEENSG_9not_fun_tINSD_8identityEEEEENSD_19counting_iterator_tIlEES8_S8_S8_S8_S8_S8_S8_S8_EEEEPS9_S9_NSD_9__find_if7functorIS9_EEEE10hipError_tPvRmT1_T2_T3_mT4_P12ihipStream_tbEUlT_E0_NS1_11comp_targetILNS1_3genE9ELNS1_11target_archE1100ELNS1_3gpuE3ELNS1_3repE0EEENS1_30default_config_static_selectorELNS0_4arch9wavefront6targetE0EEEvS14_ ; -- Begin function _ZN7rocprim17ROCPRIM_400000_NS6detail17trampoline_kernelINS0_14default_configENS1_22reduce_config_selectorIN6thrust23THRUST_200600_302600_NS5tupleIblNS6_9null_typeES8_S8_S8_S8_S8_S8_S8_EEEEZNS1_11reduce_implILb1ES3_NS6_12zip_iteratorINS7_INS6_11hip_rocprim26transform_input_iterator_tIbNSD_35transform_pair_of_input_iterators_tIbNS6_6detail15normal_iteratorINS6_10device_ptrIKfEEEESL_NS6_8equal_toIfEEEENSG_9not_fun_tINSD_8identityEEEEENSD_19counting_iterator_tIlEES8_S8_S8_S8_S8_S8_S8_S8_EEEEPS9_S9_NSD_9__find_if7functorIS9_EEEE10hipError_tPvRmT1_T2_T3_mT4_P12ihipStream_tbEUlT_E0_NS1_11comp_targetILNS1_3genE9ELNS1_11target_archE1100ELNS1_3gpuE3ELNS1_3repE0EEENS1_30default_config_static_selectorELNS0_4arch9wavefront6targetE0EEEvS14_
	.globl	_ZN7rocprim17ROCPRIM_400000_NS6detail17trampoline_kernelINS0_14default_configENS1_22reduce_config_selectorIN6thrust23THRUST_200600_302600_NS5tupleIblNS6_9null_typeES8_S8_S8_S8_S8_S8_S8_EEEEZNS1_11reduce_implILb1ES3_NS6_12zip_iteratorINS7_INS6_11hip_rocprim26transform_input_iterator_tIbNSD_35transform_pair_of_input_iterators_tIbNS6_6detail15normal_iteratorINS6_10device_ptrIKfEEEESL_NS6_8equal_toIfEEEENSG_9not_fun_tINSD_8identityEEEEENSD_19counting_iterator_tIlEES8_S8_S8_S8_S8_S8_S8_S8_EEEEPS9_S9_NSD_9__find_if7functorIS9_EEEE10hipError_tPvRmT1_T2_T3_mT4_P12ihipStream_tbEUlT_E0_NS1_11comp_targetILNS1_3genE9ELNS1_11target_archE1100ELNS1_3gpuE3ELNS1_3repE0EEENS1_30default_config_static_selectorELNS0_4arch9wavefront6targetE0EEEvS14_
	.p2align	8
	.type	_ZN7rocprim17ROCPRIM_400000_NS6detail17trampoline_kernelINS0_14default_configENS1_22reduce_config_selectorIN6thrust23THRUST_200600_302600_NS5tupleIblNS6_9null_typeES8_S8_S8_S8_S8_S8_S8_EEEEZNS1_11reduce_implILb1ES3_NS6_12zip_iteratorINS7_INS6_11hip_rocprim26transform_input_iterator_tIbNSD_35transform_pair_of_input_iterators_tIbNS6_6detail15normal_iteratorINS6_10device_ptrIKfEEEESL_NS6_8equal_toIfEEEENSG_9not_fun_tINSD_8identityEEEEENSD_19counting_iterator_tIlEES8_S8_S8_S8_S8_S8_S8_S8_EEEEPS9_S9_NSD_9__find_if7functorIS9_EEEE10hipError_tPvRmT1_T2_T3_mT4_P12ihipStream_tbEUlT_E0_NS1_11comp_targetILNS1_3genE9ELNS1_11target_archE1100ELNS1_3gpuE3ELNS1_3repE0EEENS1_30default_config_static_selectorELNS0_4arch9wavefront6targetE0EEEvS14_,@function
_ZN7rocprim17ROCPRIM_400000_NS6detail17trampoline_kernelINS0_14default_configENS1_22reduce_config_selectorIN6thrust23THRUST_200600_302600_NS5tupleIblNS6_9null_typeES8_S8_S8_S8_S8_S8_S8_EEEEZNS1_11reduce_implILb1ES3_NS6_12zip_iteratorINS7_INS6_11hip_rocprim26transform_input_iterator_tIbNSD_35transform_pair_of_input_iterators_tIbNS6_6detail15normal_iteratorINS6_10device_ptrIKfEEEESL_NS6_8equal_toIfEEEENSG_9not_fun_tINSD_8identityEEEEENSD_19counting_iterator_tIlEES8_S8_S8_S8_S8_S8_S8_S8_EEEEPS9_S9_NSD_9__find_if7functorIS9_EEEE10hipError_tPvRmT1_T2_T3_mT4_P12ihipStream_tbEUlT_E0_NS1_11comp_targetILNS1_3genE9ELNS1_11target_archE1100ELNS1_3gpuE3ELNS1_3repE0EEENS1_30default_config_static_selectorELNS0_4arch9wavefront6targetE0EEEvS14_: ; @_ZN7rocprim17ROCPRIM_400000_NS6detail17trampoline_kernelINS0_14default_configENS1_22reduce_config_selectorIN6thrust23THRUST_200600_302600_NS5tupleIblNS6_9null_typeES8_S8_S8_S8_S8_S8_S8_EEEEZNS1_11reduce_implILb1ES3_NS6_12zip_iteratorINS7_INS6_11hip_rocprim26transform_input_iterator_tIbNSD_35transform_pair_of_input_iterators_tIbNS6_6detail15normal_iteratorINS6_10device_ptrIKfEEEESL_NS6_8equal_toIfEEEENSG_9not_fun_tINSD_8identityEEEEENSD_19counting_iterator_tIlEES8_S8_S8_S8_S8_S8_S8_S8_EEEEPS9_S9_NSD_9__find_if7functorIS9_EEEE10hipError_tPvRmT1_T2_T3_mT4_P12ihipStream_tbEUlT_E0_NS1_11comp_targetILNS1_3genE9ELNS1_11target_archE1100ELNS1_3gpuE3ELNS1_3repE0EEENS1_30default_config_static_selectorELNS0_4arch9wavefront6targetE0EEEvS14_
; %bb.0:
	.section	.rodata,"a",@progbits
	.p2align	6, 0x0
	.amdhsa_kernel _ZN7rocprim17ROCPRIM_400000_NS6detail17trampoline_kernelINS0_14default_configENS1_22reduce_config_selectorIN6thrust23THRUST_200600_302600_NS5tupleIblNS6_9null_typeES8_S8_S8_S8_S8_S8_S8_EEEEZNS1_11reduce_implILb1ES3_NS6_12zip_iteratorINS7_INS6_11hip_rocprim26transform_input_iterator_tIbNSD_35transform_pair_of_input_iterators_tIbNS6_6detail15normal_iteratorINS6_10device_ptrIKfEEEESL_NS6_8equal_toIfEEEENSG_9not_fun_tINSD_8identityEEEEENSD_19counting_iterator_tIlEES8_S8_S8_S8_S8_S8_S8_S8_EEEEPS9_S9_NSD_9__find_if7functorIS9_EEEE10hipError_tPvRmT1_T2_T3_mT4_P12ihipStream_tbEUlT_E0_NS1_11comp_targetILNS1_3genE9ELNS1_11target_archE1100ELNS1_3gpuE3ELNS1_3repE0EEENS1_30default_config_static_selectorELNS0_4arch9wavefront6targetE0EEEvS14_
		.amdhsa_group_segment_fixed_size 0
		.amdhsa_private_segment_fixed_size 0
		.amdhsa_kernarg_size 104
		.amdhsa_user_sgpr_count 6
		.amdhsa_user_sgpr_private_segment_buffer 1
		.amdhsa_user_sgpr_dispatch_ptr 0
		.amdhsa_user_sgpr_queue_ptr 0
		.amdhsa_user_sgpr_kernarg_segment_ptr 1
		.amdhsa_user_sgpr_dispatch_id 0
		.amdhsa_user_sgpr_flat_scratch_init 0
		.amdhsa_user_sgpr_private_segment_size 0
		.amdhsa_wavefront_size32 1
		.amdhsa_uses_dynamic_stack 0
		.amdhsa_system_sgpr_private_segment_wavefront_offset 0
		.amdhsa_system_sgpr_workgroup_id_x 1
		.amdhsa_system_sgpr_workgroup_id_y 0
		.amdhsa_system_sgpr_workgroup_id_z 0
		.amdhsa_system_sgpr_workgroup_info 0
		.amdhsa_system_vgpr_workitem_id 0
		.amdhsa_next_free_vgpr 1
		.amdhsa_next_free_sgpr 1
		.amdhsa_reserve_vcc 0
		.amdhsa_reserve_flat_scratch 0
		.amdhsa_float_round_mode_32 0
		.amdhsa_float_round_mode_16_64 0
		.amdhsa_float_denorm_mode_32 3
		.amdhsa_float_denorm_mode_16_64 3
		.amdhsa_dx10_clamp 1
		.amdhsa_ieee_mode 1
		.amdhsa_fp16_overflow 0
		.amdhsa_workgroup_processor_mode 1
		.amdhsa_memory_ordered 1
		.amdhsa_forward_progress 1
		.amdhsa_shared_vgpr_count 0
		.amdhsa_exception_fp_ieee_invalid_op 0
		.amdhsa_exception_fp_denorm_src 0
		.amdhsa_exception_fp_ieee_div_zero 0
		.amdhsa_exception_fp_ieee_overflow 0
		.amdhsa_exception_fp_ieee_underflow 0
		.amdhsa_exception_fp_ieee_inexact 0
		.amdhsa_exception_int_div_zero 0
	.end_amdhsa_kernel
	.section	.text._ZN7rocprim17ROCPRIM_400000_NS6detail17trampoline_kernelINS0_14default_configENS1_22reduce_config_selectorIN6thrust23THRUST_200600_302600_NS5tupleIblNS6_9null_typeES8_S8_S8_S8_S8_S8_S8_EEEEZNS1_11reduce_implILb1ES3_NS6_12zip_iteratorINS7_INS6_11hip_rocprim26transform_input_iterator_tIbNSD_35transform_pair_of_input_iterators_tIbNS6_6detail15normal_iteratorINS6_10device_ptrIKfEEEESL_NS6_8equal_toIfEEEENSG_9not_fun_tINSD_8identityEEEEENSD_19counting_iterator_tIlEES8_S8_S8_S8_S8_S8_S8_S8_EEEEPS9_S9_NSD_9__find_if7functorIS9_EEEE10hipError_tPvRmT1_T2_T3_mT4_P12ihipStream_tbEUlT_E0_NS1_11comp_targetILNS1_3genE9ELNS1_11target_archE1100ELNS1_3gpuE3ELNS1_3repE0EEENS1_30default_config_static_selectorELNS0_4arch9wavefront6targetE0EEEvS14_,"axG",@progbits,_ZN7rocprim17ROCPRIM_400000_NS6detail17trampoline_kernelINS0_14default_configENS1_22reduce_config_selectorIN6thrust23THRUST_200600_302600_NS5tupleIblNS6_9null_typeES8_S8_S8_S8_S8_S8_S8_EEEEZNS1_11reduce_implILb1ES3_NS6_12zip_iteratorINS7_INS6_11hip_rocprim26transform_input_iterator_tIbNSD_35transform_pair_of_input_iterators_tIbNS6_6detail15normal_iteratorINS6_10device_ptrIKfEEEESL_NS6_8equal_toIfEEEENSG_9not_fun_tINSD_8identityEEEEENSD_19counting_iterator_tIlEES8_S8_S8_S8_S8_S8_S8_S8_EEEEPS9_S9_NSD_9__find_if7functorIS9_EEEE10hipError_tPvRmT1_T2_T3_mT4_P12ihipStream_tbEUlT_E0_NS1_11comp_targetILNS1_3genE9ELNS1_11target_archE1100ELNS1_3gpuE3ELNS1_3repE0EEENS1_30default_config_static_selectorELNS0_4arch9wavefront6targetE0EEEvS14_,comdat
.Lfunc_end84:
	.size	_ZN7rocprim17ROCPRIM_400000_NS6detail17trampoline_kernelINS0_14default_configENS1_22reduce_config_selectorIN6thrust23THRUST_200600_302600_NS5tupleIblNS6_9null_typeES8_S8_S8_S8_S8_S8_S8_EEEEZNS1_11reduce_implILb1ES3_NS6_12zip_iteratorINS7_INS6_11hip_rocprim26transform_input_iterator_tIbNSD_35transform_pair_of_input_iterators_tIbNS6_6detail15normal_iteratorINS6_10device_ptrIKfEEEESL_NS6_8equal_toIfEEEENSG_9not_fun_tINSD_8identityEEEEENSD_19counting_iterator_tIlEES8_S8_S8_S8_S8_S8_S8_S8_EEEEPS9_S9_NSD_9__find_if7functorIS9_EEEE10hipError_tPvRmT1_T2_T3_mT4_P12ihipStream_tbEUlT_E0_NS1_11comp_targetILNS1_3genE9ELNS1_11target_archE1100ELNS1_3gpuE3ELNS1_3repE0EEENS1_30default_config_static_selectorELNS0_4arch9wavefront6targetE0EEEvS14_, .Lfunc_end84-_ZN7rocprim17ROCPRIM_400000_NS6detail17trampoline_kernelINS0_14default_configENS1_22reduce_config_selectorIN6thrust23THRUST_200600_302600_NS5tupleIblNS6_9null_typeES8_S8_S8_S8_S8_S8_S8_EEEEZNS1_11reduce_implILb1ES3_NS6_12zip_iteratorINS7_INS6_11hip_rocprim26transform_input_iterator_tIbNSD_35transform_pair_of_input_iterators_tIbNS6_6detail15normal_iteratorINS6_10device_ptrIKfEEEESL_NS6_8equal_toIfEEEENSG_9not_fun_tINSD_8identityEEEEENSD_19counting_iterator_tIlEES8_S8_S8_S8_S8_S8_S8_S8_EEEEPS9_S9_NSD_9__find_if7functorIS9_EEEE10hipError_tPvRmT1_T2_T3_mT4_P12ihipStream_tbEUlT_E0_NS1_11comp_targetILNS1_3genE9ELNS1_11target_archE1100ELNS1_3gpuE3ELNS1_3repE0EEENS1_30default_config_static_selectorELNS0_4arch9wavefront6targetE0EEEvS14_
                                        ; -- End function
	.set _ZN7rocprim17ROCPRIM_400000_NS6detail17trampoline_kernelINS0_14default_configENS1_22reduce_config_selectorIN6thrust23THRUST_200600_302600_NS5tupleIblNS6_9null_typeES8_S8_S8_S8_S8_S8_S8_EEEEZNS1_11reduce_implILb1ES3_NS6_12zip_iteratorINS7_INS6_11hip_rocprim26transform_input_iterator_tIbNSD_35transform_pair_of_input_iterators_tIbNS6_6detail15normal_iteratorINS6_10device_ptrIKfEEEESL_NS6_8equal_toIfEEEENSG_9not_fun_tINSD_8identityEEEEENSD_19counting_iterator_tIlEES8_S8_S8_S8_S8_S8_S8_S8_EEEEPS9_S9_NSD_9__find_if7functorIS9_EEEE10hipError_tPvRmT1_T2_T3_mT4_P12ihipStream_tbEUlT_E0_NS1_11comp_targetILNS1_3genE9ELNS1_11target_archE1100ELNS1_3gpuE3ELNS1_3repE0EEENS1_30default_config_static_selectorELNS0_4arch9wavefront6targetE0EEEvS14_.num_vgpr, 0
	.set _ZN7rocprim17ROCPRIM_400000_NS6detail17trampoline_kernelINS0_14default_configENS1_22reduce_config_selectorIN6thrust23THRUST_200600_302600_NS5tupleIblNS6_9null_typeES8_S8_S8_S8_S8_S8_S8_EEEEZNS1_11reduce_implILb1ES3_NS6_12zip_iteratorINS7_INS6_11hip_rocprim26transform_input_iterator_tIbNSD_35transform_pair_of_input_iterators_tIbNS6_6detail15normal_iteratorINS6_10device_ptrIKfEEEESL_NS6_8equal_toIfEEEENSG_9not_fun_tINSD_8identityEEEEENSD_19counting_iterator_tIlEES8_S8_S8_S8_S8_S8_S8_S8_EEEEPS9_S9_NSD_9__find_if7functorIS9_EEEE10hipError_tPvRmT1_T2_T3_mT4_P12ihipStream_tbEUlT_E0_NS1_11comp_targetILNS1_3genE9ELNS1_11target_archE1100ELNS1_3gpuE3ELNS1_3repE0EEENS1_30default_config_static_selectorELNS0_4arch9wavefront6targetE0EEEvS14_.num_agpr, 0
	.set _ZN7rocprim17ROCPRIM_400000_NS6detail17trampoline_kernelINS0_14default_configENS1_22reduce_config_selectorIN6thrust23THRUST_200600_302600_NS5tupleIblNS6_9null_typeES8_S8_S8_S8_S8_S8_S8_EEEEZNS1_11reduce_implILb1ES3_NS6_12zip_iteratorINS7_INS6_11hip_rocprim26transform_input_iterator_tIbNSD_35transform_pair_of_input_iterators_tIbNS6_6detail15normal_iteratorINS6_10device_ptrIKfEEEESL_NS6_8equal_toIfEEEENSG_9not_fun_tINSD_8identityEEEEENSD_19counting_iterator_tIlEES8_S8_S8_S8_S8_S8_S8_S8_EEEEPS9_S9_NSD_9__find_if7functorIS9_EEEE10hipError_tPvRmT1_T2_T3_mT4_P12ihipStream_tbEUlT_E0_NS1_11comp_targetILNS1_3genE9ELNS1_11target_archE1100ELNS1_3gpuE3ELNS1_3repE0EEENS1_30default_config_static_selectorELNS0_4arch9wavefront6targetE0EEEvS14_.numbered_sgpr, 0
	.set _ZN7rocprim17ROCPRIM_400000_NS6detail17trampoline_kernelINS0_14default_configENS1_22reduce_config_selectorIN6thrust23THRUST_200600_302600_NS5tupleIblNS6_9null_typeES8_S8_S8_S8_S8_S8_S8_EEEEZNS1_11reduce_implILb1ES3_NS6_12zip_iteratorINS7_INS6_11hip_rocprim26transform_input_iterator_tIbNSD_35transform_pair_of_input_iterators_tIbNS6_6detail15normal_iteratorINS6_10device_ptrIKfEEEESL_NS6_8equal_toIfEEEENSG_9not_fun_tINSD_8identityEEEEENSD_19counting_iterator_tIlEES8_S8_S8_S8_S8_S8_S8_S8_EEEEPS9_S9_NSD_9__find_if7functorIS9_EEEE10hipError_tPvRmT1_T2_T3_mT4_P12ihipStream_tbEUlT_E0_NS1_11comp_targetILNS1_3genE9ELNS1_11target_archE1100ELNS1_3gpuE3ELNS1_3repE0EEENS1_30default_config_static_selectorELNS0_4arch9wavefront6targetE0EEEvS14_.num_named_barrier, 0
	.set _ZN7rocprim17ROCPRIM_400000_NS6detail17trampoline_kernelINS0_14default_configENS1_22reduce_config_selectorIN6thrust23THRUST_200600_302600_NS5tupleIblNS6_9null_typeES8_S8_S8_S8_S8_S8_S8_EEEEZNS1_11reduce_implILb1ES3_NS6_12zip_iteratorINS7_INS6_11hip_rocprim26transform_input_iterator_tIbNSD_35transform_pair_of_input_iterators_tIbNS6_6detail15normal_iteratorINS6_10device_ptrIKfEEEESL_NS6_8equal_toIfEEEENSG_9not_fun_tINSD_8identityEEEEENSD_19counting_iterator_tIlEES8_S8_S8_S8_S8_S8_S8_S8_EEEEPS9_S9_NSD_9__find_if7functorIS9_EEEE10hipError_tPvRmT1_T2_T3_mT4_P12ihipStream_tbEUlT_E0_NS1_11comp_targetILNS1_3genE9ELNS1_11target_archE1100ELNS1_3gpuE3ELNS1_3repE0EEENS1_30default_config_static_selectorELNS0_4arch9wavefront6targetE0EEEvS14_.private_seg_size, 0
	.set _ZN7rocprim17ROCPRIM_400000_NS6detail17trampoline_kernelINS0_14default_configENS1_22reduce_config_selectorIN6thrust23THRUST_200600_302600_NS5tupleIblNS6_9null_typeES8_S8_S8_S8_S8_S8_S8_EEEEZNS1_11reduce_implILb1ES3_NS6_12zip_iteratorINS7_INS6_11hip_rocprim26transform_input_iterator_tIbNSD_35transform_pair_of_input_iterators_tIbNS6_6detail15normal_iteratorINS6_10device_ptrIKfEEEESL_NS6_8equal_toIfEEEENSG_9not_fun_tINSD_8identityEEEEENSD_19counting_iterator_tIlEES8_S8_S8_S8_S8_S8_S8_S8_EEEEPS9_S9_NSD_9__find_if7functorIS9_EEEE10hipError_tPvRmT1_T2_T3_mT4_P12ihipStream_tbEUlT_E0_NS1_11comp_targetILNS1_3genE9ELNS1_11target_archE1100ELNS1_3gpuE3ELNS1_3repE0EEENS1_30default_config_static_selectorELNS0_4arch9wavefront6targetE0EEEvS14_.uses_vcc, 0
	.set _ZN7rocprim17ROCPRIM_400000_NS6detail17trampoline_kernelINS0_14default_configENS1_22reduce_config_selectorIN6thrust23THRUST_200600_302600_NS5tupleIblNS6_9null_typeES8_S8_S8_S8_S8_S8_S8_EEEEZNS1_11reduce_implILb1ES3_NS6_12zip_iteratorINS7_INS6_11hip_rocprim26transform_input_iterator_tIbNSD_35transform_pair_of_input_iterators_tIbNS6_6detail15normal_iteratorINS6_10device_ptrIKfEEEESL_NS6_8equal_toIfEEEENSG_9not_fun_tINSD_8identityEEEEENSD_19counting_iterator_tIlEES8_S8_S8_S8_S8_S8_S8_S8_EEEEPS9_S9_NSD_9__find_if7functorIS9_EEEE10hipError_tPvRmT1_T2_T3_mT4_P12ihipStream_tbEUlT_E0_NS1_11comp_targetILNS1_3genE9ELNS1_11target_archE1100ELNS1_3gpuE3ELNS1_3repE0EEENS1_30default_config_static_selectorELNS0_4arch9wavefront6targetE0EEEvS14_.uses_flat_scratch, 0
	.set _ZN7rocprim17ROCPRIM_400000_NS6detail17trampoline_kernelINS0_14default_configENS1_22reduce_config_selectorIN6thrust23THRUST_200600_302600_NS5tupleIblNS6_9null_typeES8_S8_S8_S8_S8_S8_S8_EEEEZNS1_11reduce_implILb1ES3_NS6_12zip_iteratorINS7_INS6_11hip_rocprim26transform_input_iterator_tIbNSD_35transform_pair_of_input_iterators_tIbNS6_6detail15normal_iteratorINS6_10device_ptrIKfEEEESL_NS6_8equal_toIfEEEENSG_9not_fun_tINSD_8identityEEEEENSD_19counting_iterator_tIlEES8_S8_S8_S8_S8_S8_S8_S8_EEEEPS9_S9_NSD_9__find_if7functorIS9_EEEE10hipError_tPvRmT1_T2_T3_mT4_P12ihipStream_tbEUlT_E0_NS1_11comp_targetILNS1_3genE9ELNS1_11target_archE1100ELNS1_3gpuE3ELNS1_3repE0EEENS1_30default_config_static_selectorELNS0_4arch9wavefront6targetE0EEEvS14_.has_dyn_sized_stack, 0
	.set _ZN7rocprim17ROCPRIM_400000_NS6detail17trampoline_kernelINS0_14default_configENS1_22reduce_config_selectorIN6thrust23THRUST_200600_302600_NS5tupleIblNS6_9null_typeES8_S8_S8_S8_S8_S8_S8_EEEEZNS1_11reduce_implILb1ES3_NS6_12zip_iteratorINS7_INS6_11hip_rocprim26transform_input_iterator_tIbNSD_35transform_pair_of_input_iterators_tIbNS6_6detail15normal_iteratorINS6_10device_ptrIKfEEEESL_NS6_8equal_toIfEEEENSG_9not_fun_tINSD_8identityEEEEENSD_19counting_iterator_tIlEES8_S8_S8_S8_S8_S8_S8_S8_EEEEPS9_S9_NSD_9__find_if7functorIS9_EEEE10hipError_tPvRmT1_T2_T3_mT4_P12ihipStream_tbEUlT_E0_NS1_11comp_targetILNS1_3genE9ELNS1_11target_archE1100ELNS1_3gpuE3ELNS1_3repE0EEENS1_30default_config_static_selectorELNS0_4arch9wavefront6targetE0EEEvS14_.has_recursion, 0
	.set _ZN7rocprim17ROCPRIM_400000_NS6detail17trampoline_kernelINS0_14default_configENS1_22reduce_config_selectorIN6thrust23THRUST_200600_302600_NS5tupleIblNS6_9null_typeES8_S8_S8_S8_S8_S8_S8_EEEEZNS1_11reduce_implILb1ES3_NS6_12zip_iteratorINS7_INS6_11hip_rocprim26transform_input_iterator_tIbNSD_35transform_pair_of_input_iterators_tIbNS6_6detail15normal_iteratorINS6_10device_ptrIKfEEEESL_NS6_8equal_toIfEEEENSG_9not_fun_tINSD_8identityEEEEENSD_19counting_iterator_tIlEES8_S8_S8_S8_S8_S8_S8_S8_EEEEPS9_S9_NSD_9__find_if7functorIS9_EEEE10hipError_tPvRmT1_T2_T3_mT4_P12ihipStream_tbEUlT_E0_NS1_11comp_targetILNS1_3genE9ELNS1_11target_archE1100ELNS1_3gpuE3ELNS1_3repE0EEENS1_30default_config_static_selectorELNS0_4arch9wavefront6targetE0EEEvS14_.has_indirect_call, 0
	.section	.AMDGPU.csdata,"",@progbits
; Kernel info:
; codeLenInByte = 0
; TotalNumSgprs: 0
; NumVgprs: 0
; ScratchSize: 0
; MemoryBound: 0
; FloatMode: 240
; IeeeMode: 1
; LDSByteSize: 0 bytes/workgroup (compile time only)
; SGPRBlocks: 0
; VGPRBlocks: 0
; NumSGPRsForWavesPerEU: 1
; NumVGPRsForWavesPerEU: 1
; Occupancy: 16
; WaveLimiterHint : 0
; COMPUTE_PGM_RSRC2:SCRATCH_EN: 0
; COMPUTE_PGM_RSRC2:USER_SGPR: 6
; COMPUTE_PGM_RSRC2:TRAP_HANDLER: 0
; COMPUTE_PGM_RSRC2:TGID_X_EN: 1
; COMPUTE_PGM_RSRC2:TGID_Y_EN: 0
; COMPUTE_PGM_RSRC2:TGID_Z_EN: 0
; COMPUTE_PGM_RSRC2:TIDIG_COMP_CNT: 0
	.section	.text._ZN7rocprim17ROCPRIM_400000_NS6detail17trampoline_kernelINS0_14default_configENS1_22reduce_config_selectorIN6thrust23THRUST_200600_302600_NS5tupleIblNS6_9null_typeES8_S8_S8_S8_S8_S8_S8_EEEEZNS1_11reduce_implILb1ES3_NS6_12zip_iteratorINS7_INS6_11hip_rocprim26transform_input_iterator_tIbNSD_35transform_pair_of_input_iterators_tIbNS6_6detail15normal_iteratorINS6_10device_ptrIKfEEEESL_NS6_8equal_toIfEEEENSG_9not_fun_tINSD_8identityEEEEENSD_19counting_iterator_tIlEES8_S8_S8_S8_S8_S8_S8_S8_EEEEPS9_S9_NSD_9__find_if7functorIS9_EEEE10hipError_tPvRmT1_T2_T3_mT4_P12ihipStream_tbEUlT_E0_NS1_11comp_targetILNS1_3genE8ELNS1_11target_archE1030ELNS1_3gpuE2ELNS1_3repE0EEENS1_30default_config_static_selectorELNS0_4arch9wavefront6targetE0EEEvS14_,"axG",@progbits,_ZN7rocprim17ROCPRIM_400000_NS6detail17trampoline_kernelINS0_14default_configENS1_22reduce_config_selectorIN6thrust23THRUST_200600_302600_NS5tupleIblNS6_9null_typeES8_S8_S8_S8_S8_S8_S8_EEEEZNS1_11reduce_implILb1ES3_NS6_12zip_iteratorINS7_INS6_11hip_rocprim26transform_input_iterator_tIbNSD_35transform_pair_of_input_iterators_tIbNS6_6detail15normal_iteratorINS6_10device_ptrIKfEEEESL_NS6_8equal_toIfEEEENSG_9not_fun_tINSD_8identityEEEEENSD_19counting_iterator_tIlEES8_S8_S8_S8_S8_S8_S8_S8_EEEEPS9_S9_NSD_9__find_if7functorIS9_EEEE10hipError_tPvRmT1_T2_T3_mT4_P12ihipStream_tbEUlT_E0_NS1_11comp_targetILNS1_3genE8ELNS1_11target_archE1030ELNS1_3gpuE2ELNS1_3repE0EEENS1_30default_config_static_selectorELNS0_4arch9wavefront6targetE0EEEvS14_,comdat
	.protected	_ZN7rocprim17ROCPRIM_400000_NS6detail17trampoline_kernelINS0_14default_configENS1_22reduce_config_selectorIN6thrust23THRUST_200600_302600_NS5tupleIblNS6_9null_typeES8_S8_S8_S8_S8_S8_S8_EEEEZNS1_11reduce_implILb1ES3_NS6_12zip_iteratorINS7_INS6_11hip_rocprim26transform_input_iterator_tIbNSD_35transform_pair_of_input_iterators_tIbNS6_6detail15normal_iteratorINS6_10device_ptrIKfEEEESL_NS6_8equal_toIfEEEENSG_9not_fun_tINSD_8identityEEEEENSD_19counting_iterator_tIlEES8_S8_S8_S8_S8_S8_S8_S8_EEEEPS9_S9_NSD_9__find_if7functorIS9_EEEE10hipError_tPvRmT1_T2_T3_mT4_P12ihipStream_tbEUlT_E0_NS1_11comp_targetILNS1_3genE8ELNS1_11target_archE1030ELNS1_3gpuE2ELNS1_3repE0EEENS1_30default_config_static_selectorELNS0_4arch9wavefront6targetE0EEEvS14_ ; -- Begin function _ZN7rocprim17ROCPRIM_400000_NS6detail17trampoline_kernelINS0_14default_configENS1_22reduce_config_selectorIN6thrust23THRUST_200600_302600_NS5tupleIblNS6_9null_typeES8_S8_S8_S8_S8_S8_S8_EEEEZNS1_11reduce_implILb1ES3_NS6_12zip_iteratorINS7_INS6_11hip_rocprim26transform_input_iterator_tIbNSD_35transform_pair_of_input_iterators_tIbNS6_6detail15normal_iteratorINS6_10device_ptrIKfEEEESL_NS6_8equal_toIfEEEENSG_9not_fun_tINSD_8identityEEEEENSD_19counting_iterator_tIlEES8_S8_S8_S8_S8_S8_S8_S8_EEEEPS9_S9_NSD_9__find_if7functorIS9_EEEE10hipError_tPvRmT1_T2_T3_mT4_P12ihipStream_tbEUlT_E0_NS1_11comp_targetILNS1_3genE8ELNS1_11target_archE1030ELNS1_3gpuE2ELNS1_3repE0EEENS1_30default_config_static_selectorELNS0_4arch9wavefront6targetE0EEEvS14_
	.globl	_ZN7rocprim17ROCPRIM_400000_NS6detail17trampoline_kernelINS0_14default_configENS1_22reduce_config_selectorIN6thrust23THRUST_200600_302600_NS5tupleIblNS6_9null_typeES8_S8_S8_S8_S8_S8_S8_EEEEZNS1_11reduce_implILb1ES3_NS6_12zip_iteratorINS7_INS6_11hip_rocprim26transform_input_iterator_tIbNSD_35transform_pair_of_input_iterators_tIbNS6_6detail15normal_iteratorINS6_10device_ptrIKfEEEESL_NS6_8equal_toIfEEEENSG_9not_fun_tINSD_8identityEEEEENSD_19counting_iterator_tIlEES8_S8_S8_S8_S8_S8_S8_S8_EEEEPS9_S9_NSD_9__find_if7functorIS9_EEEE10hipError_tPvRmT1_T2_T3_mT4_P12ihipStream_tbEUlT_E0_NS1_11comp_targetILNS1_3genE8ELNS1_11target_archE1030ELNS1_3gpuE2ELNS1_3repE0EEENS1_30default_config_static_selectorELNS0_4arch9wavefront6targetE0EEEvS14_
	.p2align	8
	.type	_ZN7rocprim17ROCPRIM_400000_NS6detail17trampoline_kernelINS0_14default_configENS1_22reduce_config_selectorIN6thrust23THRUST_200600_302600_NS5tupleIblNS6_9null_typeES8_S8_S8_S8_S8_S8_S8_EEEEZNS1_11reduce_implILb1ES3_NS6_12zip_iteratorINS7_INS6_11hip_rocprim26transform_input_iterator_tIbNSD_35transform_pair_of_input_iterators_tIbNS6_6detail15normal_iteratorINS6_10device_ptrIKfEEEESL_NS6_8equal_toIfEEEENSG_9not_fun_tINSD_8identityEEEEENSD_19counting_iterator_tIlEES8_S8_S8_S8_S8_S8_S8_S8_EEEEPS9_S9_NSD_9__find_if7functorIS9_EEEE10hipError_tPvRmT1_T2_T3_mT4_P12ihipStream_tbEUlT_E0_NS1_11comp_targetILNS1_3genE8ELNS1_11target_archE1030ELNS1_3gpuE2ELNS1_3repE0EEENS1_30default_config_static_selectorELNS0_4arch9wavefront6targetE0EEEvS14_,@function
_ZN7rocprim17ROCPRIM_400000_NS6detail17trampoline_kernelINS0_14default_configENS1_22reduce_config_selectorIN6thrust23THRUST_200600_302600_NS5tupleIblNS6_9null_typeES8_S8_S8_S8_S8_S8_S8_EEEEZNS1_11reduce_implILb1ES3_NS6_12zip_iteratorINS7_INS6_11hip_rocprim26transform_input_iterator_tIbNSD_35transform_pair_of_input_iterators_tIbNS6_6detail15normal_iteratorINS6_10device_ptrIKfEEEESL_NS6_8equal_toIfEEEENSG_9not_fun_tINSD_8identityEEEEENSD_19counting_iterator_tIlEES8_S8_S8_S8_S8_S8_S8_S8_EEEEPS9_S9_NSD_9__find_if7functorIS9_EEEE10hipError_tPvRmT1_T2_T3_mT4_P12ihipStream_tbEUlT_E0_NS1_11comp_targetILNS1_3genE8ELNS1_11target_archE1030ELNS1_3gpuE2ELNS1_3repE0EEENS1_30default_config_static_selectorELNS0_4arch9wavefront6targetE0EEEvS14_: ; @_ZN7rocprim17ROCPRIM_400000_NS6detail17trampoline_kernelINS0_14default_configENS1_22reduce_config_selectorIN6thrust23THRUST_200600_302600_NS5tupleIblNS6_9null_typeES8_S8_S8_S8_S8_S8_S8_EEEEZNS1_11reduce_implILb1ES3_NS6_12zip_iteratorINS7_INS6_11hip_rocprim26transform_input_iterator_tIbNSD_35transform_pair_of_input_iterators_tIbNS6_6detail15normal_iteratorINS6_10device_ptrIKfEEEESL_NS6_8equal_toIfEEEENSG_9not_fun_tINSD_8identityEEEEENSD_19counting_iterator_tIlEES8_S8_S8_S8_S8_S8_S8_S8_EEEEPS9_S9_NSD_9__find_if7functorIS9_EEEE10hipError_tPvRmT1_T2_T3_mT4_P12ihipStream_tbEUlT_E0_NS1_11comp_targetILNS1_3genE8ELNS1_11target_archE1030ELNS1_3gpuE2ELNS1_3repE0EEENS1_30default_config_static_selectorELNS0_4arch9wavefront6targetE0EEEvS14_
; %bb.0:
	s_clause 0x2
	s_load_dwordx8 s[8:15], s[4:5], 0x20
	s_load_dwordx4 s[0:3], s[4:5], 0x0
	s_load_dwordx4 s[16:19], s[4:5], 0x40
	s_mov_b32 s23, 0
	v_lshlrev_b32_e32 v9, 2, v0
	v_mbcnt_lo_u32_b32 v7, -1, 0
	s_mov_b32 s7, s23
	s_waitcnt lgkmcnt(0)
	s_lshl_b64 s[20:21], s[10:11], 2
	s_add_u32 s26, s0, s20
	s_addc_u32 s27, s1, s21
	s_add_u32 s20, s2, s20
	s_addc_u32 s21, s3, s21
	s_lshl_b32 s22, s6, 9
	s_lshr_b64 s[24:25], s[12:13], 9
	s_lshl_b64 s[0:1], s[22:23], 2
	s_add_u32 s2, s26, s0
	s_addc_u32 s3, s27, s1
	s_add_u32 s20, s20, s0
	s_addc_u32 s21, s21, s1
	;; [unrolled: 2-line block ×4, first 2 shown]
	s_cmp_lg_u64 s[24:25], s[6:7]
	s_cbranch_scc0 .LBB85_18
; %bb.1:
	s_clause 0x3
	global_load_dword v1, v9, s[2:3]
	global_load_dword v2, v9, s[20:21]
	global_load_dword v3, v9, s[20:21] offset:1024
	global_load_dword v4, v9, s[2:3] offset:1024
	v_add_co_u32 v5, s0, s10, v0
	v_add_co_ci_u32_e64 v6, null, s11, 0, s0
	v_add_co_u32 v8, vcc_lo, 0x100, v5
	v_add_co_ci_u32_e64 v10, null, 0, v6, vcc_lo
	s_waitcnt vmcnt(2)
	v_cmp_neq_f32_e32 vcc_lo, v1, v2
	s_waitcnt vmcnt(0)
	v_cmp_neq_f32_e64 s0, v4, v3
	v_cndmask_b32_e32 v2, v10, v6, vcc_lo
	v_cndmask_b32_e32 v1, v8, v5, vcc_lo
	s_or_b32 s0, vcc_lo, s0
	v_cndmask_b32_e64 v5, 0, 1, s0
	v_mov_b32_dpp v4, v2 quad_perm:[1,0,3,2] row_mask:0xf bank_mask:0xf
	v_mov_b32_dpp v3, v1 quad_perm:[1,0,3,2] row_mask:0xf bank_mask:0xf
	;; [unrolled: 1-line block ×3, first 2 shown]
	v_cmp_lt_i64_e32 vcc_lo, v[1:2], v[3:4]
	v_and_b32_e32 v6, 1, v6
	s_and_b32 vcc_lo, s0, vcc_lo
	v_cndmask_b32_e32 v3, v3, v1, vcc_lo
	v_cndmask_b32_e32 v4, v4, v2, vcc_lo
	v_cmp_eq_u32_e32 vcc_lo, 1, v6
	v_cndmask_b32_e32 v2, v2, v4, vcc_lo
	v_cndmask_b32_e32 v1, v1, v3, vcc_lo
	v_cndmask_b32_e64 v5, v5, 1, vcc_lo
	v_mov_b32_dpp v4, v2 quad_perm:[2,3,0,1] row_mask:0xf bank_mask:0xf
	v_mov_b32_dpp v3, v1 quad_perm:[2,3,0,1] row_mask:0xf bank_mask:0xf
	v_and_b32_e32 v8, 1, v5
	v_mov_b32_dpp v6, v5 quad_perm:[2,3,0,1] row_mask:0xf bank_mask:0xf
	v_cmp_lt_i64_e32 vcc_lo, v[1:2], v[3:4]
	v_cmp_eq_u32_e64 s0, 1, v8
	v_and_b32_e32 v6, 1, v6
	s_and_b32 vcc_lo, s0, vcc_lo
	v_cmp_eq_u32_e64 s1, 1, v6
	v_cndmask_b32_e32 v3, v3, v1, vcc_lo
	v_cndmask_b32_e32 v4, v4, v2, vcc_lo
	v_cndmask_b32_e64 v5, v5, 1, s1
	v_cndmask_b32_e64 v1, v1, v3, s1
	;; [unrolled: 1-line block ×3, first 2 shown]
	v_and_b32_e32 v8, 1, v5
	v_mov_b32_dpp v3, v1 row_ror:4 row_mask:0xf bank_mask:0xf
	v_mov_b32_dpp v4, v2 row_ror:4 row_mask:0xf bank_mask:0xf
	;; [unrolled: 1-line block ×3, first 2 shown]
	v_cmp_eq_u32_e64 s0, 1, v8
	v_cmp_lt_i64_e32 vcc_lo, v[1:2], v[3:4]
	v_and_b32_e32 v6, 1, v6
	s_and_b32 vcc_lo, s0, vcc_lo
	v_cmp_eq_u32_e64 s1, 1, v6
	v_cndmask_b32_e32 v3, v3, v1, vcc_lo
	v_cndmask_b32_e32 v4, v4, v2, vcc_lo
	v_cndmask_b32_e64 v5, v5, 1, s1
	v_cndmask_b32_e64 v1, v1, v3, s1
	;; [unrolled: 1-line block ×3, first 2 shown]
	v_and_b32_e32 v8, 1, v5
	v_mov_b32_dpp v3, v1 row_ror:8 row_mask:0xf bank_mask:0xf
	v_mov_b32_dpp v4, v2 row_ror:8 row_mask:0xf bank_mask:0xf
	;; [unrolled: 1-line block ×3, first 2 shown]
	v_cmp_eq_u32_e64 s0, 1, v8
	v_cmp_lt_i64_e32 vcc_lo, v[1:2], v[3:4]
	v_and_b32_e32 v6, 1, v6
	s_and_b32 vcc_lo, s0, vcc_lo
	v_cmp_eq_u32_e64 s1, 1, v6
	v_cndmask_b32_e32 v3, v3, v1, vcc_lo
	v_cndmask_b32_e32 v4, v4, v2, vcc_lo
	v_cndmask_b32_e64 v5, v5, 1, s1
	v_cndmask_b32_e64 v1, v1, v3, s1
	;; [unrolled: 1-line block ×3, first 2 shown]
	ds_swizzle_b32 v6, v5 offset:swizzle(BROADCAST,32,15)
	ds_swizzle_b32 v3, v1 offset:swizzle(BROADCAST,32,15)
	;; [unrolled: 1-line block ×3, first 2 shown]
	v_and_b32_e32 v8, 1, v5
	v_cmp_eq_u32_e64 s0, 1, v8
	s_waitcnt lgkmcnt(2)
	v_and_b32_e32 v6, 1, v6
	s_waitcnt lgkmcnt(0)
	v_cmp_lt_i64_e32 vcc_lo, v[1:2], v[3:4]
	v_cmp_eq_u32_e64 s1, 1, v6
	v_mov_b32_e32 v6, 0
	s_and_b32 vcc_lo, s0, vcc_lo
	s_mov_b32 s0, exec_lo
	v_cndmask_b32_e32 v3, v3, v1, vcc_lo
	v_cndmask_b32_e32 v4, v4, v2, vcc_lo
	v_cndmask_b32_e64 v5, v5, 1, s1
	v_cndmask_b32_e64 v1, v1, v3, s1
	;; [unrolled: 1-line block ×3, first 2 shown]
	ds_bpermute_b32 v8, v6, v5 offset:124
	ds_bpermute_b32 v1, v6, v1 offset:124
	;; [unrolled: 1-line block ×3, first 2 shown]
	v_cmpx_eq_u32_e32 0, v7
	s_cbranch_execz .LBB85_3
; %bb.2:
	v_lshrrev_b32_e32 v3, 1, v0
	v_and_b32_e32 v3, 0x70, v3
	s_waitcnt lgkmcnt(2)
	ds_write_b8 v3, v8
	s_waitcnt lgkmcnt(1)
	ds_write_b64 v3, v[1:2] offset:8
.LBB85_3:
	s_or_b32 exec_lo, exec_lo, s0
	s_mov_b32 s0, exec_lo
	s_waitcnt lgkmcnt(0)
	s_barrier
	buffer_gl0_inv
	v_cmpx_gt_u32_e32 32, v0
	s_cbranch_execz .LBB85_17
; %bb.4:
	v_and_b32_e32 v8, 7, v7
	v_lshlrev_b32_e32 v1, 4, v8
	v_cmp_ne_u32_e32 vcc_lo, 7, v8
	ds_read_u8 v11, v1
	ds_read_b64 v[3:4], v1 offset:8
	v_add_co_ci_u32_e64 v2, null, 0, v7, vcc_lo
	v_lshlrev_b32_e32 v2, 2, v2
	s_waitcnt lgkmcnt(1)
	v_and_b32_e32 v1, 0xff, v11
	s_waitcnt lgkmcnt(0)
	ds_bpermute_b32 v5, v2, v3
	ds_bpermute_b32 v6, v2, v4
	;; [unrolled: 1-line block ×3, first 2 shown]
	s_waitcnt lgkmcnt(0)
	v_and_b32_e32 v1, v11, v12
	v_and_b32_e32 v1, 1, v1
	v_cmp_eq_u32_e32 vcc_lo, 1, v1
                                        ; implicit-def: $vgpr1_vgpr2
	s_and_saveexec_b32 s1, vcc_lo
	s_xor_b32 s1, exec_lo, s1
; %bb.5:
	v_cmp_lt_i64_e32 vcc_lo, v[5:6], v[3:4]
                                        ; implicit-def: $vgpr11
                                        ; implicit-def: $vgpr12
	v_cndmask_b32_e32 v2, v4, v6, vcc_lo
	v_cndmask_b32_e32 v1, v3, v5, vcc_lo
                                        ; implicit-def: $vgpr5_vgpr6
                                        ; implicit-def: $vgpr3_vgpr4
; %bb.6:
	s_or_saveexec_b32 s1, s1
	v_mov_b32_e32 v10, 1
	s_xor_b32 exec_lo, exec_lo, s1
; %bb.7:
	v_and_b32_e32 v1, 1, v11
	v_and_b32_e32 v10, 0xff, v12
	v_cmp_eq_u32_e32 vcc_lo, 1, v1
	v_cndmask_b32_e32 v2, v6, v4, vcc_lo
	v_cndmask_b32_e32 v1, v5, v3, vcc_lo
	v_cndmask_b32_e64 v10, v10, 1, vcc_lo
; %bb.8:
	s_or_b32 exec_lo, exec_lo, s1
	v_cmp_gt_u32_e32 vcc_lo, 6, v8
	v_cndmask_b32_e64 v3, 0, 2, vcc_lo
	v_add_lshl_u32 v3, v3, v7, 2
	ds_bpermute_b32 v8, v3, v10
	ds_bpermute_b32 v5, v3, v1
	;; [unrolled: 1-line block ×3, first 2 shown]
	s_waitcnt lgkmcnt(2)
	v_and_b32_e32 v3, v10, v8
	v_and_b32_e32 v3, 1, v3
	v_cmp_eq_u32_e32 vcc_lo, 1, v3
                                        ; implicit-def: $vgpr3_vgpr4
	s_and_saveexec_b32 s1, vcc_lo
	s_xor_b32 s1, exec_lo, s1
	s_cbranch_execz .LBB85_10
; %bb.9:
	s_waitcnt lgkmcnt(0)
	v_cmp_lt_i64_e32 vcc_lo, v[5:6], v[1:2]
                                        ; implicit-def: $vgpr10
                                        ; implicit-def: $vgpr8
	v_cndmask_b32_e32 v4, v2, v6, vcc_lo
	v_cndmask_b32_e32 v3, v1, v5, vcc_lo
                                        ; implicit-def: $vgpr5_vgpr6
                                        ; implicit-def: $vgpr1_vgpr2
.LBB85_10:
	s_or_saveexec_b32 s1, s1
	v_lshlrev_b32_e32 v12, 2, v7
	v_mov_b32_e32 v11, 1
	s_xor_b32 exec_lo, exec_lo, s1
	s_cbranch_execz .LBB85_12
; %bb.11:
	v_and_b32_e32 v3, 1, v10
	v_and_b32_e32 v8, 0xff, v8
	v_cmp_eq_u32_e32 vcc_lo, 1, v3
	s_waitcnt lgkmcnt(0)
	v_cndmask_b32_e32 v4, v6, v2, vcc_lo
	v_cndmask_b32_e32 v3, v5, v1, vcc_lo
	v_cndmask_b32_e64 v11, v8, 1, vcc_lo
.LBB85_12:
	s_or_b32 exec_lo, exec_lo, s1
	v_or_b32_e32 v1, 16, v12
	ds_bpermute_b32 v10, v1, v11
	s_waitcnt lgkmcnt(2)
	ds_bpermute_b32 v5, v1, v3
	s_waitcnt lgkmcnt(2)
	;; [unrolled: 2-line block ×3, first 2 shown]
	v_and_b32_e32 v1, v11, v10
	v_and_b32_e32 v1, 1, v1
	v_cmp_eq_u32_e32 vcc_lo, 1, v1
                                        ; implicit-def: $vgpr1_vgpr2
	s_and_saveexec_b32 s1, vcc_lo
	s_xor_b32 s1, exec_lo, s1
	s_cbranch_execz .LBB85_14
; %bb.13:
	s_waitcnt lgkmcnt(0)
	v_cmp_lt_i64_e32 vcc_lo, v[5:6], v[3:4]
                                        ; implicit-def: $vgpr11
                                        ; implicit-def: $vgpr10
	v_cndmask_b32_e32 v2, v4, v6, vcc_lo
	v_cndmask_b32_e32 v1, v3, v5, vcc_lo
                                        ; implicit-def: $vgpr5_vgpr6
                                        ; implicit-def: $vgpr3_vgpr4
.LBB85_14:
	s_or_saveexec_b32 s1, s1
	v_mov_b32_e32 v8, 1
	s_xor_b32 exec_lo, exec_lo, s1
	s_cbranch_execz .LBB85_16
; %bb.15:
	v_and_b32_e32 v1, 1, v11
	v_cmp_eq_u32_e32 vcc_lo, 1, v1
	s_waitcnt lgkmcnt(0)
	v_cndmask_b32_e32 v2, v6, v4, vcc_lo
	v_cndmask_b32_e32 v1, v5, v3, vcc_lo
	v_cndmask_b32_e64 v8, v10, 1, vcc_lo
.LBB85_16:
	s_or_b32 exec_lo, exec_lo, s1
.LBB85_17:
	s_or_b32 exec_lo, exec_lo, s0
	s_load_dwordx2 s[8:9], s[4:5], 0x58
	s_branch .LBB85_76
.LBB85_18:
                                        ; implicit-def: $vgpr1_vgpr2
                                        ; implicit-def: $vgpr8
	s_load_dwordx2 s[8:9], s[4:5], 0x58
	s_cbranch_execz .LBB85_76
; %bb.19:
	v_mov_b32_e32 v3, 0
	v_mov_b32_e32 v1, 0
	s_waitcnt lgkmcnt(0)
	v_mov_b32_e32 v5, 0
	v_mov_b32_e32 v4, 0
	;; [unrolled: 1-line block ×4, first 2 shown]
	s_sub_i32 s22, s12, s22
	s_mov_b32 s0, exec_lo
	v_cmpx_gt_u32_e64 s22, v0
	s_cbranch_execz .LBB85_21
; %bb.20:
	s_clause 0x1
	global_load_dword v6, v9, s[2:3]
	global_load_dword v8, v9, s[20:21]
	v_add_co_u32 v1, s1, s10, v0
	v_add_co_ci_u32_e64 v2, null, s11, 0, s1
	s_waitcnt vmcnt(0)
	v_cmp_neq_f32_e32 vcc_lo, v6, v8
	v_cndmask_b32_e64 v6, 0, 1, vcc_lo
.LBB85_21:
	s_or_b32 exec_lo, exec_lo, s0
	v_or_b32_e32 v8, 0x100, v0
	v_cmp_gt_u32_e32 vcc_lo, s22, v8
	s_and_saveexec_b32 s1, vcc_lo
	s_cbranch_execz .LBB85_23
; %bb.22:
	s_clause 0x1
	global_load_dword v5, v9, s[2:3] offset:1024
	global_load_dword v9, v9, s[20:21] offset:1024
	v_add_co_u32 v3, s0, s10, v8
	v_add_co_ci_u32_e64 v4, null, s11, 0, s0
	s_waitcnt vmcnt(0)
	v_cmp_neq_f32_e64 s0, v5, v9
	v_cndmask_b32_e64 v5, 0, 1, s0
.LBB85_23:
	s_or_b32 exec_lo, exec_lo, s1
	v_and_b32_e32 v8, 1, v5
	v_cmp_lt_i64_e64 s0, v[3:4], v[1:2]
	v_and_b32_e32 v9, 1, v6
	v_and_b32_e32 v5, 0xffff, v5
	;; [unrolled: 1-line block ×3, first 2 shown]
	v_cmp_eq_u32_e64 s1, 1, v8
	v_cmp_eq_u32_e64 s2, 1, v9
	s_and_b32 s0, s1, s0
	s_mov_b32 s1, exec_lo
	v_cndmask_b32_e64 v8, v2, v4, s0
	v_cndmask_b32_e64 v9, v1, v3, s0
	v_cmp_ne_u32_e64 s0, 31, v7
	v_cndmask_b32_e64 v5, v5, 1, s2
	v_cndmask_b32_e64 v4, v4, v8, s2
	v_cndmask_b32_e64 v3, v3, v9, s2
	v_add_co_ci_u32_e64 v10, null, 0, v7, s0
	v_cndmask_b32_e32 v8, v6, v5, vcc_lo
	v_cndmask_b32_e32 v2, v2, v4, vcc_lo
	;; [unrolled: 1-line block ×3, first 2 shown]
	v_lshlrev_b32_e32 v9, 2, v10
	v_and_b32_e32 v5, 0xe0, v0
	s_min_u32 s0, s22, 0x100
	ds_bpermute_b32 v6, v9, v8
	ds_bpermute_b32 v3, v9, v1
	ds_bpermute_b32 v4, v9, v2
	v_sub_nc_u32_e64 v5, s0, v5 clamp
	v_add_nc_u32_e32 v9, 1, v7
	v_cmpx_lt_u32_e64 v9, v5
	s_cbranch_execz .LBB85_29
; %bb.24:
	s_waitcnt lgkmcnt(2)
	v_and_b32_e32 v9, v8, v6
	s_mov_b32 s2, exec_lo
	v_cmpx_ne_u32_e32 0, v9
	s_xor_b32 s2, exec_lo, s2
	s_cbranch_execz .LBB85_26
; %bb.25:
	s_waitcnt lgkmcnt(0)
	v_cmp_lt_i64_e32 vcc_lo, v[3:4], v[1:2]
                                        ; implicit-def: $vgpr8
                                        ; implicit-def: $vgpr6
	v_cndmask_b32_e32 v2, v2, v4, vcc_lo
	v_cndmask_b32_e32 v1, v1, v3, vcc_lo
                                        ; implicit-def: $vgpr3_vgpr4
.LBB85_26:
	s_or_saveexec_b32 s2, s2
	v_mov_b32_e32 v9, 1
	s_xor_b32 exec_lo, exec_lo, s2
	s_cbranch_execz .LBB85_28
; %bb.27:
	v_and_b32_e32 v8, 1, v8
	v_and_b32_e32 v6, 0xff, v6
	v_cmp_eq_u32_e32 vcc_lo, 1, v8
	s_waitcnt lgkmcnt(0)
	v_cndmask_b32_e32 v2, v4, v2, vcc_lo
	v_cndmask_b32_e32 v1, v3, v1, vcc_lo
	v_cndmask_b32_e64 v9, v6, 1, vcc_lo
.LBB85_28:
	s_or_b32 exec_lo, exec_lo, s2
	v_mov_b32_e32 v8, v9
.LBB85_29:
	s_or_b32 exec_lo, exec_lo, s1
	v_cmp_gt_u32_e32 vcc_lo, 30, v7
	v_add_nc_u32_e32 v9, 2, v7
	s_mov_b32 s1, exec_lo
	s_waitcnt lgkmcnt(1)
	v_cndmask_b32_e64 v3, 0, 2, vcc_lo
	s_waitcnt lgkmcnt(0)
	v_add_lshl_u32 v4, v3, v7, 2
	ds_bpermute_b32 v6, v4, v8
	ds_bpermute_b32 v3, v4, v1
	ds_bpermute_b32 v4, v4, v2
	v_cmpx_lt_u32_e64 v9, v5
	s_cbranch_execz .LBB85_35
; %bb.30:
	s_waitcnt lgkmcnt(2)
	v_and_b32_e32 v9, v8, v6
	s_mov_b32 s2, exec_lo
	v_and_b32_e32 v9, 1, v9
	v_cmpx_eq_u32_e32 1, v9
	s_xor_b32 s2, exec_lo, s2
	s_cbranch_execz .LBB85_32
; %bb.31:
	s_waitcnt lgkmcnt(0)
	v_cmp_lt_i64_e32 vcc_lo, v[3:4], v[1:2]
                                        ; implicit-def: $vgpr8
                                        ; implicit-def: $vgpr6
	v_cndmask_b32_e32 v2, v2, v4, vcc_lo
	v_cndmask_b32_e32 v1, v1, v3, vcc_lo
                                        ; implicit-def: $vgpr3_vgpr4
.LBB85_32:
	s_or_saveexec_b32 s2, s2
	v_mov_b32_e32 v9, 1
	s_xor_b32 exec_lo, exec_lo, s2
	s_cbranch_execz .LBB85_34
; %bb.33:
	v_and_b32_e32 v8, 1, v8
	v_and_b32_e32 v6, 0xff, v6
	v_cmp_eq_u32_e32 vcc_lo, 1, v8
	s_waitcnt lgkmcnt(0)
	v_cndmask_b32_e32 v2, v4, v2, vcc_lo
	v_cndmask_b32_e32 v1, v3, v1, vcc_lo
	v_cndmask_b32_e64 v9, v6, 1, vcc_lo
.LBB85_34:
	s_or_b32 exec_lo, exec_lo, s2
	v_mov_b32_e32 v8, v9
.LBB85_35:
	s_or_b32 exec_lo, exec_lo, s1
	v_cmp_gt_u32_e32 vcc_lo, 28, v7
	v_add_nc_u32_e32 v9, 4, v7
	s_mov_b32 s1, exec_lo
	s_waitcnt lgkmcnt(1)
	v_cndmask_b32_e64 v3, 0, 4, vcc_lo
	s_waitcnt lgkmcnt(0)
	v_add_lshl_u32 v4, v3, v7, 2
	ds_bpermute_b32 v6, v4, v8
	ds_bpermute_b32 v3, v4, v1
	ds_bpermute_b32 v4, v4, v2
	v_cmpx_lt_u32_e64 v9, v5
	s_cbranch_execz .LBB85_41
; %bb.36:
	s_waitcnt lgkmcnt(2)
	v_and_b32_e32 v9, v8, v6
	s_mov_b32 s2, exec_lo
	v_and_b32_e32 v9, 1, v9
	v_cmpx_eq_u32_e32 1, v9
	s_xor_b32 s2, exec_lo, s2
	s_cbranch_execz .LBB85_38
; %bb.37:
	s_waitcnt lgkmcnt(0)
	v_cmp_lt_i64_e32 vcc_lo, v[3:4], v[1:2]
                                        ; implicit-def: $vgpr8
                                        ; implicit-def: $vgpr6
	v_cndmask_b32_e32 v2, v2, v4, vcc_lo
	v_cndmask_b32_e32 v1, v1, v3, vcc_lo
                                        ; implicit-def: $vgpr3_vgpr4
.LBB85_38:
	s_or_saveexec_b32 s2, s2
	v_mov_b32_e32 v9, 1
	s_xor_b32 exec_lo, exec_lo, s2
	s_cbranch_execz .LBB85_40
; %bb.39:
	v_and_b32_e32 v8, 1, v8
	v_and_b32_e32 v6, 0xff, v6
	v_cmp_eq_u32_e32 vcc_lo, 1, v8
	s_waitcnt lgkmcnt(0)
	v_cndmask_b32_e32 v2, v4, v2, vcc_lo
	v_cndmask_b32_e32 v1, v3, v1, vcc_lo
	v_cndmask_b32_e64 v9, v6, 1, vcc_lo
.LBB85_40:
	s_or_b32 exec_lo, exec_lo, s2
	v_mov_b32_e32 v8, v9
.LBB85_41:
	;; [unrolled: 46-line block ×3, first 2 shown]
	s_or_b32 exec_lo, exec_lo, s1
	s_waitcnt lgkmcnt(2)
	v_lshlrev_b32_e32 v6, 2, v7
	v_add_nc_u32_e32 v10, 16, v7
	s_waitcnt lgkmcnt(0)
	v_or_b32_e32 v4, 64, v6
	v_cmp_lt_u32_e32 vcc_lo, v10, v5
	v_mov_b32_e32 v5, v8
	ds_bpermute_b32 v9, v4, v8
	ds_bpermute_b32 v3, v4, v1
	;; [unrolled: 1-line block ×3, first 2 shown]
	s_and_saveexec_b32 s1, vcc_lo
	s_cbranch_execz .LBB85_53
; %bb.48:
	s_waitcnt lgkmcnt(2)
	v_and_b32_e32 v5, v8, v9
	s_mov_b32 s2, exec_lo
	v_and_b32_e32 v5, 1, v5
	v_cmpx_eq_u32_e32 1, v5
	s_xor_b32 s2, exec_lo, s2
	s_cbranch_execz .LBB85_50
; %bb.49:
	s_waitcnt lgkmcnt(0)
	v_cmp_lt_i64_e32 vcc_lo, v[3:4], v[1:2]
                                        ; implicit-def: $vgpr8
                                        ; implicit-def: $vgpr9
	v_cndmask_b32_e32 v2, v2, v4, vcc_lo
	v_cndmask_b32_e32 v1, v1, v3, vcc_lo
                                        ; implicit-def: $vgpr3_vgpr4
.LBB85_50:
	s_or_saveexec_b32 s2, s2
	v_mov_b32_e32 v5, 1
	s_xor_b32 exec_lo, exec_lo, s2
	s_cbranch_execz .LBB85_52
; %bb.51:
	v_and_b32_e32 v5, 1, v8
	v_cmp_eq_u32_e32 vcc_lo, 1, v5
	v_cndmask_b32_e64 v5, v9, 1, vcc_lo
	s_waitcnt lgkmcnt(0)
	v_cndmask_b32_e32 v2, v4, v2, vcc_lo
	v_cndmask_b32_e32 v1, v3, v1, vcc_lo
.LBB85_52:
	s_or_b32 exec_lo, exec_lo, s2
	v_and_b32_e32 v8, 0xff, v5
.LBB85_53:
	s_or_b32 exec_lo, exec_lo, s1
	s_mov_b32 s1, exec_lo
	v_cmpx_eq_u32_e32 0, v7
	s_cbranch_execz .LBB85_55
; %bb.54:
	s_waitcnt lgkmcnt(1)
	v_lshrrev_b32_e32 v3, 1, v0
	v_and_b32_e32 v3, 0x70, v3
	ds_write_b8 v3, v5 offset:128
	ds_write_b64 v3, v[1:2] offset:136
.LBB85_55:
	s_or_b32 exec_lo, exec_lo, s1
	s_mov_b32 s1, exec_lo
	s_waitcnt lgkmcnt(0)
	s_barrier
	buffer_gl0_inv
	v_cmpx_gt_u32_e32 8, v0
	s_cbranch_execz .LBB85_75
; %bb.56:
	v_lshlrev_b32_e32 v1, 4, v7
	v_and_b32_e32 v5, 7, v7
	s_add_i32 s0, s0, 31
	s_mov_b32 s2, exec_lo
	s_lshr_b32 s0, s0, 5
	ds_read_u8 v9, v1 offset:128
	ds_read_b64 v[1:2], v1 offset:136
	v_cmp_ne_u32_e32 vcc_lo, 7, v5
	v_add_nc_u32_e32 v11, 1, v5
	v_add_co_ci_u32_e64 v3, null, 0, v7, vcc_lo
	v_lshlrev_b32_e32 v4, 2, v3
	s_waitcnt lgkmcnt(1)
	v_and_b32_e32 v8, 0xff, v9
	s_waitcnt lgkmcnt(0)
	ds_bpermute_b32 v3, v4, v1
	ds_bpermute_b32 v10, v4, v8
	;; [unrolled: 1-line block ×3, first 2 shown]
	v_cmpx_gt_u32_e64 s0, v11
	s_cbranch_execz .LBB85_62
; %bb.57:
	s_waitcnt lgkmcnt(1)
	v_and_b32_e32 v8, v8, v10
	s_mov_b32 s3, exec_lo
	v_and_b32_e32 v8, 1, v8
	v_cmpx_eq_u32_e32 1, v8
	s_xor_b32 s3, exec_lo, s3
	s_cbranch_execz .LBB85_59
; %bb.58:
	s_waitcnt lgkmcnt(0)
	v_cmp_lt_i64_e32 vcc_lo, v[3:4], v[1:2]
                                        ; implicit-def: $vgpr9
                                        ; implicit-def: $vgpr10
	v_cndmask_b32_e32 v2, v2, v4, vcc_lo
	v_cndmask_b32_e32 v1, v1, v3, vcc_lo
                                        ; implicit-def: $vgpr3_vgpr4
.LBB85_59:
	s_or_saveexec_b32 s3, s3
	v_mov_b32_e32 v8, 1
	s_xor_b32 exec_lo, exec_lo, s3
	s_cbranch_execz .LBB85_61
; %bb.60:
	v_and_b32_e32 v8, 1, v9
	v_cmp_eq_u32_e32 vcc_lo, 1, v8
	v_and_b32_e32 v8, 0xff, v10
	s_waitcnt lgkmcnt(0)
	v_cndmask_b32_e32 v2, v4, v2, vcc_lo
	v_cndmask_b32_e32 v1, v3, v1, vcc_lo
	v_cndmask_b32_e64 v8, v8, 1, vcc_lo
.LBB85_61:
	s_or_b32 exec_lo, exec_lo, s3
.LBB85_62:
	s_or_b32 exec_lo, exec_lo, s2
	v_cmp_gt_u32_e32 vcc_lo, 6, v5
	v_add_nc_u32_e32 v9, 2, v5
	s_mov_b32 s2, exec_lo
	s_waitcnt lgkmcnt(2)
	v_cndmask_b32_e64 v3, 0, 2, vcc_lo
	s_waitcnt lgkmcnt(0)
	v_add_lshl_u32 v4, v3, v7, 2
	ds_bpermute_b32 v7, v4, v8
	ds_bpermute_b32 v3, v4, v1
	ds_bpermute_b32 v4, v4, v2
	v_cmpx_gt_u32_e64 s0, v9
	s_cbranch_execz .LBB85_68
; %bb.63:
	s_waitcnt lgkmcnt(2)
	v_and_b32_e32 v9, v8, v7
	s_mov_b32 s3, exec_lo
	v_and_b32_e32 v9, 1, v9
	v_cmpx_eq_u32_e32 1, v9
	s_xor_b32 s3, exec_lo, s3
	s_cbranch_execz .LBB85_65
; %bb.64:
	s_waitcnt lgkmcnt(0)
	v_cmp_lt_i64_e32 vcc_lo, v[3:4], v[1:2]
                                        ; implicit-def: $vgpr8
                                        ; implicit-def: $vgpr7
	v_cndmask_b32_e32 v2, v2, v4, vcc_lo
	v_cndmask_b32_e32 v1, v1, v3, vcc_lo
                                        ; implicit-def: $vgpr3_vgpr4
.LBB85_65:
	s_or_saveexec_b32 s3, s3
	v_mov_b32_e32 v9, 1
	s_xor_b32 exec_lo, exec_lo, s3
	s_cbranch_execz .LBB85_67
; %bb.66:
	v_and_b32_e32 v8, 1, v8
	v_and_b32_e32 v7, 0xff, v7
	v_cmp_eq_u32_e32 vcc_lo, 1, v8
	s_waitcnt lgkmcnt(0)
	v_cndmask_b32_e32 v2, v4, v2, vcc_lo
	v_cndmask_b32_e32 v1, v3, v1, vcc_lo
	v_cndmask_b32_e64 v9, v7, 1, vcc_lo
.LBB85_67:
	s_or_b32 exec_lo, exec_lo, s3
	v_mov_b32_e32 v8, v9
.LBB85_68:
	s_or_b32 exec_lo, exec_lo, s2
	s_waitcnt lgkmcnt(0)
	v_or_b32_e32 v4, 16, v6
	v_add_nc_u32_e32 v5, 4, v5
	ds_bpermute_b32 v6, v4, v8
	ds_bpermute_b32 v3, v4, v1
	ds_bpermute_b32 v4, v4, v2
	v_cmp_gt_u32_e32 vcc_lo, s0, v5
	s_and_saveexec_b32 s0, vcc_lo
	s_cbranch_execz .LBB85_74
; %bb.69:
	s_waitcnt lgkmcnt(2)
	v_and_b32_e32 v5, v8, v6
	s_mov_b32 s2, exec_lo
	v_and_b32_e32 v5, 1, v5
	v_cmpx_eq_u32_e32 1, v5
	s_xor_b32 s2, exec_lo, s2
	s_cbranch_execz .LBB85_71
; %bb.70:
	s_waitcnt lgkmcnt(0)
	v_cmp_lt_i64_e32 vcc_lo, v[3:4], v[1:2]
                                        ; implicit-def: $vgpr8
                                        ; implicit-def: $vgpr6
	v_cndmask_b32_e32 v2, v2, v4, vcc_lo
	v_cndmask_b32_e32 v1, v1, v3, vcc_lo
                                        ; implicit-def: $vgpr3_vgpr4
.LBB85_71:
	s_or_saveexec_b32 s2, s2
	v_mov_b32_e32 v5, 1
	s_xor_b32 exec_lo, exec_lo, s2
	s_cbranch_execz .LBB85_73
; %bb.72:
	v_and_b32_e32 v5, 1, v8
	v_cmp_eq_u32_e32 vcc_lo, 1, v5
	s_waitcnt lgkmcnt(0)
	v_cndmask_b32_e32 v2, v4, v2, vcc_lo
	v_cndmask_b32_e32 v1, v3, v1, vcc_lo
	v_cndmask_b32_e64 v5, v6, 1, vcc_lo
.LBB85_73:
	s_or_b32 exec_lo, exec_lo, s2
	v_mov_b32_e32 v8, v5
.LBB85_74:
	s_or_b32 exec_lo, exec_lo, s0
.LBB85_75:
	s_or_b32 exec_lo, exec_lo, s1
.LBB85_76:
	s_load_dword s0, s[4:5], 0x50
	s_mov_b32 s1, exec_lo
	v_cmpx_eq_u32_e32 0, v0
	s_cbranch_execz .LBB85_78
; %bb.77:
	s_mul_i32 s1, s18, s17
	s_mul_hi_u32 s2, s18, s16
	s_mul_i32 s3, s19, s16
	s_add_i32 s1, s2, s1
	s_mul_i32 s2, s18, s16
	s_add_i32 s3, s1, s3
	v_mov_b32_e32 v0, 0
	s_lshl_b64 s[2:3], s[2:3], 4
	s_add_u32 s1, s14, s2
	s_addc_u32 s4, s15, s3
	s_cmp_eq_u64 s[12:13], 0
	s_cselect_b32 s5, -1, 0
	s_lshl_b64 s[2:3], s[6:7], 4
	s_waitcnt lgkmcnt(0)
	v_cndmask_b32_e64 v3, v8, s0, s5
	v_cndmask_b32_e64 v2, v2, s9, s5
	;; [unrolled: 1-line block ×3, first 2 shown]
	s_add_u32 s0, s1, s2
	s_addc_u32 s1, s4, s3
	global_store_byte v0, v3, s[0:1]
	global_store_dwordx2 v0, v[1:2], s[0:1] offset:8
.LBB85_78:
	s_endpgm
	.section	.rodata,"a",@progbits
	.p2align	6, 0x0
	.amdhsa_kernel _ZN7rocprim17ROCPRIM_400000_NS6detail17trampoline_kernelINS0_14default_configENS1_22reduce_config_selectorIN6thrust23THRUST_200600_302600_NS5tupleIblNS6_9null_typeES8_S8_S8_S8_S8_S8_S8_EEEEZNS1_11reduce_implILb1ES3_NS6_12zip_iteratorINS7_INS6_11hip_rocprim26transform_input_iterator_tIbNSD_35transform_pair_of_input_iterators_tIbNS6_6detail15normal_iteratorINS6_10device_ptrIKfEEEESL_NS6_8equal_toIfEEEENSG_9not_fun_tINSD_8identityEEEEENSD_19counting_iterator_tIlEES8_S8_S8_S8_S8_S8_S8_S8_EEEEPS9_S9_NSD_9__find_if7functorIS9_EEEE10hipError_tPvRmT1_T2_T3_mT4_P12ihipStream_tbEUlT_E0_NS1_11comp_targetILNS1_3genE8ELNS1_11target_archE1030ELNS1_3gpuE2ELNS1_3repE0EEENS1_30default_config_static_selectorELNS0_4arch9wavefront6targetE0EEEvS14_
		.amdhsa_group_segment_fixed_size 256
		.amdhsa_private_segment_fixed_size 0
		.amdhsa_kernarg_size 104
		.amdhsa_user_sgpr_count 6
		.amdhsa_user_sgpr_private_segment_buffer 1
		.amdhsa_user_sgpr_dispatch_ptr 0
		.amdhsa_user_sgpr_queue_ptr 0
		.amdhsa_user_sgpr_kernarg_segment_ptr 1
		.amdhsa_user_sgpr_dispatch_id 0
		.amdhsa_user_sgpr_flat_scratch_init 0
		.amdhsa_user_sgpr_private_segment_size 0
		.amdhsa_wavefront_size32 1
		.amdhsa_uses_dynamic_stack 0
		.amdhsa_system_sgpr_private_segment_wavefront_offset 0
		.amdhsa_system_sgpr_workgroup_id_x 1
		.amdhsa_system_sgpr_workgroup_id_y 0
		.amdhsa_system_sgpr_workgroup_id_z 0
		.amdhsa_system_sgpr_workgroup_info 0
		.amdhsa_system_vgpr_workitem_id 0
		.amdhsa_next_free_vgpr 13
		.amdhsa_next_free_sgpr 28
		.amdhsa_reserve_vcc 1
		.amdhsa_reserve_flat_scratch 0
		.amdhsa_float_round_mode_32 0
		.amdhsa_float_round_mode_16_64 0
		.amdhsa_float_denorm_mode_32 3
		.amdhsa_float_denorm_mode_16_64 3
		.amdhsa_dx10_clamp 1
		.amdhsa_ieee_mode 1
		.amdhsa_fp16_overflow 0
		.amdhsa_workgroup_processor_mode 1
		.amdhsa_memory_ordered 1
		.amdhsa_forward_progress 1
		.amdhsa_shared_vgpr_count 0
		.amdhsa_exception_fp_ieee_invalid_op 0
		.amdhsa_exception_fp_denorm_src 0
		.amdhsa_exception_fp_ieee_div_zero 0
		.amdhsa_exception_fp_ieee_overflow 0
		.amdhsa_exception_fp_ieee_underflow 0
		.amdhsa_exception_fp_ieee_inexact 0
		.amdhsa_exception_int_div_zero 0
	.end_amdhsa_kernel
	.section	.text._ZN7rocprim17ROCPRIM_400000_NS6detail17trampoline_kernelINS0_14default_configENS1_22reduce_config_selectorIN6thrust23THRUST_200600_302600_NS5tupleIblNS6_9null_typeES8_S8_S8_S8_S8_S8_S8_EEEEZNS1_11reduce_implILb1ES3_NS6_12zip_iteratorINS7_INS6_11hip_rocprim26transform_input_iterator_tIbNSD_35transform_pair_of_input_iterators_tIbNS6_6detail15normal_iteratorINS6_10device_ptrIKfEEEESL_NS6_8equal_toIfEEEENSG_9not_fun_tINSD_8identityEEEEENSD_19counting_iterator_tIlEES8_S8_S8_S8_S8_S8_S8_S8_EEEEPS9_S9_NSD_9__find_if7functorIS9_EEEE10hipError_tPvRmT1_T2_T3_mT4_P12ihipStream_tbEUlT_E0_NS1_11comp_targetILNS1_3genE8ELNS1_11target_archE1030ELNS1_3gpuE2ELNS1_3repE0EEENS1_30default_config_static_selectorELNS0_4arch9wavefront6targetE0EEEvS14_,"axG",@progbits,_ZN7rocprim17ROCPRIM_400000_NS6detail17trampoline_kernelINS0_14default_configENS1_22reduce_config_selectorIN6thrust23THRUST_200600_302600_NS5tupleIblNS6_9null_typeES8_S8_S8_S8_S8_S8_S8_EEEEZNS1_11reduce_implILb1ES3_NS6_12zip_iteratorINS7_INS6_11hip_rocprim26transform_input_iterator_tIbNSD_35transform_pair_of_input_iterators_tIbNS6_6detail15normal_iteratorINS6_10device_ptrIKfEEEESL_NS6_8equal_toIfEEEENSG_9not_fun_tINSD_8identityEEEEENSD_19counting_iterator_tIlEES8_S8_S8_S8_S8_S8_S8_S8_EEEEPS9_S9_NSD_9__find_if7functorIS9_EEEE10hipError_tPvRmT1_T2_T3_mT4_P12ihipStream_tbEUlT_E0_NS1_11comp_targetILNS1_3genE8ELNS1_11target_archE1030ELNS1_3gpuE2ELNS1_3repE0EEENS1_30default_config_static_selectorELNS0_4arch9wavefront6targetE0EEEvS14_,comdat
.Lfunc_end85:
	.size	_ZN7rocprim17ROCPRIM_400000_NS6detail17trampoline_kernelINS0_14default_configENS1_22reduce_config_selectorIN6thrust23THRUST_200600_302600_NS5tupleIblNS6_9null_typeES8_S8_S8_S8_S8_S8_S8_EEEEZNS1_11reduce_implILb1ES3_NS6_12zip_iteratorINS7_INS6_11hip_rocprim26transform_input_iterator_tIbNSD_35transform_pair_of_input_iterators_tIbNS6_6detail15normal_iteratorINS6_10device_ptrIKfEEEESL_NS6_8equal_toIfEEEENSG_9not_fun_tINSD_8identityEEEEENSD_19counting_iterator_tIlEES8_S8_S8_S8_S8_S8_S8_S8_EEEEPS9_S9_NSD_9__find_if7functorIS9_EEEE10hipError_tPvRmT1_T2_T3_mT4_P12ihipStream_tbEUlT_E0_NS1_11comp_targetILNS1_3genE8ELNS1_11target_archE1030ELNS1_3gpuE2ELNS1_3repE0EEENS1_30default_config_static_selectorELNS0_4arch9wavefront6targetE0EEEvS14_, .Lfunc_end85-_ZN7rocprim17ROCPRIM_400000_NS6detail17trampoline_kernelINS0_14default_configENS1_22reduce_config_selectorIN6thrust23THRUST_200600_302600_NS5tupleIblNS6_9null_typeES8_S8_S8_S8_S8_S8_S8_EEEEZNS1_11reduce_implILb1ES3_NS6_12zip_iteratorINS7_INS6_11hip_rocprim26transform_input_iterator_tIbNSD_35transform_pair_of_input_iterators_tIbNS6_6detail15normal_iteratorINS6_10device_ptrIKfEEEESL_NS6_8equal_toIfEEEENSG_9not_fun_tINSD_8identityEEEEENSD_19counting_iterator_tIlEES8_S8_S8_S8_S8_S8_S8_S8_EEEEPS9_S9_NSD_9__find_if7functorIS9_EEEE10hipError_tPvRmT1_T2_T3_mT4_P12ihipStream_tbEUlT_E0_NS1_11comp_targetILNS1_3genE8ELNS1_11target_archE1030ELNS1_3gpuE2ELNS1_3repE0EEENS1_30default_config_static_selectorELNS0_4arch9wavefront6targetE0EEEvS14_
                                        ; -- End function
	.set _ZN7rocprim17ROCPRIM_400000_NS6detail17trampoline_kernelINS0_14default_configENS1_22reduce_config_selectorIN6thrust23THRUST_200600_302600_NS5tupleIblNS6_9null_typeES8_S8_S8_S8_S8_S8_S8_EEEEZNS1_11reduce_implILb1ES3_NS6_12zip_iteratorINS7_INS6_11hip_rocprim26transform_input_iterator_tIbNSD_35transform_pair_of_input_iterators_tIbNS6_6detail15normal_iteratorINS6_10device_ptrIKfEEEESL_NS6_8equal_toIfEEEENSG_9not_fun_tINSD_8identityEEEEENSD_19counting_iterator_tIlEES8_S8_S8_S8_S8_S8_S8_S8_EEEEPS9_S9_NSD_9__find_if7functorIS9_EEEE10hipError_tPvRmT1_T2_T3_mT4_P12ihipStream_tbEUlT_E0_NS1_11comp_targetILNS1_3genE8ELNS1_11target_archE1030ELNS1_3gpuE2ELNS1_3repE0EEENS1_30default_config_static_selectorELNS0_4arch9wavefront6targetE0EEEvS14_.num_vgpr, 13
	.set _ZN7rocprim17ROCPRIM_400000_NS6detail17trampoline_kernelINS0_14default_configENS1_22reduce_config_selectorIN6thrust23THRUST_200600_302600_NS5tupleIblNS6_9null_typeES8_S8_S8_S8_S8_S8_S8_EEEEZNS1_11reduce_implILb1ES3_NS6_12zip_iteratorINS7_INS6_11hip_rocprim26transform_input_iterator_tIbNSD_35transform_pair_of_input_iterators_tIbNS6_6detail15normal_iteratorINS6_10device_ptrIKfEEEESL_NS6_8equal_toIfEEEENSG_9not_fun_tINSD_8identityEEEEENSD_19counting_iterator_tIlEES8_S8_S8_S8_S8_S8_S8_S8_EEEEPS9_S9_NSD_9__find_if7functorIS9_EEEE10hipError_tPvRmT1_T2_T3_mT4_P12ihipStream_tbEUlT_E0_NS1_11comp_targetILNS1_3genE8ELNS1_11target_archE1030ELNS1_3gpuE2ELNS1_3repE0EEENS1_30default_config_static_selectorELNS0_4arch9wavefront6targetE0EEEvS14_.num_agpr, 0
	.set _ZN7rocprim17ROCPRIM_400000_NS6detail17trampoline_kernelINS0_14default_configENS1_22reduce_config_selectorIN6thrust23THRUST_200600_302600_NS5tupleIblNS6_9null_typeES8_S8_S8_S8_S8_S8_S8_EEEEZNS1_11reduce_implILb1ES3_NS6_12zip_iteratorINS7_INS6_11hip_rocprim26transform_input_iterator_tIbNSD_35transform_pair_of_input_iterators_tIbNS6_6detail15normal_iteratorINS6_10device_ptrIKfEEEESL_NS6_8equal_toIfEEEENSG_9not_fun_tINSD_8identityEEEEENSD_19counting_iterator_tIlEES8_S8_S8_S8_S8_S8_S8_S8_EEEEPS9_S9_NSD_9__find_if7functorIS9_EEEE10hipError_tPvRmT1_T2_T3_mT4_P12ihipStream_tbEUlT_E0_NS1_11comp_targetILNS1_3genE8ELNS1_11target_archE1030ELNS1_3gpuE2ELNS1_3repE0EEENS1_30default_config_static_selectorELNS0_4arch9wavefront6targetE0EEEvS14_.numbered_sgpr, 28
	.set _ZN7rocprim17ROCPRIM_400000_NS6detail17trampoline_kernelINS0_14default_configENS1_22reduce_config_selectorIN6thrust23THRUST_200600_302600_NS5tupleIblNS6_9null_typeES8_S8_S8_S8_S8_S8_S8_EEEEZNS1_11reduce_implILb1ES3_NS6_12zip_iteratorINS7_INS6_11hip_rocprim26transform_input_iterator_tIbNSD_35transform_pair_of_input_iterators_tIbNS6_6detail15normal_iteratorINS6_10device_ptrIKfEEEESL_NS6_8equal_toIfEEEENSG_9not_fun_tINSD_8identityEEEEENSD_19counting_iterator_tIlEES8_S8_S8_S8_S8_S8_S8_S8_EEEEPS9_S9_NSD_9__find_if7functorIS9_EEEE10hipError_tPvRmT1_T2_T3_mT4_P12ihipStream_tbEUlT_E0_NS1_11comp_targetILNS1_3genE8ELNS1_11target_archE1030ELNS1_3gpuE2ELNS1_3repE0EEENS1_30default_config_static_selectorELNS0_4arch9wavefront6targetE0EEEvS14_.num_named_barrier, 0
	.set _ZN7rocprim17ROCPRIM_400000_NS6detail17trampoline_kernelINS0_14default_configENS1_22reduce_config_selectorIN6thrust23THRUST_200600_302600_NS5tupleIblNS6_9null_typeES8_S8_S8_S8_S8_S8_S8_EEEEZNS1_11reduce_implILb1ES3_NS6_12zip_iteratorINS7_INS6_11hip_rocprim26transform_input_iterator_tIbNSD_35transform_pair_of_input_iterators_tIbNS6_6detail15normal_iteratorINS6_10device_ptrIKfEEEESL_NS6_8equal_toIfEEEENSG_9not_fun_tINSD_8identityEEEEENSD_19counting_iterator_tIlEES8_S8_S8_S8_S8_S8_S8_S8_EEEEPS9_S9_NSD_9__find_if7functorIS9_EEEE10hipError_tPvRmT1_T2_T3_mT4_P12ihipStream_tbEUlT_E0_NS1_11comp_targetILNS1_3genE8ELNS1_11target_archE1030ELNS1_3gpuE2ELNS1_3repE0EEENS1_30default_config_static_selectorELNS0_4arch9wavefront6targetE0EEEvS14_.private_seg_size, 0
	.set _ZN7rocprim17ROCPRIM_400000_NS6detail17trampoline_kernelINS0_14default_configENS1_22reduce_config_selectorIN6thrust23THRUST_200600_302600_NS5tupleIblNS6_9null_typeES8_S8_S8_S8_S8_S8_S8_EEEEZNS1_11reduce_implILb1ES3_NS6_12zip_iteratorINS7_INS6_11hip_rocprim26transform_input_iterator_tIbNSD_35transform_pair_of_input_iterators_tIbNS6_6detail15normal_iteratorINS6_10device_ptrIKfEEEESL_NS6_8equal_toIfEEEENSG_9not_fun_tINSD_8identityEEEEENSD_19counting_iterator_tIlEES8_S8_S8_S8_S8_S8_S8_S8_EEEEPS9_S9_NSD_9__find_if7functorIS9_EEEE10hipError_tPvRmT1_T2_T3_mT4_P12ihipStream_tbEUlT_E0_NS1_11comp_targetILNS1_3genE8ELNS1_11target_archE1030ELNS1_3gpuE2ELNS1_3repE0EEENS1_30default_config_static_selectorELNS0_4arch9wavefront6targetE0EEEvS14_.uses_vcc, 1
	.set _ZN7rocprim17ROCPRIM_400000_NS6detail17trampoline_kernelINS0_14default_configENS1_22reduce_config_selectorIN6thrust23THRUST_200600_302600_NS5tupleIblNS6_9null_typeES8_S8_S8_S8_S8_S8_S8_EEEEZNS1_11reduce_implILb1ES3_NS6_12zip_iteratorINS7_INS6_11hip_rocprim26transform_input_iterator_tIbNSD_35transform_pair_of_input_iterators_tIbNS6_6detail15normal_iteratorINS6_10device_ptrIKfEEEESL_NS6_8equal_toIfEEEENSG_9not_fun_tINSD_8identityEEEEENSD_19counting_iterator_tIlEES8_S8_S8_S8_S8_S8_S8_S8_EEEEPS9_S9_NSD_9__find_if7functorIS9_EEEE10hipError_tPvRmT1_T2_T3_mT4_P12ihipStream_tbEUlT_E0_NS1_11comp_targetILNS1_3genE8ELNS1_11target_archE1030ELNS1_3gpuE2ELNS1_3repE0EEENS1_30default_config_static_selectorELNS0_4arch9wavefront6targetE0EEEvS14_.uses_flat_scratch, 0
	.set _ZN7rocprim17ROCPRIM_400000_NS6detail17trampoline_kernelINS0_14default_configENS1_22reduce_config_selectorIN6thrust23THRUST_200600_302600_NS5tupleIblNS6_9null_typeES8_S8_S8_S8_S8_S8_S8_EEEEZNS1_11reduce_implILb1ES3_NS6_12zip_iteratorINS7_INS6_11hip_rocprim26transform_input_iterator_tIbNSD_35transform_pair_of_input_iterators_tIbNS6_6detail15normal_iteratorINS6_10device_ptrIKfEEEESL_NS6_8equal_toIfEEEENSG_9not_fun_tINSD_8identityEEEEENSD_19counting_iterator_tIlEES8_S8_S8_S8_S8_S8_S8_S8_EEEEPS9_S9_NSD_9__find_if7functorIS9_EEEE10hipError_tPvRmT1_T2_T3_mT4_P12ihipStream_tbEUlT_E0_NS1_11comp_targetILNS1_3genE8ELNS1_11target_archE1030ELNS1_3gpuE2ELNS1_3repE0EEENS1_30default_config_static_selectorELNS0_4arch9wavefront6targetE0EEEvS14_.has_dyn_sized_stack, 0
	.set _ZN7rocprim17ROCPRIM_400000_NS6detail17trampoline_kernelINS0_14default_configENS1_22reduce_config_selectorIN6thrust23THRUST_200600_302600_NS5tupleIblNS6_9null_typeES8_S8_S8_S8_S8_S8_S8_EEEEZNS1_11reduce_implILb1ES3_NS6_12zip_iteratorINS7_INS6_11hip_rocprim26transform_input_iterator_tIbNSD_35transform_pair_of_input_iterators_tIbNS6_6detail15normal_iteratorINS6_10device_ptrIKfEEEESL_NS6_8equal_toIfEEEENSG_9not_fun_tINSD_8identityEEEEENSD_19counting_iterator_tIlEES8_S8_S8_S8_S8_S8_S8_S8_EEEEPS9_S9_NSD_9__find_if7functorIS9_EEEE10hipError_tPvRmT1_T2_T3_mT4_P12ihipStream_tbEUlT_E0_NS1_11comp_targetILNS1_3genE8ELNS1_11target_archE1030ELNS1_3gpuE2ELNS1_3repE0EEENS1_30default_config_static_selectorELNS0_4arch9wavefront6targetE0EEEvS14_.has_recursion, 0
	.set _ZN7rocprim17ROCPRIM_400000_NS6detail17trampoline_kernelINS0_14default_configENS1_22reduce_config_selectorIN6thrust23THRUST_200600_302600_NS5tupleIblNS6_9null_typeES8_S8_S8_S8_S8_S8_S8_EEEEZNS1_11reduce_implILb1ES3_NS6_12zip_iteratorINS7_INS6_11hip_rocprim26transform_input_iterator_tIbNSD_35transform_pair_of_input_iterators_tIbNS6_6detail15normal_iteratorINS6_10device_ptrIKfEEEESL_NS6_8equal_toIfEEEENSG_9not_fun_tINSD_8identityEEEEENSD_19counting_iterator_tIlEES8_S8_S8_S8_S8_S8_S8_S8_EEEEPS9_S9_NSD_9__find_if7functorIS9_EEEE10hipError_tPvRmT1_T2_T3_mT4_P12ihipStream_tbEUlT_E0_NS1_11comp_targetILNS1_3genE8ELNS1_11target_archE1030ELNS1_3gpuE2ELNS1_3repE0EEENS1_30default_config_static_selectorELNS0_4arch9wavefront6targetE0EEEvS14_.has_indirect_call, 0
	.section	.AMDGPU.csdata,"",@progbits
; Kernel info:
; codeLenInByte = 3168
; TotalNumSgprs: 30
; NumVgprs: 13
; ScratchSize: 0
; MemoryBound: 0
; FloatMode: 240
; IeeeMode: 1
; LDSByteSize: 256 bytes/workgroup (compile time only)
; SGPRBlocks: 0
; VGPRBlocks: 1
; NumSGPRsForWavesPerEU: 30
; NumVGPRsForWavesPerEU: 13
; Occupancy: 16
; WaveLimiterHint : 0
; COMPUTE_PGM_RSRC2:SCRATCH_EN: 0
; COMPUTE_PGM_RSRC2:USER_SGPR: 6
; COMPUTE_PGM_RSRC2:TRAP_HANDLER: 0
; COMPUTE_PGM_RSRC2:TGID_X_EN: 1
; COMPUTE_PGM_RSRC2:TGID_Y_EN: 0
; COMPUTE_PGM_RSRC2:TGID_Z_EN: 0
; COMPUTE_PGM_RSRC2:TIDIG_COMP_CNT: 0
	.section	.text._ZN7rocprim17ROCPRIM_400000_NS6detail17trampoline_kernelINS0_14default_configENS1_22reduce_config_selectorIN6thrust23THRUST_200600_302600_NS5tupleIblNS6_9null_typeES8_S8_S8_S8_S8_S8_S8_EEEEZNS1_11reduce_implILb1ES3_NS6_12zip_iteratorINS7_INS6_11hip_rocprim26transform_input_iterator_tIbNSD_35transform_pair_of_input_iterators_tIbNS6_6detail15normal_iteratorINS6_10device_ptrIKfEEEESL_NS6_8equal_toIfEEEENSG_9not_fun_tINSD_8identityEEEEENSD_19counting_iterator_tIlEES8_S8_S8_S8_S8_S8_S8_S8_EEEEPS9_S9_NSD_9__find_if7functorIS9_EEEE10hipError_tPvRmT1_T2_T3_mT4_P12ihipStream_tbEUlT_E1_NS1_11comp_targetILNS1_3genE0ELNS1_11target_archE4294967295ELNS1_3gpuE0ELNS1_3repE0EEENS1_30default_config_static_selectorELNS0_4arch9wavefront6targetE0EEEvS14_,"axG",@progbits,_ZN7rocprim17ROCPRIM_400000_NS6detail17trampoline_kernelINS0_14default_configENS1_22reduce_config_selectorIN6thrust23THRUST_200600_302600_NS5tupleIblNS6_9null_typeES8_S8_S8_S8_S8_S8_S8_EEEEZNS1_11reduce_implILb1ES3_NS6_12zip_iteratorINS7_INS6_11hip_rocprim26transform_input_iterator_tIbNSD_35transform_pair_of_input_iterators_tIbNS6_6detail15normal_iteratorINS6_10device_ptrIKfEEEESL_NS6_8equal_toIfEEEENSG_9not_fun_tINSD_8identityEEEEENSD_19counting_iterator_tIlEES8_S8_S8_S8_S8_S8_S8_S8_EEEEPS9_S9_NSD_9__find_if7functorIS9_EEEE10hipError_tPvRmT1_T2_T3_mT4_P12ihipStream_tbEUlT_E1_NS1_11comp_targetILNS1_3genE0ELNS1_11target_archE4294967295ELNS1_3gpuE0ELNS1_3repE0EEENS1_30default_config_static_selectorELNS0_4arch9wavefront6targetE0EEEvS14_,comdat
	.protected	_ZN7rocprim17ROCPRIM_400000_NS6detail17trampoline_kernelINS0_14default_configENS1_22reduce_config_selectorIN6thrust23THRUST_200600_302600_NS5tupleIblNS6_9null_typeES8_S8_S8_S8_S8_S8_S8_EEEEZNS1_11reduce_implILb1ES3_NS6_12zip_iteratorINS7_INS6_11hip_rocprim26transform_input_iterator_tIbNSD_35transform_pair_of_input_iterators_tIbNS6_6detail15normal_iteratorINS6_10device_ptrIKfEEEESL_NS6_8equal_toIfEEEENSG_9not_fun_tINSD_8identityEEEEENSD_19counting_iterator_tIlEES8_S8_S8_S8_S8_S8_S8_S8_EEEEPS9_S9_NSD_9__find_if7functorIS9_EEEE10hipError_tPvRmT1_T2_T3_mT4_P12ihipStream_tbEUlT_E1_NS1_11comp_targetILNS1_3genE0ELNS1_11target_archE4294967295ELNS1_3gpuE0ELNS1_3repE0EEENS1_30default_config_static_selectorELNS0_4arch9wavefront6targetE0EEEvS14_ ; -- Begin function _ZN7rocprim17ROCPRIM_400000_NS6detail17trampoline_kernelINS0_14default_configENS1_22reduce_config_selectorIN6thrust23THRUST_200600_302600_NS5tupleIblNS6_9null_typeES8_S8_S8_S8_S8_S8_S8_EEEEZNS1_11reduce_implILb1ES3_NS6_12zip_iteratorINS7_INS6_11hip_rocprim26transform_input_iterator_tIbNSD_35transform_pair_of_input_iterators_tIbNS6_6detail15normal_iteratorINS6_10device_ptrIKfEEEESL_NS6_8equal_toIfEEEENSG_9not_fun_tINSD_8identityEEEEENSD_19counting_iterator_tIlEES8_S8_S8_S8_S8_S8_S8_S8_EEEEPS9_S9_NSD_9__find_if7functorIS9_EEEE10hipError_tPvRmT1_T2_T3_mT4_P12ihipStream_tbEUlT_E1_NS1_11comp_targetILNS1_3genE0ELNS1_11target_archE4294967295ELNS1_3gpuE0ELNS1_3repE0EEENS1_30default_config_static_selectorELNS0_4arch9wavefront6targetE0EEEvS14_
	.globl	_ZN7rocprim17ROCPRIM_400000_NS6detail17trampoline_kernelINS0_14default_configENS1_22reduce_config_selectorIN6thrust23THRUST_200600_302600_NS5tupleIblNS6_9null_typeES8_S8_S8_S8_S8_S8_S8_EEEEZNS1_11reduce_implILb1ES3_NS6_12zip_iteratorINS7_INS6_11hip_rocprim26transform_input_iterator_tIbNSD_35transform_pair_of_input_iterators_tIbNS6_6detail15normal_iteratorINS6_10device_ptrIKfEEEESL_NS6_8equal_toIfEEEENSG_9not_fun_tINSD_8identityEEEEENSD_19counting_iterator_tIlEES8_S8_S8_S8_S8_S8_S8_S8_EEEEPS9_S9_NSD_9__find_if7functorIS9_EEEE10hipError_tPvRmT1_T2_T3_mT4_P12ihipStream_tbEUlT_E1_NS1_11comp_targetILNS1_3genE0ELNS1_11target_archE4294967295ELNS1_3gpuE0ELNS1_3repE0EEENS1_30default_config_static_selectorELNS0_4arch9wavefront6targetE0EEEvS14_
	.p2align	8
	.type	_ZN7rocprim17ROCPRIM_400000_NS6detail17trampoline_kernelINS0_14default_configENS1_22reduce_config_selectorIN6thrust23THRUST_200600_302600_NS5tupleIblNS6_9null_typeES8_S8_S8_S8_S8_S8_S8_EEEEZNS1_11reduce_implILb1ES3_NS6_12zip_iteratorINS7_INS6_11hip_rocprim26transform_input_iterator_tIbNSD_35transform_pair_of_input_iterators_tIbNS6_6detail15normal_iteratorINS6_10device_ptrIKfEEEESL_NS6_8equal_toIfEEEENSG_9not_fun_tINSD_8identityEEEEENSD_19counting_iterator_tIlEES8_S8_S8_S8_S8_S8_S8_S8_EEEEPS9_S9_NSD_9__find_if7functorIS9_EEEE10hipError_tPvRmT1_T2_T3_mT4_P12ihipStream_tbEUlT_E1_NS1_11comp_targetILNS1_3genE0ELNS1_11target_archE4294967295ELNS1_3gpuE0ELNS1_3repE0EEENS1_30default_config_static_selectorELNS0_4arch9wavefront6targetE0EEEvS14_,@function
_ZN7rocprim17ROCPRIM_400000_NS6detail17trampoline_kernelINS0_14default_configENS1_22reduce_config_selectorIN6thrust23THRUST_200600_302600_NS5tupleIblNS6_9null_typeES8_S8_S8_S8_S8_S8_S8_EEEEZNS1_11reduce_implILb1ES3_NS6_12zip_iteratorINS7_INS6_11hip_rocprim26transform_input_iterator_tIbNSD_35transform_pair_of_input_iterators_tIbNS6_6detail15normal_iteratorINS6_10device_ptrIKfEEEESL_NS6_8equal_toIfEEEENSG_9not_fun_tINSD_8identityEEEEENSD_19counting_iterator_tIlEES8_S8_S8_S8_S8_S8_S8_S8_EEEEPS9_S9_NSD_9__find_if7functorIS9_EEEE10hipError_tPvRmT1_T2_T3_mT4_P12ihipStream_tbEUlT_E1_NS1_11comp_targetILNS1_3genE0ELNS1_11target_archE4294967295ELNS1_3gpuE0ELNS1_3repE0EEENS1_30default_config_static_selectorELNS0_4arch9wavefront6targetE0EEEvS14_: ; @_ZN7rocprim17ROCPRIM_400000_NS6detail17trampoline_kernelINS0_14default_configENS1_22reduce_config_selectorIN6thrust23THRUST_200600_302600_NS5tupleIblNS6_9null_typeES8_S8_S8_S8_S8_S8_S8_EEEEZNS1_11reduce_implILb1ES3_NS6_12zip_iteratorINS7_INS6_11hip_rocprim26transform_input_iterator_tIbNSD_35transform_pair_of_input_iterators_tIbNS6_6detail15normal_iteratorINS6_10device_ptrIKfEEEESL_NS6_8equal_toIfEEEENSG_9not_fun_tINSD_8identityEEEEENSD_19counting_iterator_tIlEES8_S8_S8_S8_S8_S8_S8_S8_EEEEPS9_S9_NSD_9__find_if7functorIS9_EEEE10hipError_tPvRmT1_T2_T3_mT4_P12ihipStream_tbEUlT_E1_NS1_11comp_targetILNS1_3genE0ELNS1_11target_archE4294967295ELNS1_3gpuE0ELNS1_3repE0EEENS1_30default_config_static_selectorELNS0_4arch9wavefront6targetE0EEEvS14_
; %bb.0:
	.section	.rodata,"a",@progbits
	.p2align	6, 0x0
	.amdhsa_kernel _ZN7rocprim17ROCPRIM_400000_NS6detail17trampoline_kernelINS0_14default_configENS1_22reduce_config_selectorIN6thrust23THRUST_200600_302600_NS5tupleIblNS6_9null_typeES8_S8_S8_S8_S8_S8_S8_EEEEZNS1_11reduce_implILb1ES3_NS6_12zip_iteratorINS7_INS6_11hip_rocprim26transform_input_iterator_tIbNSD_35transform_pair_of_input_iterators_tIbNS6_6detail15normal_iteratorINS6_10device_ptrIKfEEEESL_NS6_8equal_toIfEEEENSG_9not_fun_tINSD_8identityEEEEENSD_19counting_iterator_tIlEES8_S8_S8_S8_S8_S8_S8_S8_EEEEPS9_S9_NSD_9__find_if7functorIS9_EEEE10hipError_tPvRmT1_T2_T3_mT4_P12ihipStream_tbEUlT_E1_NS1_11comp_targetILNS1_3genE0ELNS1_11target_archE4294967295ELNS1_3gpuE0ELNS1_3repE0EEENS1_30default_config_static_selectorELNS0_4arch9wavefront6targetE0EEEvS14_
		.amdhsa_group_segment_fixed_size 0
		.amdhsa_private_segment_fixed_size 0
		.amdhsa_kernarg_size 88
		.amdhsa_user_sgpr_count 6
		.amdhsa_user_sgpr_private_segment_buffer 1
		.amdhsa_user_sgpr_dispatch_ptr 0
		.amdhsa_user_sgpr_queue_ptr 0
		.amdhsa_user_sgpr_kernarg_segment_ptr 1
		.amdhsa_user_sgpr_dispatch_id 0
		.amdhsa_user_sgpr_flat_scratch_init 0
		.amdhsa_user_sgpr_private_segment_size 0
		.amdhsa_wavefront_size32 1
		.amdhsa_uses_dynamic_stack 0
		.amdhsa_system_sgpr_private_segment_wavefront_offset 0
		.amdhsa_system_sgpr_workgroup_id_x 1
		.amdhsa_system_sgpr_workgroup_id_y 0
		.amdhsa_system_sgpr_workgroup_id_z 0
		.amdhsa_system_sgpr_workgroup_info 0
		.amdhsa_system_vgpr_workitem_id 0
		.amdhsa_next_free_vgpr 1
		.amdhsa_next_free_sgpr 1
		.amdhsa_reserve_vcc 0
		.amdhsa_reserve_flat_scratch 0
		.amdhsa_float_round_mode_32 0
		.amdhsa_float_round_mode_16_64 0
		.amdhsa_float_denorm_mode_32 3
		.amdhsa_float_denorm_mode_16_64 3
		.amdhsa_dx10_clamp 1
		.amdhsa_ieee_mode 1
		.amdhsa_fp16_overflow 0
		.amdhsa_workgroup_processor_mode 1
		.amdhsa_memory_ordered 1
		.amdhsa_forward_progress 1
		.amdhsa_shared_vgpr_count 0
		.amdhsa_exception_fp_ieee_invalid_op 0
		.amdhsa_exception_fp_denorm_src 0
		.amdhsa_exception_fp_ieee_div_zero 0
		.amdhsa_exception_fp_ieee_overflow 0
		.amdhsa_exception_fp_ieee_underflow 0
		.amdhsa_exception_fp_ieee_inexact 0
		.amdhsa_exception_int_div_zero 0
	.end_amdhsa_kernel
	.section	.text._ZN7rocprim17ROCPRIM_400000_NS6detail17trampoline_kernelINS0_14default_configENS1_22reduce_config_selectorIN6thrust23THRUST_200600_302600_NS5tupleIblNS6_9null_typeES8_S8_S8_S8_S8_S8_S8_EEEEZNS1_11reduce_implILb1ES3_NS6_12zip_iteratorINS7_INS6_11hip_rocprim26transform_input_iterator_tIbNSD_35transform_pair_of_input_iterators_tIbNS6_6detail15normal_iteratorINS6_10device_ptrIKfEEEESL_NS6_8equal_toIfEEEENSG_9not_fun_tINSD_8identityEEEEENSD_19counting_iterator_tIlEES8_S8_S8_S8_S8_S8_S8_S8_EEEEPS9_S9_NSD_9__find_if7functorIS9_EEEE10hipError_tPvRmT1_T2_T3_mT4_P12ihipStream_tbEUlT_E1_NS1_11comp_targetILNS1_3genE0ELNS1_11target_archE4294967295ELNS1_3gpuE0ELNS1_3repE0EEENS1_30default_config_static_selectorELNS0_4arch9wavefront6targetE0EEEvS14_,"axG",@progbits,_ZN7rocprim17ROCPRIM_400000_NS6detail17trampoline_kernelINS0_14default_configENS1_22reduce_config_selectorIN6thrust23THRUST_200600_302600_NS5tupleIblNS6_9null_typeES8_S8_S8_S8_S8_S8_S8_EEEEZNS1_11reduce_implILb1ES3_NS6_12zip_iteratorINS7_INS6_11hip_rocprim26transform_input_iterator_tIbNSD_35transform_pair_of_input_iterators_tIbNS6_6detail15normal_iteratorINS6_10device_ptrIKfEEEESL_NS6_8equal_toIfEEEENSG_9not_fun_tINSD_8identityEEEEENSD_19counting_iterator_tIlEES8_S8_S8_S8_S8_S8_S8_S8_EEEEPS9_S9_NSD_9__find_if7functorIS9_EEEE10hipError_tPvRmT1_T2_T3_mT4_P12ihipStream_tbEUlT_E1_NS1_11comp_targetILNS1_3genE0ELNS1_11target_archE4294967295ELNS1_3gpuE0ELNS1_3repE0EEENS1_30default_config_static_selectorELNS0_4arch9wavefront6targetE0EEEvS14_,comdat
.Lfunc_end86:
	.size	_ZN7rocprim17ROCPRIM_400000_NS6detail17trampoline_kernelINS0_14default_configENS1_22reduce_config_selectorIN6thrust23THRUST_200600_302600_NS5tupleIblNS6_9null_typeES8_S8_S8_S8_S8_S8_S8_EEEEZNS1_11reduce_implILb1ES3_NS6_12zip_iteratorINS7_INS6_11hip_rocprim26transform_input_iterator_tIbNSD_35transform_pair_of_input_iterators_tIbNS6_6detail15normal_iteratorINS6_10device_ptrIKfEEEESL_NS6_8equal_toIfEEEENSG_9not_fun_tINSD_8identityEEEEENSD_19counting_iterator_tIlEES8_S8_S8_S8_S8_S8_S8_S8_EEEEPS9_S9_NSD_9__find_if7functorIS9_EEEE10hipError_tPvRmT1_T2_T3_mT4_P12ihipStream_tbEUlT_E1_NS1_11comp_targetILNS1_3genE0ELNS1_11target_archE4294967295ELNS1_3gpuE0ELNS1_3repE0EEENS1_30default_config_static_selectorELNS0_4arch9wavefront6targetE0EEEvS14_, .Lfunc_end86-_ZN7rocprim17ROCPRIM_400000_NS6detail17trampoline_kernelINS0_14default_configENS1_22reduce_config_selectorIN6thrust23THRUST_200600_302600_NS5tupleIblNS6_9null_typeES8_S8_S8_S8_S8_S8_S8_EEEEZNS1_11reduce_implILb1ES3_NS6_12zip_iteratorINS7_INS6_11hip_rocprim26transform_input_iterator_tIbNSD_35transform_pair_of_input_iterators_tIbNS6_6detail15normal_iteratorINS6_10device_ptrIKfEEEESL_NS6_8equal_toIfEEEENSG_9not_fun_tINSD_8identityEEEEENSD_19counting_iterator_tIlEES8_S8_S8_S8_S8_S8_S8_S8_EEEEPS9_S9_NSD_9__find_if7functorIS9_EEEE10hipError_tPvRmT1_T2_T3_mT4_P12ihipStream_tbEUlT_E1_NS1_11comp_targetILNS1_3genE0ELNS1_11target_archE4294967295ELNS1_3gpuE0ELNS1_3repE0EEENS1_30default_config_static_selectorELNS0_4arch9wavefront6targetE0EEEvS14_
                                        ; -- End function
	.set _ZN7rocprim17ROCPRIM_400000_NS6detail17trampoline_kernelINS0_14default_configENS1_22reduce_config_selectorIN6thrust23THRUST_200600_302600_NS5tupleIblNS6_9null_typeES8_S8_S8_S8_S8_S8_S8_EEEEZNS1_11reduce_implILb1ES3_NS6_12zip_iteratorINS7_INS6_11hip_rocprim26transform_input_iterator_tIbNSD_35transform_pair_of_input_iterators_tIbNS6_6detail15normal_iteratorINS6_10device_ptrIKfEEEESL_NS6_8equal_toIfEEEENSG_9not_fun_tINSD_8identityEEEEENSD_19counting_iterator_tIlEES8_S8_S8_S8_S8_S8_S8_S8_EEEEPS9_S9_NSD_9__find_if7functorIS9_EEEE10hipError_tPvRmT1_T2_T3_mT4_P12ihipStream_tbEUlT_E1_NS1_11comp_targetILNS1_3genE0ELNS1_11target_archE4294967295ELNS1_3gpuE0ELNS1_3repE0EEENS1_30default_config_static_selectorELNS0_4arch9wavefront6targetE0EEEvS14_.num_vgpr, 0
	.set _ZN7rocprim17ROCPRIM_400000_NS6detail17trampoline_kernelINS0_14default_configENS1_22reduce_config_selectorIN6thrust23THRUST_200600_302600_NS5tupleIblNS6_9null_typeES8_S8_S8_S8_S8_S8_S8_EEEEZNS1_11reduce_implILb1ES3_NS6_12zip_iteratorINS7_INS6_11hip_rocprim26transform_input_iterator_tIbNSD_35transform_pair_of_input_iterators_tIbNS6_6detail15normal_iteratorINS6_10device_ptrIKfEEEESL_NS6_8equal_toIfEEEENSG_9not_fun_tINSD_8identityEEEEENSD_19counting_iterator_tIlEES8_S8_S8_S8_S8_S8_S8_S8_EEEEPS9_S9_NSD_9__find_if7functorIS9_EEEE10hipError_tPvRmT1_T2_T3_mT4_P12ihipStream_tbEUlT_E1_NS1_11comp_targetILNS1_3genE0ELNS1_11target_archE4294967295ELNS1_3gpuE0ELNS1_3repE0EEENS1_30default_config_static_selectorELNS0_4arch9wavefront6targetE0EEEvS14_.num_agpr, 0
	.set _ZN7rocprim17ROCPRIM_400000_NS6detail17trampoline_kernelINS0_14default_configENS1_22reduce_config_selectorIN6thrust23THRUST_200600_302600_NS5tupleIblNS6_9null_typeES8_S8_S8_S8_S8_S8_S8_EEEEZNS1_11reduce_implILb1ES3_NS6_12zip_iteratorINS7_INS6_11hip_rocprim26transform_input_iterator_tIbNSD_35transform_pair_of_input_iterators_tIbNS6_6detail15normal_iteratorINS6_10device_ptrIKfEEEESL_NS6_8equal_toIfEEEENSG_9not_fun_tINSD_8identityEEEEENSD_19counting_iterator_tIlEES8_S8_S8_S8_S8_S8_S8_S8_EEEEPS9_S9_NSD_9__find_if7functorIS9_EEEE10hipError_tPvRmT1_T2_T3_mT4_P12ihipStream_tbEUlT_E1_NS1_11comp_targetILNS1_3genE0ELNS1_11target_archE4294967295ELNS1_3gpuE0ELNS1_3repE0EEENS1_30default_config_static_selectorELNS0_4arch9wavefront6targetE0EEEvS14_.numbered_sgpr, 0
	.set _ZN7rocprim17ROCPRIM_400000_NS6detail17trampoline_kernelINS0_14default_configENS1_22reduce_config_selectorIN6thrust23THRUST_200600_302600_NS5tupleIblNS6_9null_typeES8_S8_S8_S8_S8_S8_S8_EEEEZNS1_11reduce_implILb1ES3_NS6_12zip_iteratorINS7_INS6_11hip_rocprim26transform_input_iterator_tIbNSD_35transform_pair_of_input_iterators_tIbNS6_6detail15normal_iteratorINS6_10device_ptrIKfEEEESL_NS6_8equal_toIfEEEENSG_9not_fun_tINSD_8identityEEEEENSD_19counting_iterator_tIlEES8_S8_S8_S8_S8_S8_S8_S8_EEEEPS9_S9_NSD_9__find_if7functorIS9_EEEE10hipError_tPvRmT1_T2_T3_mT4_P12ihipStream_tbEUlT_E1_NS1_11comp_targetILNS1_3genE0ELNS1_11target_archE4294967295ELNS1_3gpuE0ELNS1_3repE0EEENS1_30default_config_static_selectorELNS0_4arch9wavefront6targetE0EEEvS14_.num_named_barrier, 0
	.set _ZN7rocprim17ROCPRIM_400000_NS6detail17trampoline_kernelINS0_14default_configENS1_22reduce_config_selectorIN6thrust23THRUST_200600_302600_NS5tupleIblNS6_9null_typeES8_S8_S8_S8_S8_S8_S8_EEEEZNS1_11reduce_implILb1ES3_NS6_12zip_iteratorINS7_INS6_11hip_rocprim26transform_input_iterator_tIbNSD_35transform_pair_of_input_iterators_tIbNS6_6detail15normal_iteratorINS6_10device_ptrIKfEEEESL_NS6_8equal_toIfEEEENSG_9not_fun_tINSD_8identityEEEEENSD_19counting_iterator_tIlEES8_S8_S8_S8_S8_S8_S8_S8_EEEEPS9_S9_NSD_9__find_if7functorIS9_EEEE10hipError_tPvRmT1_T2_T3_mT4_P12ihipStream_tbEUlT_E1_NS1_11comp_targetILNS1_3genE0ELNS1_11target_archE4294967295ELNS1_3gpuE0ELNS1_3repE0EEENS1_30default_config_static_selectorELNS0_4arch9wavefront6targetE0EEEvS14_.private_seg_size, 0
	.set _ZN7rocprim17ROCPRIM_400000_NS6detail17trampoline_kernelINS0_14default_configENS1_22reduce_config_selectorIN6thrust23THRUST_200600_302600_NS5tupleIblNS6_9null_typeES8_S8_S8_S8_S8_S8_S8_EEEEZNS1_11reduce_implILb1ES3_NS6_12zip_iteratorINS7_INS6_11hip_rocprim26transform_input_iterator_tIbNSD_35transform_pair_of_input_iterators_tIbNS6_6detail15normal_iteratorINS6_10device_ptrIKfEEEESL_NS6_8equal_toIfEEEENSG_9not_fun_tINSD_8identityEEEEENSD_19counting_iterator_tIlEES8_S8_S8_S8_S8_S8_S8_S8_EEEEPS9_S9_NSD_9__find_if7functorIS9_EEEE10hipError_tPvRmT1_T2_T3_mT4_P12ihipStream_tbEUlT_E1_NS1_11comp_targetILNS1_3genE0ELNS1_11target_archE4294967295ELNS1_3gpuE0ELNS1_3repE0EEENS1_30default_config_static_selectorELNS0_4arch9wavefront6targetE0EEEvS14_.uses_vcc, 0
	.set _ZN7rocprim17ROCPRIM_400000_NS6detail17trampoline_kernelINS0_14default_configENS1_22reduce_config_selectorIN6thrust23THRUST_200600_302600_NS5tupleIblNS6_9null_typeES8_S8_S8_S8_S8_S8_S8_EEEEZNS1_11reduce_implILb1ES3_NS6_12zip_iteratorINS7_INS6_11hip_rocprim26transform_input_iterator_tIbNSD_35transform_pair_of_input_iterators_tIbNS6_6detail15normal_iteratorINS6_10device_ptrIKfEEEESL_NS6_8equal_toIfEEEENSG_9not_fun_tINSD_8identityEEEEENSD_19counting_iterator_tIlEES8_S8_S8_S8_S8_S8_S8_S8_EEEEPS9_S9_NSD_9__find_if7functorIS9_EEEE10hipError_tPvRmT1_T2_T3_mT4_P12ihipStream_tbEUlT_E1_NS1_11comp_targetILNS1_3genE0ELNS1_11target_archE4294967295ELNS1_3gpuE0ELNS1_3repE0EEENS1_30default_config_static_selectorELNS0_4arch9wavefront6targetE0EEEvS14_.uses_flat_scratch, 0
	.set _ZN7rocprim17ROCPRIM_400000_NS6detail17trampoline_kernelINS0_14default_configENS1_22reduce_config_selectorIN6thrust23THRUST_200600_302600_NS5tupleIblNS6_9null_typeES8_S8_S8_S8_S8_S8_S8_EEEEZNS1_11reduce_implILb1ES3_NS6_12zip_iteratorINS7_INS6_11hip_rocprim26transform_input_iterator_tIbNSD_35transform_pair_of_input_iterators_tIbNS6_6detail15normal_iteratorINS6_10device_ptrIKfEEEESL_NS6_8equal_toIfEEEENSG_9not_fun_tINSD_8identityEEEEENSD_19counting_iterator_tIlEES8_S8_S8_S8_S8_S8_S8_S8_EEEEPS9_S9_NSD_9__find_if7functorIS9_EEEE10hipError_tPvRmT1_T2_T3_mT4_P12ihipStream_tbEUlT_E1_NS1_11comp_targetILNS1_3genE0ELNS1_11target_archE4294967295ELNS1_3gpuE0ELNS1_3repE0EEENS1_30default_config_static_selectorELNS0_4arch9wavefront6targetE0EEEvS14_.has_dyn_sized_stack, 0
	.set _ZN7rocprim17ROCPRIM_400000_NS6detail17trampoline_kernelINS0_14default_configENS1_22reduce_config_selectorIN6thrust23THRUST_200600_302600_NS5tupleIblNS6_9null_typeES8_S8_S8_S8_S8_S8_S8_EEEEZNS1_11reduce_implILb1ES3_NS6_12zip_iteratorINS7_INS6_11hip_rocprim26transform_input_iterator_tIbNSD_35transform_pair_of_input_iterators_tIbNS6_6detail15normal_iteratorINS6_10device_ptrIKfEEEESL_NS6_8equal_toIfEEEENSG_9not_fun_tINSD_8identityEEEEENSD_19counting_iterator_tIlEES8_S8_S8_S8_S8_S8_S8_S8_EEEEPS9_S9_NSD_9__find_if7functorIS9_EEEE10hipError_tPvRmT1_T2_T3_mT4_P12ihipStream_tbEUlT_E1_NS1_11comp_targetILNS1_3genE0ELNS1_11target_archE4294967295ELNS1_3gpuE0ELNS1_3repE0EEENS1_30default_config_static_selectorELNS0_4arch9wavefront6targetE0EEEvS14_.has_recursion, 0
	.set _ZN7rocprim17ROCPRIM_400000_NS6detail17trampoline_kernelINS0_14default_configENS1_22reduce_config_selectorIN6thrust23THRUST_200600_302600_NS5tupleIblNS6_9null_typeES8_S8_S8_S8_S8_S8_S8_EEEEZNS1_11reduce_implILb1ES3_NS6_12zip_iteratorINS7_INS6_11hip_rocprim26transform_input_iterator_tIbNSD_35transform_pair_of_input_iterators_tIbNS6_6detail15normal_iteratorINS6_10device_ptrIKfEEEESL_NS6_8equal_toIfEEEENSG_9not_fun_tINSD_8identityEEEEENSD_19counting_iterator_tIlEES8_S8_S8_S8_S8_S8_S8_S8_EEEEPS9_S9_NSD_9__find_if7functorIS9_EEEE10hipError_tPvRmT1_T2_T3_mT4_P12ihipStream_tbEUlT_E1_NS1_11comp_targetILNS1_3genE0ELNS1_11target_archE4294967295ELNS1_3gpuE0ELNS1_3repE0EEENS1_30default_config_static_selectorELNS0_4arch9wavefront6targetE0EEEvS14_.has_indirect_call, 0
	.section	.AMDGPU.csdata,"",@progbits
; Kernel info:
; codeLenInByte = 0
; TotalNumSgprs: 0
; NumVgprs: 0
; ScratchSize: 0
; MemoryBound: 0
; FloatMode: 240
; IeeeMode: 1
; LDSByteSize: 0 bytes/workgroup (compile time only)
; SGPRBlocks: 0
; VGPRBlocks: 0
; NumSGPRsForWavesPerEU: 1
; NumVGPRsForWavesPerEU: 1
; Occupancy: 16
; WaveLimiterHint : 0
; COMPUTE_PGM_RSRC2:SCRATCH_EN: 0
; COMPUTE_PGM_RSRC2:USER_SGPR: 6
; COMPUTE_PGM_RSRC2:TRAP_HANDLER: 0
; COMPUTE_PGM_RSRC2:TGID_X_EN: 1
; COMPUTE_PGM_RSRC2:TGID_Y_EN: 0
; COMPUTE_PGM_RSRC2:TGID_Z_EN: 0
; COMPUTE_PGM_RSRC2:TIDIG_COMP_CNT: 0
	.section	.text._ZN7rocprim17ROCPRIM_400000_NS6detail17trampoline_kernelINS0_14default_configENS1_22reduce_config_selectorIN6thrust23THRUST_200600_302600_NS5tupleIblNS6_9null_typeES8_S8_S8_S8_S8_S8_S8_EEEEZNS1_11reduce_implILb1ES3_NS6_12zip_iteratorINS7_INS6_11hip_rocprim26transform_input_iterator_tIbNSD_35transform_pair_of_input_iterators_tIbNS6_6detail15normal_iteratorINS6_10device_ptrIKfEEEESL_NS6_8equal_toIfEEEENSG_9not_fun_tINSD_8identityEEEEENSD_19counting_iterator_tIlEES8_S8_S8_S8_S8_S8_S8_S8_EEEEPS9_S9_NSD_9__find_if7functorIS9_EEEE10hipError_tPvRmT1_T2_T3_mT4_P12ihipStream_tbEUlT_E1_NS1_11comp_targetILNS1_3genE5ELNS1_11target_archE942ELNS1_3gpuE9ELNS1_3repE0EEENS1_30default_config_static_selectorELNS0_4arch9wavefront6targetE0EEEvS14_,"axG",@progbits,_ZN7rocprim17ROCPRIM_400000_NS6detail17trampoline_kernelINS0_14default_configENS1_22reduce_config_selectorIN6thrust23THRUST_200600_302600_NS5tupleIblNS6_9null_typeES8_S8_S8_S8_S8_S8_S8_EEEEZNS1_11reduce_implILb1ES3_NS6_12zip_iteratorINS7_INS6_11hip_rocprim26transform_input_iterator_tIbNSD_35transform_pair_of_input_iterators_tIbNS6_6detail15normal_iteratorINS6_10device_ptrIKfEEEESL_NS6_8equal_toIfEEEENSG_9not_fun_tINSD_8identityEEEEENSD_19counting_iterator_tIlEES8_S8_S8_S8_S8_S8_S8_S8_EEEEPS9_S9_NSD_9__find_if7functorIS9_EEEE10hipError_tPvRmT1_T2_T3_mT4_P12ihipStream_tbEUlT_E1_NS1_11comp_targetILNS1_3genE5ELNS1_11target_archE942ELNS1_3gpuE9ELNS1_3repE0EEENS1_30default_config_static_selectorELNS0_4arch9wavefront6targetE0EEEvS14_,comdat
	.protected	_ZN7rocprim17ROCPRIM_400000_NS6detail17trampoline_kernelINS0_14default_configENS1_22reduce_config_selectorIN6thrust23THRUST_200600_302600_NS5tupleIblNS6_9null_typeES8_S8_S8_S8_S8_S8_S8_EEEEZNS1_11reduce_implILb1ES3_NS6_12zip_iteratorINS7_INS6_11hip_rocprim26transform_input_iterator_tIbNSD_35transform_pair_of_input_iterators_tIbNS6_6detail15normal_iteratorINS6_10device_ptrIKfEEEESL_NS6_8equal_toIfEEEENSG_9not_fun_tINSD_8identityEEEEENSD_19counting_iterator_tIlEES8_S8_S8_S8_S8_S8_S8_S8_EEEEPS9_S9_NSD_9__find_if7functorIS9_EEEE10hipError_tPvRmT1_T2_T3_mT4_P12ihipStream_tbEUlT_E1_NS1_11comp_targetILNS1_3genE5ELNS1_11target_archE942ELNS1_3gpuE9ELNS1_3repE0EEENS1_30default_config_static_selectorELNS0_4arch9wavefront6targetE0EEEvS14_ ; -- Begin function _ZN7rocprim17ROCPRIM_400000_NS6detail17trampoline_kernelINS0_14default_configENS1_22reduce_config_selectorIN6thrust23THRUST_200600_302600_NS5tupleIblNS6_9null_typeES8_S8_S8_S8_S8_S8_S8_EEEEZNS1_11reduce_implILb1ES3_NS6_12zip_iteratorINS7_INS6_11hip_rocprim26transform_input_iterator_tIbNSD_35transform_pair_of_input_iterators_tIbNS6_6detail15normal_iteratorINS6_10device_ptrIKfEEEESL_NS6_8equal_toIfEEEENSG_9not_fun_tINSD_8identityEEEEENSD_19counting_iterator_tIlEES8_S8_S8_S8_S8_S8_S8_S8_EEEEPS9_S9_NSD_9__find_if7functorIS9_EEEE10hipError_tPvRmT1_T2_T3_mT4_P12ihipStream_tbEUlT_E1_NS1_11comp_targetILNS1_3genE5ELNS1_11target_archE942ELNS1_3gpuE9ELNS1_3repE0EEENS1_30default_config_static_selectorELNS0_4arch9wavefront6targetE0EEEvS14_
	.globl	_ZN7rocprim17ROCPRIM_400000_NS6detail17trampoline_kernelINS0_14default_configENS1_22reduce_config_selectorIN6thrust23THRUST_200600_302600_NS5tupleIblNS6_9null_typeES8_S8_S8_S8_S8_S8_S8_EEEEZNS1_11reduce_implILb1ES3_NS6_12zip_iteratorINS7_INS6_11hip_rocprim26transform_input_iterator_tIbNSD_35transform_pair_of_input_iterators_tIbNS6_6detail15normal_iteratorINS6_10device_ptrIKfEEEESL_NS6_8equal_toIfEEEENSG_9not_fun_tINSD_8identityEEEEENSD_19counting_iterator_tIlEES8_S8_S8_S8_S8_S8_S8_S8_EEEEPS9_S9_NSD_9__find_if7functorIS9_EEEE10hipError_tPvRmT1_T2_T3_mT4_P12ihipStream_tbEUlT_E1_NS1_11comp_targetILNS1_3genE5ELNS1_11target_archE942ELNS1_3gpuE9ELNS1_3repE0EEENS1_30default_config_static_selectorELNS0_4arch9wavefront6targetE0EEEvS14_
	.p2align	8
	.type	_ZN7rocprim17ROCPRIM_400000_NS6detail17trampoline_kernelINS0_14default_configENS1_22reduce_config_selectorIN6thrust23THRUST_200600_302600_NS5tupleIblNS6_9null_typeES8_S8_S8_S8_S8_S8_S8_EEEEZNS1_11reduce_implILb1ES3_NS6_12zip_iteratorINS7_INS6_11hip_rocprim26transform_input_iterator_tIbNSD_35transform_pair_of_input_iterators_tIbNS6_6detail15normal_iteratorINS6_10device_ptrIKfEEEESL_NS6_8equal_toIfEEEENSG_9not_fun_tINSD_8identityEEEEENSD_19counting_iterator_tIlEES8_S8_S8_S8_S8_S8_S8_S8_EEEEPS9_S9_NSD_9__find_if7functorIS9_EEEE10hipError_tPvRmT1_T2_T3_mT4_P12ihipStream_tbEUlT_E1_NS1_11comp_targetILNS1_3genE5ELNS1_11target_archE942ELNS1_3gpuE9ELNS1_3repE0EEENS1_30default_config_static_selectorELNS0_4arch9wavefront6targetE0EEEvS14_,@function
_ZN7rocprim17ROCPRIM_400000_NS6detail17trampoline_kernelINS0_14default_configENS1_22reduce_config_selectorIN6thrust23THRUST_200600_302600_NS5tupleIblNS6_9null_typeES8_S8_S8_S8_S8_S8_S8_EEEEZNS1_11reduce_implILb1ES3_NS6_12zip_iteratorINS7_INS6_11hip_rocprim26transform_input_iterator_tIbNSD_35transform_pair_of_input_iterators_tIbNS6_6detail15normal_iteratorINS6_10device_ptrIKfEEEESL_NS6_8equal_toIfEEEENSG_9not_fun_tINSD_8identityEEEEENSD_19counting_iterator_tIlEES8_S8_S8_S8_S8_S8_S8_S8_EEEEPS9_S9_NSD_9__find_if7functorIS9_EEEE10hipError_tPvRmT1_T2_T3_mT4_P12ihipStream_tbEUlT_E1_NS1_11comp_targetILNS1_3genE5ELNS1_11target_archE942ELNS1_3gpuE9ELNS1_3repE0EEENS1_30default_config_static_selectorELNS0_4arch9wavefront6targetE0EEEvS14_: ; @_ZN7rocprim17ROCPRIM_400000_NS6detail17trampoline_kernelINS0_14default_configENS1_22reduce_config_selectorIN6thrust23THRUST_200600_302600_NS5tupleIblNS6_9null_typeES8_S8_S8_S8_S8_S8_S8_EEEEZNS1_11reduce_implILb1ES3_NS6_12zip_iteratorINS7_INS6_11hip_rocprim26transform_input_iterator_tIbNSD_35transform_pair_of_input_iterators_tIbNS6_6detail15normal_iteratorINS6_10device_ptrIKfEEEESL_NS6_8equal_toIfEEEENSG_9not_fun_tINSD_8identityEEEEENSD_19counting_iterator_tIlEES8_S8_S8_S8_S8_S8_S8_S8_EEEEPS9_S9_NSD_9__find_if7functorIS9_EEEE10hipError_tPvRmT1_T2_T3_mT4_P12ihipStream_tbEUlT_E1_NS1_11comp_targetILNS1_3genE5ELNS1_11target_archE942ELNS1_3gpuE9ELNS1_3repE0EEENS1_30default_config_static_selectorELNS0_4arch9wavefront6targetE0EEEvS14_
; %bb.0:
	.section	.rodata,"a",@progbits
	.p2align	6, 0x0
	.amdhsa_kernel _ZN7rocprim17ROCPRIM_400000_NS6detail17trampoline_kernelINS0_14default_configENS1_22reduce_config_selectorIN6thrust23THRUST_200600_302600_NS5tupleIblNS6_9null_typeES8_S8_S8_S8_S8_S8_S8_EEEEZNS1_11reduce_implILb1ES3_NS6_12zip_iteratorINS7_INS6_11hip_rocprim26transform_input_iterator_tIbNSD_35transform_pair_of_input_iterators_tIbNS6_6detail15normal_iteratorINS6_10device_ptrIKfEEEESL_NS6_8equal_toIfEEEENSG_9not_fun_tINSD_8identityEEEEENSD_19counting_iterator_tIlEES8_S8_S8_S8_S8_S8_S8_S8_EEEEPS9_S9_NSD_9__find_if7functorIS9_EEEE10hipError_tPvRmT1_T2_T3_mT4_P12ihipStream_tbEUlT_E1_NS1_11comp_targetILNS1_3genE5ELNS1_11target_archE942ELNS1_3gpuE9ELNS1_3repE0EEENS1_30default_config_static_selectorELNS0_4arch9wavefront6targetE0EEEvS14_
		.amdhsa_group_segment_fixed_size 0
		.amdhsa_private_segment_fixed_size 0
		.amdhsa_kernarg_size 88
		.amdhsa_user_sgpr_count 6
		.amdhsa_user_sgpr_private_segment_buffer 1
		.amdhsa_user_sgpr_dispatch_ptr 0
		.amdhsa_user_sgpr_queue_ptr 0
		.amdhsa_user_sgpr_kernarg_segment_ptr 1
		.amdhsa_user_sgpr_dispatch_id 0
		.amdhsa_user_sgpr_flat_scratch_init 0
		.amdhsa_user_sgpr_private_segment_size 0
		.amdhsa_wavefront_size32 1
		.amdhsa_uses_dynamic_stack 0
		.amdhsa_system_sgpr_private_segment_wavefront_offset 0
		.amdhsa_system_sgpr_workgroup_id_x 1
		.amdhsa_system_sgpr_workgroup_id_y 0
		.amdhsa_system_sgpr_workgroup_id_z 0
		.amdhsa_system_sgpr_workgroup_info 0
		.amdhsa_system_vgpr_workitem_id 0
		.amdhsa_next_free_vgpr 1
		.amdhsa_next_free_sgpr 1
		.amdhsa_reserve_vcc 0
		.amdhsa_reserve_flat_scratch 0
		.amdhsa_float_round_mode_32 0
		.amdhsa_float_round_mode_16_64 0
		.amdhsa_float_denorm_mode_32 3
		.amdhsa_float_denorm_mode_16_64 3
		.amdhsa_dx10_clamp 1
		.amdhsa_ieee_mode 1
		.amdhsa_fp16_overflow 0
		.amdhsa_workgroup_processor_mode 1
		.amdhsa_memory_ordered 1
		.amdhsa_forward_progress 1
		.amdhsa_shared_vgpr_count 0
		.amdhsa_exception_fp_ieee_invalid_op 0
		.amdhsa_exception_fp_denorm_src 0
		.amdhsa_exception_fp_ieee_div_zero 0
		.amdhsa_exception_fp_ieee_overflow 0
		.amdhsa_exception_fp_ieee_underflow 0
		.amdhsa_exception_fp_ieee_inexact 0
		.amdhsa_exception_int_div_zero 0
	.end_amdhsa_kernel
	.section	.text._ZN7rocprim17ROCPRIM_400000_NS6detail17trampoline_kernelINS0_14default_configENS1_22reduce_config_selectorIN6thrust23THRUST_200600_302600_NS5tupleIblNS6_9null_typeES8_S8_S8_S8_S8_S8_S8_EEEEZNS1_11reduce_implILb1ES3_NS6_12zip_iteratorINS7_INS6_11hip_rocprim26transform_input_iterator_tIbNSD_35transform_pair_of_input_iterators_tIbNS6_6detail15normal_iteratorINS6_10device_ptrIKfEEEESL_NS6_8equal_toIfEEEENSG_9not_fun_tINSD_8identityEEEEENSD_19counting_iterator_tIlEES8_S8_S8_S8_S8_S8_S8_S8_EEEEPS9_S9_NSD_9__find_if7functorIS9_EEEE10hipError_tPvRmT1_T2_T3_mT4_P12ihipStream_tbEUlT_E1_NS1_11comp_targetILNS1_3genE5ELNS1_11target_archE942ELNS1_3gpuE9ELNS1_3repE0EEENS1_30default_config_static_selectorELNS0_4arch9wavefront6targetE0EEEvS14_,"axG",@progbits,_ZN7rocprim17ROCPRIM_400000_NS6detail17trampoline_kernelINS0_14default_configENS1_22reduce_config_selectorIN6thrust23THRUST_200600_302600_NS5tupleIblNS6_9null_typeES8_S8_S8_S8_S8_S8_S8_EEEEZNS1_11reduce_implILb1ES3_NS6_12zip_iteratorINS7_INS6_11hip_rocprim26transform_input_iterator_tIbNSD_35transform_pair_of_input_iterators_tIbNS6_6detail15normal_iteratorINS6_10device_ptrIKfEEEESL_NS6_8equal_toIfEEEENSG_9not_fun_tINSD_8identityEEEEENSD_19counting_iterator_tIlEES8_S8_S8_S8_S8_S8_S8_S8_EEEEPS9_S9_NSD_9__find_if7functorIS9_EEEE10hipError_tPvRmT1_T2_T3_mT4_P12ihipStream_tbEUlT_E1_NS1_11comp_targetILNS1_3genE5ELNS1_11target_archE942ELNS1_3gpuE9ELNS1_3repE0EEENS1_30default_config_static_selectorELNS0_4arch9wavefront6targetE0EEEvS14_,comdat
.Lfunc_end87:
	.size	_ZN7rocprim17ROCPRIM_400000_NS6detail17trampoline_kernelINS0_14default_configENS1_22reduce_config_selectorIN6thrust23THRUST_200600_302600_NS5tupleIblNS6_9null_typeES8_S8_S8_S8_S8_S8_S8_EEEEZNS1_11reduce_implILb1ES3_NS6_12zip_iteratorINS7_INS6_11hip_rocprim26transform_input_iterator_tIbNSD_35transform_pair_of_input_iterators_tIbNS6_6detail15normal_iteratorINS6_10device_ptrIKfEEEESL_NS6_8equal_toIfEEEENSG_9not_fun_tINSD_8identityEEEEENSD_19counting_iterator_tIlEES8_S8_S8_S8_S8_S8_S8_S8_EEEEPS9_S9_NSD_9__find_if7functorIS9_EEEE10hipError_tPvRmT1_T2_T3_mT4_P12ihipStream_tbEUlT_E1_NS1_11comp_targetILNS1_3genE5ELNS1_11target_archE942ELNS1_3gpuE9ELNS1_3repE0EEENS1_30default_config_static_selectorELNS0_4arch9wavefront6targetE0EEEvS14_, .Lfunc_end87-_ZN7rocprim17ROCPRIM_400000_NS6detail17trampoline_kernelINS0_14default_configENS1_22reduce_config_selectorIN6thrust23THRUST_200600_302600_NS5tupleIblNS6_9null_typeES8_S8_S8_S8_S8_S8_S8_EEEEZNS1_11reduce_implILb1ES3_NS6_12zip_iteratorINS7_INS6_11hip_rocprim26transform_input_iterator_tIbNSD_35transform_pair_of_input_iterators_tIbNS6_6detail15normal_iteratorINS6_10device_ptrIKfEEEESL_NS6_8equal_toIfEEEENSG_9not_fun_tINSD_8identityEEEEENSD_19counting_iterator_tIlEES8_S8_S8_S8_S8_S8_S8_S8_EEEEPS9_S9_NSD_9__find_if7functorIS9_EEEE10hipError_tPvRmT1_T2_T3_mT4_P12ihipStream_tbEUlT_E1_NS1_11comp_targetILNS1_3genE5ELNS1_11target_archE942ELNS1_3gpuE9ELNS1_3repE0EEENS1_30default_config_static_selectorELNS0_4arch9wavefront6targetE0EEEvS14_
                                        ; -- End function
	.set _ZN7rocprim17ROCPRIM_400000_NS6detail17trampoline_kernelINS0_14default_configENS1_22reduce_config_selectorIN6thrust23THRUST_200600_302600_NS5tupleIblNS6_9null_typeES8_S8_S8_S8_S8_S8_S8_EEEEZNS1_11reduce_implILb1ES3_NS6_12zip_iteratorINS7_INS6_11hip_rocprim26transform_input_iterator_tIbNSD_35transform_pair_of_input_iterators_tIbNS6_6detail15normal_iteratorINS6_10device_ptrIKfEEEESL_NS6_8equal_toIfEEEENSG_9not_fun_tINSD_8identityEEEEENSD_19counting_iterator_tIlEES8_S8_S8_S8_S8_S8_S8_S8_EEEEPS9_S9_NSD_9__find_if7functorIS9_EEEE10hipError_tPvRmT1_T2_T3_mT4_P12ihipStream_tbEUlT_E1_NS1_11comp_targetILNS1_3genE5ELNS1_11target_archE942ELNS1_3gpuE9ELNS1_3repE0EEENS1_30default_config_static_selectorELNS0_4arch9wavefront6targetE0EEEvS14_.num_vgpr, 0
	.set _ZN7rocprim17ROCPRIM_400000_NS6detail17trampoline_kernelINS0_14default_configENS1_22reduce_config_selectorIN6thrust23THRUST_200600_302600_NS5tupleIblNS6_9null_typeES8_S8_S8_S8_S8_S8_S8_EEEEZNS1_11reduce_implILb1ES3_NS6_12zip_iteratorINS7_INS6_11hip_rocprim26transform_input_iterator_tIbNSD_35transform_pair_of_input_iterators_tIbNS6_6detail15normal_iteratorINS6_10device_ptrIKfEEEESL_NS6_8equal_toIfEEEENSG_9not_fun_tINSD_8identityEEEEENSD_19counting_iterator_tIlEES8_S8_S8_S8_S8_S8_S8_S8_EEEEPS9_S9_NSD_9__find_if7functorIS9_EEEE10hipError_tPvRmT1_T2_T3_mT4_P12ihipStream_tbEUlT_E1_NS1_11comp_targetILNS1_3genE5ELNS1_11target_archE942ELNS1_3gpuE9ELNS1_3repE0EEENS1_30default_config_static_selectorELNS0_4arch9wavefront6targetE0EEEvS14_.num_agpr, 0
	.set _ZN7rocprim17ROCPRIM_400000_NS6detail17trampoline_kernelINS0_14default_configENS1_22reduce_config_selectorIN6thrust23THRUST_200600_302600_NS5tupleIblNS6_9null_typeES8_S8_S8_S8_S8_S8_S8_EEEEZNS1_11reduce_implILb1ES3_NS6_12zip_iteratorINS7_INS6_11hip_rocprim26transform_input_iterator_tIbNSD_35transform_pair_of_input_iterators_tIbNS6_6detail15normal_iteratorINS6_10device_ptrIKfEEEESL_NS6_8equal_toIfEEEENSG_9not_fun_tINSD_8identityEEEEENSD_19counting_iterator_tIlEES8_S8_S8_S8_S8_S8_S8_S8_EEEEPS9_S9_NSD_9__find_if7functorIS9_EEEE10hipError_tPvRmT1_T2_T3_mT4_P12ihipStream_tbEUlT_E1_NS1_11comp_targetILNS1_3genE5ELNS1_11target_archE942ELNS1_3gpuE9ELNS1_3repE0EEENS1_30default_config_static_selectorELNS0_4arch9wavefront6targetE0EEEvS14_.numbered_sgpr, 0
	.set _ZN7rocprim17ROCPRIM_400000_NS6detail17trampoline_kernelINS0_14default_configENS1_22reduce_config_selectorIN6thrust23THRUST_200600_302600_NS5tupleIblNS6_9null_typeES8_S8_S8_S8_S8_S8_S8_EEEEZNS1_11reduce_implILb1ES3_NS6_12zip_iteratorINS7_INS6_11hip_rocprim26transform_input_iterator_tIbNSD_35transform_pair_of_input_iterators_tIbNS6_6detail15normal_iteratorINS6_10device_ptrIKfEEEESL_NS6_8equal_toIfEEEENSG_9not_fun_tINSD_8identityEEEEENSD_19counting_iterator_tIlEES8_S8_S8_S8_S8_S8_S8_S8_EEEEPS9_S9_NSD_9__find_if7functorIS9_EEEE10hipError_tPvRmT1_T2_T3_mT4_P12ihipStream_tbEUlT_E1_NS1_11comp_targetILNS1_3genE5ELNS1_11target_archE942ELNS1_3gpuE9ELNS1_3repE0EEENS1_30default_config_static_selectorELNS0_4arch9wavefront6targetE0EEEvS14_.num_named_barrier, 0
	.set _ZN7rocprim17ROCPRIM_400000_NS6detail17trampoline_kernelINS0_14default_configENS1_22reduce_config_selectorIN6thrust23THRUST_200600_302600_NS5tupleIblNS6_9null_typeES8_S8_S8_S8_S8_S8_S8_EEEEZNS1_11reduce_implILb1ES3_NS6_12zip_iteratorINS7_INS6_11hip_rocprim26transform_input_iterator_tIbNSD_35transform_pair_of_input_iterators_tIbNS6_6detail15normal_iteratorINS6_10device_ptrIKfEEEESL_NS6_8equal_toIfEEEENSG_9not_fun_tINSD_8identityEEEEENSD_19counting_iterator_tIlEES8_S8_S8_S8_S8_S8_S8_S8_EEEEPS9_S9_NSD_9__find_if7functorIS9_EEEE10hipError_tPvRmT1_T2_T3_mT4_P12ihipStream_tbEUlT_E1_NS1_11comp_targetILNS1_3genE5ELNS1_11target_archE942ELNS1_3gpuE9ELNS1_3repE0EEENS1_30default_config_static_selectorELNS0_4arch9wavefront6targetE0EEEvS14_.private_seg_size, 0
	.set _ZN7rocprim17ROCPRIM_400000_NS6detail17trampoline_kernelINS0_14default_configENS1_22reduce_config_selectorIN6thrust23THRUST_200600_302600_NS5tupleIblNS6_9null_typeES8_S8_S8_S8_S8_S8_S8_EEEEZNS1_11reduce_implILb1ES3_NS6_12zip_iteratorINS7_INS6_11hip_rocprim26transform_input_iterator_tIbNSD_35transform_pair_of_input_iterators_tIbNS6_6detail15normal_iteratorINS6_10device_ptrIKfEEEESL_NS6_8equal_toIfEEEENSG_9not_fun_tINSD_8identityEEEEENSD_19counting_iterator_tIlEES8_S8_S8_S8_S8_S8_S8_S8_EEEEPS9_S9_NSD_9__find_if7functorIS9_EEEE10hipError_tPvRmT1_T2_T3_mT4_P12ihipStream_tbEUlT_E1_NS1_11comp_targetILNS1_3genE5ELNS1_11target_archE942ELNS1_3gpuE9ELNS1_3repE0EEENS1_30default_config_static_selectorELNS0_4arch9wavefront6targetE0EEEvS14_.uses_vcc, 0
	.set _ZN7rocprim17ROCPRIM_400000_NS6detail17trampoline_kernelINS0_14default_configENS1_22reduce_config_selectorIN6thrust23THRUST_200600_302600_NS5tupleIblNS6_9null_typeES8_S8_S8_S8_S8_S8_S8_EEEEZNS1_11reduce_implILb1ES3_NS6_12zip_iteratorINS7_INS6_11hip_rocprim26transform_input_iterator_tIbNSD_35transform_pair_of_input_iterators_tIbNS6_6detail15normal_iteratorINS6_10device_ptrIKfEEEESL_NS6_8equal_toIfEEEENSG_9not_fun_tINSD_8identityEEEEENSD_19counting_iterator_tIlEES8_S8_S8_S8_S8_S8_S8_S8_EEEEPS9_S9_NSD_9__find_if7functorIS9_EEEE10hipError_tPvRmT1_T2_T3_mT4_P12ihipStream_tbEUlT_E1_NS1_11comp_targetILNS1_3genE5ELNS1_11target_archE942ELNS1_3gpuE9ELNS1_3repE0EEENS1_30default_config_static_selectorELNS0_4arch9wavefront6targetE0EEEvS14_.uses_flat_scratch, 0
	.set _ZN7rocprim17ROCPRIM_400000_NS6detail17trampoline_kernelINS0_14default_configENS1_22reduce_config_selectorIN6thrust23THRUST_200600_302600_NS5tupleIblNS6_9null_typeES8_S8_S8_S8_S8_S8_S8_EEEEZNS1_11reduce_implILb1ES3_NS6_12zip_iteratorINS7_INS6_11hip_rocprim26transform_input_iterator_tIbNSD_35transform_pair_of_input_iterators_tIbNS6_6detail15normal_iteratorINS6_10device_ptrIKfEEEESL_NS6_8equal_toIfEEEENSG_9not_fun_tINSD_8identityEEEEENSD_19counting_iterator_tIlEES8_S8_S8_S8_S8_S8_S8_S8_EEEEPS9_S9_NSD_9__find_if7functorIS9_EEEE10hipError_tPvRmT1_T2_T3_mT4_P12ihipStream_tbEUlT_E1_NS1_11comp_targetILNS1_3genE5ELNS1_11target_archE942ELNS1_3gpuE9ELNS1_3repE0EEENS1_30default_config_static_selectorELNS0_4arch9wavefront6targetE0EEEvS14_.has_dyn_sized_stack, 0
	.set _ZN7rocprim17ROCPRIM_400000_NS6detail17trampoline_kernelINS0_14default_configENS1_22reduce_config_selectorIN6thrust23THRUST_200600_302600_NS5tupleIblNS6_9null_typeES8_S8_S8_S8_S8_S8_S8_EEEEZNS1_11reduce_implILb1ES3_NS6_12zip_iteratorINS7_INS6_11hip_rocprim26transform_input_iterator_tIbNSD_35transform_pair_of_input_iterators_tIbNS6_6detail15normal_iteratorINS6_10device_ptrIKfEEEESL_NS6_8equal_toIfEEEENSG_9not_fun_tINSD_8identityEEEEENSD_19counting_iterator_tIlEES8_S8_S8_S8_S8_S8_S8_S8_EEEEPS9_S9_NSD_9__find_if7functorIS9_EEEE10hipError_tPvRmT1_T2_T3_mT4_P12ihipStream_tbEUlT_E1_NS1_11comp_targetILNS1_3genE5ELNS1_11target_archE942ELNS1_3gpuE9ELNS1_3repE0EEENS1_30default_config_static_selectorELNS0_4arch9wavefront6targetE0EEEvS14_.has_recursion, 0
	.set _ZN7rocprim17ROCPRIM_400000_NS6detail17trampoline_kernelINS0_14default_configENS1_22reduce_config_selectorIN6thrust23THRUST_200600_302600_NS5tupleIblNS6_9null_typeES8_S8_S8_S8_S8_S8_S8_EEEEZNS1_11reduce_implILb1ES3_NS6_12zip_iteratorINS7_INS6_11hip_rocprim26transform_input_iterator_tIbNSD_35transform_pair_of_input_iterators_tIbNS6_6detail15normal_iteratorINS6_10device_ptrIKfEEEESL_NS6_8equal_toIfEEEENSG_9not_fun_tINSD_8identityEEEEENSD_19counting_iterator_tIlEES8_S8_S8_S8_S8_S8_S8_S8_EEEEPS9_S9_NSD_9__find_if7functorIS9_EEEE10hipError_tPvRmT1_T2_T3_mT4_P12ihipStream_tbEUlT_E1_NS1_11comp_targetILNS1_3genE5ELNS1_11target_archE942ELNS1_3gpuE9ELNS1_3repE0EEENS1_30default_config_static_selectorELNS0_4arch9wavefront6targetE0EEEvS14_.has_indirect_call, 0
	.section	.AMDGPU.csdata,"",@progbits
; Kernel info:
; codeLenInByte = 0
; TotalNumSgprs: 0
; NumVgprs: 0
; ScratchSize: 0
; MemoryBound: 0
; FloatMode: 240
; IeeeMode: 1
; LDSByteSize: 0 bytes/workgroup (compile time only)
; SGPRBlocks: 0
; VGPRBlocks: 0
; NumSGPRsForWavesPerEU: 1
; NumVGPRsForWavesPerEU: 1
; Occupancy: 16
; WaveLimiterHint : 0
; COMPUTE_PGM_RSRC2:SCRATCH_EN: 0
; COMPUTE_PGM_RSRC2:USER_SGPR: 6
; COMPUTE_PGM_RSRC2:TRAP_HANDLER: 0
; COMPUTE_PGM_RSRC2:TGID_X_EN: 1
; COMPUTE_PGM_RSRC2:TGID_Y_EN: 0
; COMPUTE_PGM_RSRC2:TGID_Z_EN: 0
; COMPUTE_PGM_RSRC2:TIDIG_COMP_CNT: 0
	.section	.text._ZN7rocprim17ROCPRIM_400000_NS6detail17trampoline_kernelINS0_14default_configENS1_22reduce_config_selectorIN6thrust23THRUST_200600_302600_NS5tupleIblNS6_9null_typeES8_S8_S8_S8_S8_S8_S8_EEEEZNS1_11reduce_implILb1ES3_NS6_12zip_iteratorINS7_INS6_11hip_rocprim26transform_input_iterator_tIbNSD_35transform_pair_of_input_iterators_tIbNS6_6detail15normal_iteratorINS6_10device_ptrIKfEEEESL_NS6_8equal_toIfEEEENSG_9not_fun_tINSD_8identityEEEEENSD_19counting_iterator_tIlEES8_S8_S8_S8_S8_S8_S8_S8_EEEEPS9_S9_NSD_9__find_if7functorIS9_EEEE10hipError_tPvRmT1_T2_T3_mT4_P12ihipStream_tbEUlT_E1_NS1_11comp_targetILNS1_3genE4ELNS1_11target_archE910ELNS1_3gpuE8ELNS1_3repE0EEENS1_30default_config_static_selectorELNS0_4arch9wavefront6targetE0EEEvS14_,"axG",@progbits,_ZN7rocprim17ROCPRIM_400000_NS6detail17trampoline_kernelINS0_14default_configENS1_22reduce_config_selectorIN6thrust23THRUST_200600_302600_NS5tupleIblNS6_9null_typeES8_S8_S8_S8_S8_S8_S8_EEEEZNS1_11reduce_implILb1ES3_NS6_12zip_iteratorINS7_INS6_11hip_rocprim26transform_input_iterator_tIbNSD_35transform_pair_of_input_iterators_tIbNS6_6detail15normal_iteratorINS6_10device_ptrIKfEEEESL_NS6_8equal_toIfEEEENSG_9not_fun_tINSD_8identityEEEEENSD_19counting_iterator_tIlEES8_S8_S8_S8_S8_S8_S8_S8_EEEEPS9_S9_NSD_9__find_if7functorIS9_EEEE10hipError_tPvRmT1_T2_T3_mT4_P12ihipStream_tbEUlT_E1_NS1_11comp_targetILNS1_3genE4ELNS1_11target_archE910ELNS1_3gpuE8ELNS1_3repE0EEENS1_30default_config_static_selectorELNS0_4arch9wavefront6targetE0EEEvS14_,comdat
	.protected	_ZN7rocprim17ROCPRIM_400000_NS6detail17trampoline_kernelINS0_14default_configENS1_22reduce_config_selectorIN6thrust23THRUST_200600_302600_NS5tupleIblNS6_9null_typeES8_S8_S8_S8_S8_S8_S8_EEEEZNS1_11reduce_implILb1ES3_NS6_12zip_iteratorINS7_INS6_11hip_rocprim26transform_input_iterator_tIbNSD_35transform_pair_of_input_iterators_tIbNS6_6detail15normal_iteratorINS6_10device_ptrIKfEEEESL_NS6_8equal_toIfEEEENSG_9not_fun_tINSD_8identityEEEEENSD_19counting_iterator_tIlEES8_S8_S8_S8_S8_S8_S8_S8_EEEEPS9_S9_NSD_9__find_if7functorIS9_EEEE10hipError_tPvRmT1_T2_T3_mT4_P12ihipStream_tbEUlT_E1_NS1_11comp_targetILNS1_3genE4ELNS1_11target_archE910ELNS1_3gpuE8ELNS1_3repE0EEENS1_30default_config_static_selectorELNS0_4arch9wavefront6targetE0EEEvS14_ ; -- Begin function _ZN7rocprim17ROCPRIM_400000_NS6detail17trampoline_kernelINS0_14default_configENS1_22reduce_config_selectorIN6thrust23THRUST_200600_302600_NS5tupleIblNS6_9null_typeES8_S8_S8_S8_S8_S8_S8_EEEEZNS1_11reduce_implILb1ES3_NS6_12zip_iteratorINS7_INS6_11hip_rocprim26transform_input_iterator_tIbNSD_35transform_pair_of_input_iterators_tIbNS6_6detail15normal_iteratorINS6_10device_ptrIKfEEEESL_NS6_8equal_toIfEEEENSG_9not_fun_tINSD_8identityEEEEENSD_19counting_iterator_tIlEES8_S8_S8_S8_S8_S8_S8_S8_EEEEPS9_S9_NSD_9__find_if7functorIS9_EEEE10hipError_tPvRmT1_T2_T3_mT4_P12ihipStream_tbEUlT_E1_NS1_11comp_targetILNS1_3genE4ELNS1_11target_archE910ELNS1_3gpuE8ELNS1_3repE0EEENS1_30default_config_static_selectorELNS0_4arch9wavefront6targetE0EEEvS14_
	.globl	_ZN7rocprim17ROCPRIM_400000_NS6detail17trampoline_kernelINS0_14default_configENS1_22reduce_config_selectorIN6thrust23THRUST_200600_302600_NS5tupleIblNS6_9null_typeES8_S8_S8_S8_S8_S8_S8_EEEEZNS1_11reduce_implILb1ES3_NS6_12zip_iteratorINS7_INS6_11hip_rocprim26transform_input_iterator_tIbNSD_35transform_pair_of_input_iterators_tIbNS6_6detail15normal_iteratorINS6_10device_ptrIKfEEEESL_NS6_8equal_toIfEEEENSG_9not_fun_tINSD_8identityEEEEENSD_19counting_iterator_tIlEES8_S8_S8_S8_S8_S8_S8_S8_EEEEPS9_S9_NSD_9__find_if7functorIS9_EEEE10hipError_tPvRmT1_T2_T3_mT4_P12ihipStream_tbEUlT_E1_NS1_11comp_targetILNS1_3genE4ELNS1_11target_archE910ELNS1_3gpuE8ELNS1_3repE0EEENS1_30default_config_static_selectorELNS0_4arch9wavefront6targetE0EEEvS14_
	.p2align	8
	.type	_ZN7rocprim17ROCPRIM_400000_NS6detail17trampoline_kernelINS0_14default_configENS1_22reduce_config_selectorIN6thrust23THRUST_200600_302600_NS5tupleIblNS6_9null_typeES8_S8_S8_S8_S8_S8_S8_EEEEZNS1_11reduce_implILb1ES3_NS6_12zip_iteratorINS7_INS6_11hip_rocprim26transform_input_iterator_tIbNSD_35transform_pair_of_input_iterators_tIbNS6_6detail15normal_iteratorINS6_10device_ptrIKfEEEESL_NS6_8equal_toIfEEEENSG_9not_fun_tINSD_8identityEEEEENSD_19counting_iterator_tIlEES8_S8_S8_S8_S8_S8_S8_S8_EEEEPS9_S9_NSD_9__find_if7functorIS9_EEEE10hipError_tPvRmT1_T2_T3_mT4_P12ihipStream_tbEUlT_E1_NS1_11comp_targetILNS1_3genE4ELNS1_11target_archE910ELNS1_3gpuE8ELNS1_3repE0EEENS1_30default_config_static_selectorELNS0_4arch9wavefront6targetE0EEEvS14_,@function
_ZN7rocprim17ROCPRIM_400000_NS6detail17trampoline_kernelINS0_14default_configENS1_22reduce_config_selectorIN6thrust23THRUST_200600_302600_NS5tupleIblNS6_9null_typeES8_S8_S8_S8_S8_S8_S8_EEEEZNS1_11reduce_implILb1ES3_NS6_12zip_iteratorINS7_INS6_11hip_rocprim26transform_input_iterator_tIbNSD_35transform_pair_of_input_iterators_tIbNS6_6detail15normal_iteratorINS6_10device_ptrIKfEEEESL_NS6_8equal_toIfEEEENSG_9not_fun_tINSD_8identityEEEEENSD_19counting_iterator_tIlEES8_S8_S8_S8_S8_S8_S8_S8_EEEEPS9_S9_NSD_9__find_if7functorIS9_EEEE10hipError_tPvRmT1_T2_T3_mT4_P12ihipStream_tbEUlT_E1_NS1_11comp_targetILNS1_3genE4ELNS1_11target_archE910ELNS1_3gpuE8ELNS1_3repE0EEENS1_30default_config_static_selectorELNS0_4arch9wavefront6targetE0EEEvS14_: ; @_ZN7rocprim17ROCPRIM_400000_NS6detail17trampoline_kernelINS0_14default_configENS1_22reduce_config_selectorIN6thrust23THRUST_200600_302600_NS5tupleIblNS6_9null_typeES8_S8_S8_S8_S8_S8_S8_EEEEZNS1_11reduce_implILb1ES3_NS6_12zip_iteratorINS7_INS6_11hip_rocprim26transform_input_iterator_tIbNSD_35transform_pair_of_input_iterators_tIbNS6_6detail15normal_iteratorINS6_10device_ptrIKfEEEESL_NS6_8equal_toIfEEEENSG_9not_fun_tINSD_8identityEEEEENSD_19counting_iterator_tIlEES8_S8_S8_S8_S8_S8_S8_S8_EEEEPS9_S9_NSD_9__find_if7functorIS9_EEEE10hipError_tPvRmT1_T2_T3_mT4_P12ihipStream_tbEUlT_E1_NS1_11comp_targetILNS1_3genE4ELNS1_11target_archE910ELNS1_3gpuE8ELNS1_3repE0EEENS1_30default_config_static_selectorELNS0_4arch9wavefront6targetE0EEEvS14_
; %bb.0:
	.section	.rodata,"a",@progbits
	.p2align	6, 0x0
	.amdhsa_kernel _ZN7rocprim17ROCPRIM_400000_NS6detail17trampoline_kernelINS0_14default_configENS1_22reduce_config_selectorIN6thrust23THRUST_200600_302600_NS5tupleIblNS6_9null_typeES8_S8_S8_S8_S8_S8_S8_EEEEZNS1_11reduce_implILb1ES3_NS6_12zip_iteratorINS7_INS6_11hip_rocprim26transform_input_iterator_tIbNSD_35transform_pair_of_input_iterators_tIbNS6_6detail15normal_iteratorINS6_10device_ptrIKfEEEESL_NS6_8equal_toIfEEEENSG_9not_fun_tINSD_8identityEEEEENSD_19counting_iterator_tIlEES8_S8_S8_S8_S8_S8_S8_S8_EEEEPS9_S9_NSD_9__find_if7functorIS9_EEEE10hipError_tPvRmT1_T2_T3_mT4_P12ihipStream_tbEUlT_E1_NS1_11comp_targetILNS1_3genE4ELNS1_11target_archE910ELNS1_3gpuE8ELNS1_3repE0EEENS1_30default_config_static_selectorELNS0_4arch9wavefront6targetE0EEEvS14_
		.amdhsa_group_segment_fixed_size 0
		.amdhsa_private_segment_fixed_size 0
		.amdhsa_kernarg_size 88
		.amdhsa_user_sgpr_count 6
		.amdhsa_user_sgpr_private_segment_buffer 1
		.amdhsa_user_sgpr_dispatch_ptr 0
		.amdhsa_user_sgpr_queue_ptr 0
		.amdhsa_user_sgpr_kernarg_segment_ptr 1
		.amdhsa_user_sgpr_dispatch_id 0
		.amdhsa_user_sgpr_flat_scratch_init 0
		.amdhsa_user_sgpr_private_segment_size 0
		.amdhsa_wavefront_size32 1
		.amdhsa_uses_dynamic_stack 0
		.amdhsa_system_sgpr_private_segment_wavefront_offset 0
		.amdhsa_system_sgpr_workgroup_id_x 1
		.amdhsa_system_sgpr_workgroup_id_y 0
		.amdhsa_system_sgpr_workgroup_id_z 0
		.amdhsa_system_sgpr_workgroup_info 0
		.amdhsa_system_vgpr_workitem_id 0
		.amdhsa_next_free_vgpr 1
		.amdhsa_next_free_sgpr 1
		.amdhsa_reserve_vcc 0
		.amdhsa_reserve_flat_scratch 0
		.amdhsa_float_round_mode_32 0
		.amdhsa_float_round_mode_16_64 0
		.amdhsa_float_denorm_mode_32 3
		.amdhsa_float_denorm_mode_16_64 3
		.amdhsa_dx10_clamp 1
		.amdhsa_ieee_mode 1
		.amdhsa_fp16_overflow 0
		.amdhsa_workgroup_processor_mode 1
		.amdhsa_memory_ordered 1
		.amdhsa_forward_progress 1
		.amdhsa_shared_vgpr_count 0
		.amdhsa_exception_fp_ieee_invalid_op 0
		.amdhsa_exception_fp_denorm_src 0
		.amdhsa_exception_fp_ieee_div_zero 0
		.amdhsa_exception_fp_ieee_overflow 0
		.amdhsa_exception_fp_ieee_underflow 0
		.amdhsa_exception_fp_ieee_inexact 0
		.amdhsa_exception_int_div_zero 0
	.end_amdhsa_kernel
	.section	.text._ZN7rocprim17ROCPRIM_400000_NS6detail17trampoline_kernelINS0_14default_configENS1_22reduce_config_selectorIN6thrust23THRUST_200600_302600_NS5tupleIblNS6_9null_typeES8_S8_S8_S8_S8_S8_S8_EEEEZNS1_11reduce_implILb1ES3_NS6_12zip_iteratorINS7_INS6_11hip_rocprim26transform_input_iterator_tIbNSD_35transform_pair_of_input_iterators_tIbNS6_6detail15normal_iteratorINS6_10device_ptrIKfEEEESL_NS6_8equal_toIfEEEENSG_9not_fun_tINSD_8identityEEEEENSD_19counting_iterator_tIlEES8_S8_S8_S8_S8_S8_S8_S8_EEEEPS9_S9_NSD_9__find_if7functorIS9_EEEE10hipError_tPvRmT1_T2_T3_mT4_P12ihipStream_tbEUlT_E1_NS1_11comp_targetILNS1_3genE4ELNS1_11target_archE910ELNS1_3gpuE8ELNS1_3repE0EEENS1_30default_config_static_selectorELNS0_4arch9wavefront6targetE0EEEvS14_,"axG",@progbits,_ZN7rocprim17ROCPRIM_400000_NS6detail17trampoline_kernelINS0_14default_configENS1_22reduce_config_selectorIN6thrust23THRUST_200600_302600_NS5tupleIblNS6_9null_typeES8_S8_S8_S8_S8_S8_S8_EEEEZNS1_11reduce_implILb1ES3_NS6_12zip_iteratorINS7_INS6_11hip_rocprim26transform_input_iterator_tIbNSD_35transform_pair_of_input_iterators_tIbNS6_6detail15normal_iteratorINS6_10device_ptrIKfEEEESL_NS6_8equal_toIfEEEENSG_9not_fun_tINSD_8identityEEEEENSD_19counting_iterator_tIlEES8_S8_S8_S8_S8_S8_S8_S8_EEEEPS9_S9_NSD_9__find_if7functorIS9_EEEE10hipError_tPvRmT1_T2_T3_mT4_P12ihipStream_tbEUlT_E1_NS1_11comp_targetILNS1_3genE4ELNS1_11target_archE910ELNS1_3gpuE8ELNS1_3repE0EEENS1_30default_config_static_selectorELNS0_4arch9wavefront6targetE0EEEvS14_,comdat
.Lfunc_end88:
	.size	_ZN7rocprim17ROCPRIM_400000_NS6detail17trampoline_kernelINS0_14default_configENS1_22reduce_config_selectorIN6thrust23THRUST_200600_302600_NS5tupleIblNS6_9null_typeES8_S8_S8_S8_S8_S8_S8_EEEEZNS1_11reduce_implILb1ES3_NS6_12zip_iteratorINS7_INS6_11hip_rocprim26transform_input_iterator_tIbNSD_35transform_pair_of_input_iterators_tIbNS6_6detail15normal_iteratorINS6_10device_ptrIKfEEEESL_NS6_8equal_toIfEEEENSG_9not_fun_tINSD_8identityEEEEENSD_19counting_iterator_tIlEES8_S8_S8_S8_S8_S8_S8_S8_EEEEPS9_S9_NSD_9__find_if7functorIS9_EEEE10hipError_tPvRmT1_T2_T3_mT4_P12ihipStream_tbEUlT_E1_NS1_11comp_targetILNS1_3genE4ELNS1_11target_archE910ELNS1_3gpuE8ELNS1_3repE0EEENS1_30default_config_static_selectorELNS0_4arch9wavefront6targetE0EEEvS14_, .Lfunc_end88-_ZN7rocprim17ROCPRIM_400000_NS6detail17trampoline_kernelINS0_14default_configENS1_22reduce_config_selectorIN6thrust23THRUST_200600_302600_NS5tupleIblNS6_9null_typeES8_S8_S8_S8_S8_S8_S8_EEEEZNS1_11reduce_implILb1ES3_NS6_12zip_iteratorINS7_INS6_11hip_rocprim26transform_input_iterator_tIbNSD_35transform_pair_of_input_iterators_tIbNS6_6detail15normal_iteratorINS6_10device_ptrIKfEEEESL_NS6_8equal_toIfEEEENSG_9not_fun_tINSD_8identityEEEEENSD_19counting_iterator_tIlEES8_S8_S8_S8_S8_S8_S8_S8_EEEEPS9_S9_NSD_9__find_if7functorIS9_EEEE10hipError_tPvRmT1_T2_T3_mT4_P12ihipStream_tbEUlT_E1_NS1_11comp_targetILNS1_3genE4ELNS1_11target_archE910ELNS1_3gpuE8ELNS1_3repE0EEENS1_30default_config_static_selectorELNS0_4arch9wavefront6targetE0EEEvS14_
                                        ; -- End function
	.set _ZN7rocprim17ROCPRIM_400000_NS6detail17trampoline_kernelINS0_14default_configENS1_22reduce_config_selectorIN6thrust23THRUST_200600_302600_NS5tupleIblNS6_9null_typeES8_S8_S8_S8_S8_S8_S8_EEEEZNS1_11reduce_implILb1ES3_NS6_12zip_iteratorINS7_INS6_11hip_rocprim26transform_input_iterator_tIbNSD_35transform_pair_of_input_iterators_tIbNS6_6detail15normal_iteratorINS6_10device_ptrIKfEEEESL_NS6_8equal_toIfEEEENSG_9not_fun_tINSD_8identityEEEEENSD_19counting_iterator_tIlEES8_S8_S8_S8_S8_S8_S8_S8_EEEEPS9_S9_NSD_9__find_if7functorIS9_EEEE10hipError_tPvRmT1_T2_T3_mT4_P12ihipStream_tbEUlT_E1_NS1_11comp_targetILNS1_3genE4ELNS1_11target_archE910ELNS1_3gpuE8ELNS1_3repE0EEENS1_30default_config_static_selectorELNS0_4arch9wavefront6targetE0EEEvS14_.num_vgpr, 0
	.set _ZN7rocprim17ROCPRIM_400000_NS6detail17trampoline_kernelINS0_14default_configENS1_22reduce_config_selectorIN6thrust23THRUST_200600_302600_NS5tupleIblNS6_9null_typeES8_S8_S8_S8_S8_S8_S8_EEEEZNS1_11reduce_implILb1ES3_NS6_12zip_iteratorINS7_INS6_11hip_rocprim26transform_input_iterator_tIbNSD_35transform_pair_of_input_iterators_tIbNS6_6detail15normal_iteratorINS6_10device_ptrIKfEEEESL_NS6_8equal_toIfEEEENSG_9not_fun_tINSD_8identityEEEEENSD_19counting_iterator_tIlEES8_S8_S8_S8_S8_S8_S8_S8_EEEEPS9_S9_NSD_9__find_if7functorIS9_EEEE10hipError_tPvRmT1_T2_T3_mT4_P12ihipStream_tbEUlT_E1_NS1_11comp_targetILNS1_3genE4ELNS1_11target_archE910ELNS1_3gpuE8ELNS1_3repE0EEENS1_30default_config_static_selectorELNS0_4arch9wavefront6targetE0EEEvS14_.num_agpr, 0
	.set _ZN7rocprim17ROCPRIM_400000_NS6detail17trampoline_kernelINS0_14default_configENS1_22reduce_config_selectorIN6thrust23THRUST_200600_302600_NS5tupleIblNS6_9null_typeES8_S8_S8_S8_S8_S8_S8_EEEEZNS1_11reduce_implILb1ES3_NS6_12zip_iteratorINS7_INS6_11hip_rocprim26transform_input_iterator_tIbNSD_35transform_pair_of_input_iterators_tIbNS6_6detail15normal_iteratorINS6_10device_ptrIKfEEEESL_NS6_8equal_toIfEEEENSG_9not_fun_tINSD_8identityEEEEENSD_19counting_iterator_tIlEES8_S8_S8_S8_S8_S8_S8_S8_EEEEPS9_S9_NSD_9__find_if7functorIS9_EEEE10hipError_tPvRmT1_T2_T3_mT4_P12ihipStream_tbEUlT_E1_NS1_11comp_targetILNS1_3genE4ELNS1_11target_archE910ELNS1_3gpuE8ELNS1_3repE0EEENS1_30default_config_static_selectorELNS0_4arch9wavefront6targetE0EEEvS14_.numbered_sgpr, 0
	.set _ZN7rocprim17ROCPRIM_400000_NS6detail17trampoline_kernelINS0_14default_configENS1_22reduce_config_selectorIN6thrust23THRUST_200600_302600_NS5tupleIblNS6_9null_typeES8_S8_S8_S8_S8_S8_S8_EEEEZNS1_11reduce_implILb1ES3_NS6_12zip_iteratorINS7_INS6_11hip_rocprim26transform_input_iterator_tIbNSD_35transform_pair_of_input_iterators_tIbNS6_6detail15normal_iteratorINS6_10device_ptrIKfEEEESL_NS6_8equal_toIfEEEENSG_9not_fun_tINSD_8identityEEEEENSD_19counting_iterator_tIlEES8_S8_S8_S8_S8_S8_S8_S8_EEEEPS9_S9_NSD_9__find_if7functorIS9_EEEE10hipError_tPvRmT1_T2_T3_mT4_P12ihipStream_tbEUlT_E1_NS1_11comp_targetILNS1_3genE4ELNS1_11target_archE910ELNS1_3gpuE8ELNS1_3repE0EEENS1_30default_config_static_selectorELNS0_4arch9wavefront6targetE0EEEvS14_.num_named_barrier, 0
	.set _ZN7rocprim17ROCPRIM_400000_NS6detail17trampoline_kernelINS0_14default_configENS1_22reduce_config_selectorIN6thrust23THRUST_200600_302600_NS5tupleIblNS6_9null_typeES8_S8_S8_S8_S8_S8_S8_EEEEZNS1_11reduce_implILb1ES3_NS6_12zip_iteratorINS7_INS6_11hip_rocprim26transform_input_iterator_tIbNSD_35transform_pair_of_input_iterators_tIbNS6_6detail15normal_iteratorINS6_10device_ptrIKfEEEESL_NS6_8equal_toIfEEEENSG_9not_fun_tINSD_8identityEEEEENSD_19counting_iterator_tIlEES8_S8_S8_S8_S8_S8_S8_S8_EEEEPS9_S9_NSD_9__find_if7functorIS9_EEEE10hipError_tPvRmT1_T2_T3_mT4_P12ihipStream_tbEUlT_E1_NS1_11comp_targetILNS1_3genE4ELNS1_11target_archE910ELNS1_3gpuE8ELNS1_3repE0EEENS1_30default_config_static_selectorELNS0_4arch9wavefront6targetE0EEEvS14_.private_seg_size, 0
	.set _ZN7rocprim17ROCPRIM_400000_NS6detail17trampoline_kernelINS0_14default_configENS1_22reduce_config_selectorIN6thrust23THRUST_200600_302600_NS5tupleIblNS6_9null_typeES8_S8_S8_S8_S8_S8_S8_EEEEZNS1_11reduce_implILb1ES3_NS6_12zip_iteratorINS7_INS6_11hip_rocprim26transform_input_iterator_tIbNSD_35transform_pair_of_input_iterators_tIbNS6_6detail15normal_iteratorINS6_10device_ptrIKfEEEESL_NS6_8equal_toIfEEEENSG_9not_fun_tINSD_8identityEEEEENSD_19counting_iterator_tIlEES8_S8_S8_S8_S8_S8_S8_S8_EEEEPS9_S9_NSD_9__find_if7functorIS9_EEEE10hipError_tPvRmT1_T2_T3_mT4_P12ihipStream_tbEUlT_E1_NS1_11comp_targetILNS1_3genE4ELNS1_11target_archE910ELNS1_3gpuE8ELNS1_3repE0EEENS1_30default_config_static_selectorELNS0_4arch9wavefront6targetE0EEEvS14_.uses_vcc, 0
	.set _ZN7rocprim17ROCPRIM_400000_NS6detail17trampoline_kernelINS0_14default_configENS1_22reduce_config_selectorIN6thrust23THRUST_200600_302600_NS5tupleIblNS6_9null_typeES8_S8_S8_S8_S8_S8_S8_EEEEZNS1_11reduce_implILb1ES3_NS6_12zip_iteratorINS7_INS6_11hip_rocprim26transform_input_iterator_tIbNSD_35transform_pair_of_input_iterators_tIbNS6_6detail15normal_iteratorINS6_10device_ptrIKfEEEESL_NS6_8equal_toIfEEEENSG_9not_fun_tINSD_8identityEEEEENSD_19counting_iterator_tIlEES8_S8_S8_S8_S8_S8_S8_S8_EEEEPS9_S9_NSD_9__find_if7functorIS9_EEEE10hipError_tPvRmT1_T2_T3_mT4_P12ihipStream_tbEUlT_E1_NS1_11comp_targetILNS1_3genE4ELNS1_11target_archE910ELNS1_3gpuE8ELNS1_3repE0EEENS1_30default_config_static_selectorELNS0_4arch9wavefront6targetE0EEEvS14_.uses_flat_scratch, 0
	.set _ZN7rocprim17ROCPRIM_400000_NS6detail17trampoline_kernelINS0_14default_configENS1_22reduce_config_selectorIN6thrust23THRUST_200600_302600_NS5tupleIblNS6_9null_typeES8_S8_S8_S8_S8_S8_S8_EEEEZNS1_11reduce_implILb1ES3_NS6_12zip_iteratorINS7_INS6_11hip_rocprim26transform_input_iterator_tIbNSD_35transform_pair_of_input_iterators_tIbNS6_6detail15normal_iteratorINS6_10device_ptrIKfEEEESL_NS6_8equal_toIfEEEENSG_9not_fun_tINSD_8identityEEEEENSD_19counting_iterator_tIlEES8_S8_S8_S8_S8_S8_S8_S8_EEEEPS9_S9_NSD_9__find_if7functorIS9_EEEE10hipError_tPvRmT1_T2_T3_mT4_P12ihipStream_tbEUlT_E1_NS1_11comp_targetILNS1_3genE4ELNS1_11target_archE910ELNS1_3gpuE8ELNS1_3repE0EEENS1_30default_config_static_selectorELNS0_4arch9wavefront6targetE0EEEvS14_.has_dyn_sized_stack, 0
	.set _ZN7rocprim17ROCPRIM_400000_NS6detail17trampoline_kernelINS0_14default_configENS1_22reduce_config_selectorIN6thrust23THRUST_200600_302600_NS5tupleIblNS6_9null_typeES8_S8_S8_S8_S8_S8_S8_EEEEZNS1_11reduce_implILb1ES3_NS6_12zip_iteratorINS7_INS6_11hip_rocprim26transform_input_iterator_tIbNSD_35transform_pair_of_input_iterators_tIbNS6_6detail15normal_iteratorINS6_10device_ptrIKfEEEESL_NS6_8equal_toIfEEEENSG_9not_fun_tINSD_8identityEEEEENSD_19counting_iterator_tIlEES8_S8_S8_S8_S8_S8_S8_S8_EEEEPS9_S9_NSD_9__find_if7functorIS9_EEEE10hipError_tPvRmT1_T2_T3_mT4_P12ihipStream_tbEUlT_E1_NS1_11comp_targetILNS1_3genE4ELNS1_11target_archE910ELNS1_3gpuE8ELNS1_3repE0EEENS1_30default_config_static_selectorELNS0_4arch9wavefront6targetE0EEEvS14_.has_recursion, 0
	.set _ZN7rocprim17ROCPRIM_400000_NS6detail17trampoline_kernelINS0_14default_configENS1_22reduce_config_selectorIN6thrust23THRUST_200600_302600_NS5tupleIblNS6_9null_typeES8_S8_S8_S8_S8_S8_S8_EEEEZNS1_11reduce_implILb1ES3_NS6_12zip_iteratorINS7_INS6_11hip_rocprim26transform_input_iterator_tIbNSD_35transform_pair_of_input_iterators_tIbNS6_6detail15normal_iteratorINS6_10device_ptrIKfEEEESL_NS6_8equal_toIfEEEENSG_9not_fun_tINSD_8identityEEEEENSD_19counting_iterator_tIlEES8_S8_S8_S8_S8_S8_S8_S8_EEEEPS9_S9_NSD_9__find_if7functorIS9_EEEE10hipError_tPvRmT1_T2_T3_mT4_P12ihipStream_tbEUlT_E1_NS1_11comp_targetILNS1_3genE4ELNS1_11target_archE910ELNS1_3gpuE8ELNS1_3repE0EEENS1_30default_config_static_selectorELNS0_4arch9wavefront6targetE0EEEvS14_.has_indirect_call, 0
	.section	.AMDGPU.csdata,"",@progbits
; Kernel info:
; codeLenInByte = 0
; TotalNumSgprs: 0
; NumVgprs: 0
; ScratchSize: 0
; MemoryBound: 0
; FloatMode: 240
; IeeeMode: 1
; LDSByteSize: 0 bytes/workgroup (compile time only)
; SGPRBlocks: 0
; VGPRBlocks: 0
; NumSGPRsForWavesPerEU: 1
; NumVGPRsForWavesPerEU: 1
; Occupancy: 16
; WaveLimiterHint : 0
; COMPUTE_PGM_RSRC2:SCRATCH_EN: 0
; COMPUTE_PGM_RSRC2:USER_SGPR: 6
; COMPUTE_PGM_RSRC2:TRAP_HANDLER: 0
; COMPUTE_PGM_RSRC2:TGID_X_EN: 1
; COMPUTE_PGM_RSRC2:TGID_Y_EN: 0
; COMPUTE_PGM_RSRC2:TGID_Z_EN: 0
; COMPUTE_PGM_RSRC2:TIDIG_COMP_CNT: 0
	.section	.text._ZN7rocprim17ROCPRIM_400000_NS6detail17trampoline_kernelINS0_14default_configENS1_22reduce_config_selectorIN6thrust23THRUST_200600_302600_NS5tupleIblNS6_9null_typeES8_S8_S8_S8_S8_S8_S8_EEEEZNS1_11reduce_implILb1ES3_NS6_12zip_iteratorINS7_INS6_11hip_rocprim26transform_input_iterator_tIbNSD_35transform_pair_of_input_iterators_tIbNS6_6detail15normal_iteratorINS6_10device_ptrIKfEEEESL_NS6_8equal_toIfEEEENSG_9not_fun_tINSD_8identityEEEEENSD_19counting_iterator_tIlEES8_S8_S8_S8_S8_S8_S8_S8_EEEEPS9_S9_NSD_9__find_if7functorIS9_EEEE10hipError_tPvRmT1_T2_T3_mT4_P12ihipStream_tbEUlT_E1_NS1_11comp_targetILNS1_3genE3ELNS1_11target_archE908ELNS1_3gpuE7ELNS1_3repE0EEENS1_30default_config_static_selectorELNS0_4arch9wavefront6targetE0EEEvS14_,"axG",@progbits,_ZN7rocprim17ROCPRIM_400000_NS6detail17trampoline_kernelINS0_14default_configENS1_22reduce_config_selectorIN6thrust23THRUST_200600_302600_NS5tupleIblNS6_9null_typeES8_S8_S8_S8_S8_S8_S8_EEEEZNS1_11reduce_implILb1ES3_NS6_12zip_iteratorINS7_INS6_11hip_rocprim26transform_input_iterator_tIbNSD_35transform_pair_of_input_iterators_tIbNS6_6detail15normal_iteratorINS6_10device_ptrIKfEEEESL_NS6_8equal_toIfEEEENSG_9not_fun_tINSD_8identityEEEEENSD_19counting_iterator_tIlEES8_S8_S8_S8_S8_S8_S8_S8_EEEEPS9_S9_NSD_9__find_if7functorIS9_EEEE10hipError_tPvRmT1_T2_T3_mT4_P12ihipStream_tbEUlT_E1_NS1_11comp_targetILNS1_3genE3ELNS1_11target_archE908ELNS1_3gpuE7ELNS1_3repE0EEENS1_30default_config_static_selectorELNS0_4arch9wavefront6targetE0EEEvS14_,comdat
	.protected	_ZN7rocprim17ROCPRIM_400000_NS6detail17trampoline_kernelINS0_14default_configENS1_22reduce_config_selectorIN6thrust23THRUST_200600_302600_NS5tupleIblNS6_9null_typeES8_S8_S8_S8_S8_S8_S8_EEEEZNS1_11reduce_implILb1ES3_NS6_12zip_iteratorINS7_INS6_11hip_rocprim26transform_input_iterator_tIbNSD_35transform_pair_of_input_iterators_tIbNS6_6detail15normal_iteratorINS6_10device_ptrIKfEEEESL_NS6_8equal_toIfEEEENSG_9not_fun_tINSD_8identityEEEEENSD_19counting_iterator_tIlEES8_S8_S8_S8_S8_S8_S8_S8_EEEEPS9_S9_NSD_9__find_if7functorIS9_EEEE10hipError_tPvRmT1_T2_T3_mT4_P12ihipStream_tbEUlT_E1_NS1_11comp_targetILNS1_3genE3ELNS1_11target_archE908ELNS1_3gpuE7ELNS1_3repE0EEENS1_30default_config_static_selectorELNS0_4arch9wavefront6targetE0EEEvS14_ ; -- Begin function _ZN7rocprim17ROCPRIM_400000_NS6detail17trampoline_kernelINS0_14default_configENS1_22reduce_config_selectorIN6thrust23THRUST_200600_302600_NS5tupleIblNS6_9null_typeES8_S8_S8_S8_S8_S8_S8_EEEEZNS1_11reduce_implILb1ES3_NS6_12zip_iteratorINS7_INS6_11hip_rocprim26transform_input_iterator_tIbNSD_35transform_pair_of_input_iterators_tIbNS6_6detail15normal_iteratorINS6_10device_ptrIKfEEEESL_NS6_8equal_toIfEEEENSG_9not_fun_tINSD_8identityEEEEENSD_19counting_iterator_tIlEES8_S8_S8_S8_S8_S8_S8_S8_EEEEPS9_S9_NSD_9__find_if7functorIS9_EEEE10hipError_tPvRmT1_T2_T3_mT4_P12ihipStream_tbEUlT_E1_NS1_11comp_targetILNS1_3genE3ELNS1_11target_archE908ELNS1_3gpuE7ELNS1_3repE0EEENS1_30default_config_static_selectorELNS0_4arch9wavefront6targetE0EEEvS14_
	.globl	_ZN7rocprim17ROCPRIM_400000_NS6detail17trampoline_kernelINS0_14default_configENS1_22reduce_config_selectorIN6thrust23THRUST_200600_302600_NS5tupleIblNS6_9null_typeES8_S8_S8_S8_S8_S8_S8_EEEEZNS1_11reduce_implILb1ES3_NS6_12zip_iteratorINS7_INS6_11hip_rocprim26transform_input_iterator_tIbNSD_35transform_pair_of_input_iterators_tIbNS6_6detail15normal_iteratorINS6_10device_ptrIKfEEEESL_NS6_8equal_toIfEEEENSG_9not_fun_tINSD_8identityEEEEENSD_19counting_iterator_tIlEES8_S8_S8_S8_S8_S8_S8_S8_EEEEPS9_S9_NSD_9__find_if7functorIS9_EEEE10hipError_tPvRmT1_T2_T3_mT4_P12ihipStream_tbEUlT_E1_NS1_11comp_targetILNS1_3genE3ELNS1_11target_archE908ELNS1_3gpuE7ELNS1_3repE0EEENS1_30default_config_static_selectorELNS0_4arch9wavefront6targetE0EEEvS14_
	.p2align	8
	.type	_ZN7rocprim17ROCPRIM_400000_NS6detail17trampoline_kernelINS0_14default_configENS1_22reduce_config_selectorIN6thrust23THRUST_200600_302600_NS5tupleIblNS6_9null_typeES8_S8_S8_S8_S8_S8_S8_EEEEZNS1_11reduce_implILb1ES3_NS6_12zip_iteratorINS7_INS6_11hip_rocprim26transform_input_iterator_tIbNSD_35transform_pair_of_input_iterators_tIbNS6_6detail15normal_iteratorINS6_10device_ptrIKfEEEESL_NS6_8equal_toIfEEEENSG_9not_fun_tINSD_8identityEEEEENSD_19counting_iterator_tIlEES8_S8_S8_S8_S8_S8_S8_S8_EEEEPS9_S9_NSD_9__find_if7functorIS9_EEEE10hipError_tPvRmT1_T2_T3_mT4_P12ihipStream_tbEUlT_E1_NS1_11comp_targetILNS1_3genE3ELNS1_11target_archE908ELNS1_3gpuE7ELNS1_3repE0EEENS1_30default_config_static_selectorELNS0_4arch9wavefront6targetE0EEEvS14_,@function
_ZN7rocprim17ROCPRIM_400000_NS6detail17trampoline_kernelINS0_14default_configENS1_22reduce_config_selectorIN6thrust23THRUST_200600_302600_NS5tupleIblNS6_9null_typeES8_S8_S8_S8_S8_S8_S8_EEEEZNS1_11reduce_implILb1ES3_NS6_12zip_iteratorINS7_INS6_11hip_rocprim26transform_input_iterator_tIbNSD_35transform_pair_of_input_iterators_tIbNS6_6detail15normal_iteratorINS6_10device_ptrIKfEEEESL_NS6_8equal_toIfEEEENSG_9not_fun_tINSD_8identityEEEEENSD_19counting_iterator_tIlEES8_S8_S8_S8_S8_S8_S8_S8_EEEEPS9_S9_NSD_9__find_if7functorIS9_EEEE10hipError_tPvRmT1_T2_T3_mT4_P12ihipStream_tbEUlT_E1_NS1_11comp_targetILNS1_3genE3ELNS1_11target_archE908ELNS1_3gpuE7ELNS1_3repE0EEENS1_30default_config_static_selectorELNS0_4arch9wavefront6targetE0EEEvS14_: ; @_ZN7rocprim17ROCPRIM_400000_NS6detail17trampoline_kernelINS0_14default_configENS1_22reduce_config_selectorIN6thrust23THRUST_200600_302600_NS5tupleIblNS6_9null_typeES8_S8_S8_S8_S8_S8_S8_EEEEZNS1_11reduce_implILb1ES3_NS6_12zip_iteratorINS7_INS6_11hip_rocprim26transform_input_iterator_tIbNSD_35transform_pair_of_input_iterators_tIbNS6_6detail15normal_iteratorINS6_10device_ptrIKfEEEESL_NS6_8equal_toIfEEEENSG_9not_fun_tINSD_8identityEEEEENSD_19counting_iterator_tIlEES8_S8_S8_S8_S8_S8_S8_S8_EEEEPS9_S9_NSD_9__find_if7functorIS9_EEEE10hipError_tPvRmT1_T2_T3_mT4_P12ihipStream_tbEUlT_E1_NS1_11comp_targetILNS1_3genE3ELNS1_11target_archE908ELNS1_3gpuE7ELNS1_3repE0EEENS1_30default_config_static_selectorELNS0_4arch9wavefront6targetE0EEEvS14_
; %bb.0:
	.section	.rodata,"a",@progbits
	.p2align	6, 0x0
	.amdhsa_kernel _ZN7rocprim17ROCPRIM_400000_NS6detail17trampoline_kernelINS0_14default_configENS1_22reduce_config_selectorIN6thrust23THRUST_200600_302600_NS5tupleIblNS6_9null_typeES8_S8_S8_S8_S8_S8_S8_EEEEZNS1_11reduce_implILb1ES3_NS6_12zip_iteratorINS7_INS6_11hip_rocprim26transform_input_iterator_tIbNSD_35transform_pair_of_input_iterators_tIbNS6_6detail15normal_iteratorINS6_10device_ptrIKfEEEESL_NS6_8equal_toIfEEEENSG_9not_fun_tINSD_8identityEEEEENSD_19counting_iterator_tIlEES8_S8_S8_S8_S8_S8_S8_S8_EEEEPS9_S9_NSD_9__find_if7functorIS9_EEEE10hipError_tPvRmT1_T2_T3_mT4_P12ihipStream_tbEUlT_E1_NS1_11comp_targetILNS1_3genE3ELNS1_11target_archE908ELNS1_3gpuE7ELNS1_3repE0EEENS1_30default_config_static_selectorELNS0_4arch9wavefront6targetE0EEEvS14_
		.amdhsa_group_segment_fixed_size 0
		.amdhsa_private_segment_fixed_size 0
		.amdhsa_kernarg_size 88
		.amdhsa_user_sgpr_count 6
		.amdhsa_user_sgpr_private_segment_buffer 1
		.amdhsa_user_sgpr_dispatch_ptr 0
		.amdhsa_user_sgpr_queue_ptr 0
		.amdhsa_user_sgpr_kernarg_segment_ptr 1
		.amdhsa_user_sgpr_dispatch_id 0
		.amdhsa_user_sgpr_flat_scratch_init 0
		.amdhsa_user_sgpr_private_segment_size 0
		.amdhsa_wavefront_size32 1
		.amdhsa_uses_dynamic_stack 0
		.amdhsa_system_sgpr_private_segment_wavefront_offset 0
		.amdhsa_system_sgpr_workgroup_id_x 1
		.amdhsa_system_sgpr_workgroup_id_y 0
		.amdhsa_system_sgpr_workgroup_id_z 0
		.amdhsa_system_sgpr_workgroup_info 0
		.amdhsa_system_vgpr_workitem_id 0
		.amdhsa_next_free_vgpr 1
		.amdhsa_next_free_sgpr 1
		.amdhsa_reserve_vcc 0
		.amdhsa_reserve_flat_scratch 0
		.amdhsa_float_round_mode_32 0
		.amdhsa_float_round_mode_16_64 0
		.amdhsa_float_denorm_mode_32 3
		.amdhsa_float_denorm_mode_16_64 3
		.amdhsa_dx10_clamp 1
		.amdhsa_ieee_mode 1
		.amdhsa_fp16_overflow 0
		.amdhsa_workgroup_processor_mode 1
		.amdhsa_memory_ordered 1
		.amdhsa_forward_progress 1
		.amdhsa_shared_vgpr_count 0
		.amdhsa_exception_fp_ieee_invalid_op 0
		.amdhsa_exception_fp_denorm_src 0
		.amdhsa_exception_fp_ieee_div_zero 0
		.amdhsa_exception_fp_ieee_overflow 0
		.amdhsa_exception_fp_ieee_underflow 0
		.amdhsa_exception_fp_ieee_inexact 0
		.amdhsa_exception_int_div_zero 0
	.end_amdhsa_kernel
	.section	.text._ZN7rocprim17ROCPRIM_400000_NS6detail17trampoline_kernelINS0_14default_configENS1_22reduce_config_selectorIN6thrust23THRUST_200600_302600_NS5tupleIblNS6_9null_typeES8_S8_S8_S8_S8_S8_S8_EEEEZNS1_11reduce_implILb1ES3_NS6_12zip_iteratorINS7_INS6_11hip_rocprim26transform_input_iterator_tIbNSD_35transform_pair_of_input_iterators_tIbNS6_6detail15normal_iteratorINS6_10device_ptrIKfEEEESL_NS6_8equal_toIfEEEENSG_9not_fun_tINSD_8identityEEEEENSD_19counting_iterator_tIlEES8_S8_S8_S8_S8_S8_S8_S8_EEEEPS9_S9_NSD_9__find_if7functorIS9_EEEE10hipError_tPvRmT1_T2_T3_mT4_P12ihipStream_tbEUlT_E1_NS1_11comp_targetILNS1_3genE3ELNS1_11target_archE908ELNS1_3gpuE7ELNS1_3repE0EEENS1_30default_config_static_selectorELNS0_4arch9wavefront6targetE0EEEvS14_,"axG",@progbits,_ZN7rocprim17ROCPRIM_400000_NS6detail17trampoline_kernelINS0_14default_configENS1_22reduce_config_selectorIN6thrust23THRUST_200600_302600_NS5tupleIblNS6_9null_typeES8_S8_S8_S8_S8_S8_S8_EEEEZNS1_11reduce_implILb1ES3_NS6_12zip_iteratorINS7_INS6_11hip_rocprim26transform_input_iterator_tIbNSD_35transform_pair_of_input_iterators_tIbNS6_6detail15normal_iteratorINS6_10device_ptrIKfEEEESL_NS6_8equal_toIfEEEENSG_9not_fun_tINSD_8identityEEEEENSD_19counting_iterator_tIlEES8_S8_S8_S8_S8_S8_S8_S8_EEEEPS9_S9_NSD_9__find_if7functorIS9_EEEE10hipError_tPvRmT1_T2_T3_mT4_P12ihipStream_tbEUlT_E1_NS1_11comp_targetILNS1_3genE3ELNS1_11target_archE908ELNS1_3gpuE7ELNS1_3repE0EEENS1_30default_config_static_selectorELNS0_4arch9wavefront6targetE0EEEvS14_,comdat
.Lfunc_end89:
	.size	_ZN7rocprim17ROCPRIM_400000_NS6detail17trampoline_kernelINS0_14default_configENS1_22reduce_config_selectorIN6thrust23THRUST_200600_302600_NS5tupleIblNS6_9null_typeES8_S8_S8_S8_S8_S8_S8_EEEEZNS1_11reduce_implILb1ES3_NS6_12zip_iteratorINS7_INS6_11hip_rocprim26transform_input_iterator_tIbNSD_35transform_pair_of_input_iterators_tIbNS6_6detail15normal_iteratorINS6_10device_ptrIKfEEEESL_NS6_8equal_toIfEEEENSG_9not_fun_tINSD_8identityEEEEENSD_19counting_iterator_tIlEES8_S8_S8_S8_S8_S8_S8_S8_EEEEPS9_S9_NSD_9__find_if7functorIS9_EEEE10hipError_tPvRmT1_T2_T3_mT4_P12ihipStream_tbEUlT_E1_NS1_11comp_targetILNS1_3genE3ELNS1_11target_archE908ELNS1_3gpuE7ELNS1_3repE0EEENS1_30default_config_static_selectorELNS0_4arch9wavefront6targetE0EEEvS14_, .Lfunc_end89-_ZN7rocprim17ROCPRIM_400000_NS6detail17trampoline_kernelINS0_14default_configENS1_22reduce_config_selectorIN6thrust23THRUST_200600_302600_NS5tupleIblNS6_9null_typeES8_S8_S8_S8_S8_S8_S8_EEEEZNS1_11reduce_implILb1ES3_NS6_12zip_iteratorINS7_INS6_11hip_rocprim26transform_input_iterator_tIbNSD_35transform_pair_of_input_iterators_tIbNS6_6detail15normal_iteratorINS6_10device_ptrIKfEEEESL_NS6_8equal_toIfEEEENSG_9not_fun_tINSD_8identityEEEEENSD_19counting_iterator_tIlEES8_S8_S8_S8_S8_S8_S8_S8_EEEEPS9_S9_NSD_9__find_if7functorIS9_EEEE10hipError_tPvRmT1_T2_T3_mT4_P12ihipStream_tbEUlT_E1_NS1_11comp_targetILNS1_3genE3ELNS1_11target_archE908ELNS1_3gpuE7ELNS1_3repE0EEENS1_30default_config_static_selectorELNS0_4arch9wavefront6targetE0EEEvS14_
                                        ; -- End function
	.set _ZN7rocprim17ROCPRIM_400000_NS6detail17trampoline_kernelINS0_14default_configENS1_22reduce_config_selectorIN6thrust23THRUST_200600_302600_NS5tupleIblNS6_9null_typeES8_S8_S8_S8_S8_S8_S8_EEEEZNS1_11reduce_implILb1ES3_NS6_12zip_iteratorINS7_INS6_11hip_rocprim26transform_input_iterator_tIbNSD_35transform_pair_of_input_iterators_tIbNS6_6detail15normal_iteratorINS6_10device_ptrIKfEEEESL_NS6_8equal_toIfEEEENSG_9not_fun_tINSD_8identityEEEEENSD_19counting_iterator_tIlEES8_S8_S8_S8_S8_S8_S8_S8_EEEEPS9_S9_NSD_9__find_if7functorIS9_EEEE10hipError_tPvRmT1_T2_T3_mT4_P12ihipStream_tbEUlT_E1_NS1_11comp_targetILNS1_3genE3ELNS1_11target_archE908ELNS1_3gpuE7ELNS1_3repE0EEENS1_30default_config_static_selectorELNS0_4arch9wavefront6targetE0EEEvS14_.num_vgpr, 0
	.set _ZN7rocprim17ROCPRIM_400000_NS6detail17trampoline_kernelINS0_14default_configENS1_22reduce_config_selectorIN6thrust23THRUST_200600_302600_NS5tupleIblNS6_9null_typeES8_S8_S8_S8_S8_S8_S8_EEEEZNS1_11reduce_implILb1ES3_NS6_12zip_iteratorINS7_INS6_11hip_rocprim26transform_input_iterator_tIbNSD_35transform_pair_of_input_iterators_tIbNS6_6detail15normal_iteratorINS6_10device_ptrIKfEEEESL_NS6_8equal_toIfEEEENSG_9not_fun_tINSD_8identityEEEEENSD_19counting_iterator_tIlEES8_S8_S8_S8_S8_S8_S8_S8_EEEEPS9_S9_NSD_9__find_if7functorIS9_EEEE10hipError_tPvRmT1_T2_T3_mT4_P12ihipStream_tbEUlT_E1_NS1_11comp_targetILNS1_3genE3ELNS1_11target_archE908ELNS1_3gpuE7ELNS1_3repE0EEENS1_30default_config_static_selectorELNS0_4arch9wavefront6targetE0EEEvS14_.num_agpr, 0
	.set _ZN7rocprim17ROCPRIM_400000_NS6detail17trampoline_kernelINS0_14default_configENS1_22reduce_config_selectorIN6thrust23THRUST_200600_302600_NS5tupleIblNS6_9null_typeES8_S8_S8_S8_S8_S8_S8_EEEEZNS1_11reduce_implILb1ES3_NS6_12zip_iteratorINS7_INS6_11hip_rocprim26transform_input_iterator_tIbNSD_35transform_pair_of_input_iterators_tIbNS6_6detail15normal_iteratorINS6_10device_ptrIKfEEEESL_NS6_8equal_toIfEEEENSG_9not_fun_tINSD_8identityEEEEENSD_19counting_iterator_tIlEES8_S8_S8_S8_S8_S8_S8_S8_EEEEPS9_S9_NSD_9__find_if7functorIS9_EEEE10hipError_tPvRmT1_T2_T3_mT4_P12ihipStream_tbEUlT_E1_NS1_11comp_targetILNS1_3genE3ELNS1_11target_archE908ELNS1_3gpuE7ELNS1_3repE0EEENS1_30default_config_static_selectorELNS0_4arch9wavefront6targetE0EEEvS14_.numbered_sgpr, 0
	.set _ZN7rocprim17ROCPRIM_400000_NS6detail17trampoline_kernelINS0_14default_configENS1_22reduce_config_selectorIN6thrust23THRUST_200600_302600_NS5tupleIblNS6_9null_typeES8_S8_S8_S8_S8_S8_S8_EEEEZNS1_11reduce_implILb1ES3_NS6_12zip_iteratorINS7_INS6_11hip_rocprim26transform_input_iterator_tIbNSD_35transform_pair_of_input_iterators_tIbNS6_6detail15normal_iteratorINS6_10device_ptrIKfEEEESL_NS6_8equal_toIfEEEENSG_9not_fun_tINSD_8identityEEEEENSD_19counting_iterator_tIlEES8_S8_S8_S8_S8_S8_S8_S8_EEEEPS9_S9_NSD_9__find_if7functorIS9_EEEE10hipError_tPvRmT1_T2_T3_mT4_P12ihipStream_tbEUlT_E1_NS1_11comp_targetILNS1_3genE3ELNS1_11target_archE908ELNS1_3gpuE7ELNS1_3repE0EEENS1_30default_config_static_selectorELNS0_4arch9wavefront6targetE0EEEvS14_.num_named_barrier, 0
	.set _ZN7rocprim17ROCPRIM_400000_NS6detail17trampoline_kernelINS0_14default_configENS1_22reduce_config_selectorIN6thrust23THRUST_200600_302600_NS5tupleIblNS6_9null_typeES8_S8_S8_S8_S8_S8_S8_EEEEZNS1_11reduce_implILb1ES3_NS6_12zip_iteratorINS7_INS6_11hip_rocprim26transform_input_iterator_tIbNSD_35transform_pair_of_input_iterators_tIbNS6_6detail15normal_iteratorINS6_10device_ptrIKfEEEESL_NS6_8equal_toIfEEEENSG_9not_fun_tINSD_8identityEEEEENSD_19counting_iterator_tIlEES8_S8_S8_S8_S8_S8_S8_S8_EEEEPS9_S9_NSD_9__find_if7functorIS9_EEEE10hipError_tPvRmT1_T2_T3_mT4_P12ihipStream_tbEUlT_E1_NS1_11comp_targetILNS1_3genE3ELNS1_11target_archE908ELNS1_3gpuE7ELNS1_3repE0EEENS1_30default_config_static_selectorELNS0_4arch9wavefront6targetE0EEEvS14_.private_seg_size, 0
	.set _ZN7rocprim17ROCPRIM_400000_NS6detail17trampoline_kernelINS0_14default_configENS1_22reduce_config_selectorIN6thrust23THRUST_200600_302600_NS5tupleIblNS6_9null_typeES8_S8_S8_S8_S8_S8_S8_EEEEZNS1_11reduce_implILb1ES3_NS6_12zip_iteratorINS7_INS6_11hip_rocprim26transform_input_iterator_tIbNSD_35transform_pair_of_input_iterators_tIbNS6_6detail15normal_iteratorINS6_10device_ptrIKfEEEESL_NS6_8equal_toIfEEEENSG_9not_fun_tINSD_8identityEEEEENSD_19counting_iterator_tIlEES8_S8_S8_S8_S8_S8_S8_S8_EEEEPS9_S9_NSD_9__find_if7functorIS9_EEEE10hipError_tPvRmT1_T2_T3_mT4_P12ihipStream_tbEUlT_E1_NS1_11comp_targetILNS1_3genE3ELNS1_11target_archE908ELNS1_3gpuE7ELNS1_3repE0EEENS1_30default_config_static_selectorELNS0_4arch9wavefront6targetE0EEEvS14_.uses_vcc, 0
	.set _ZN7rocprim17ROCPRIM_400000_NS6detail17trampoline_kernelINS0_14default_configENS1_22reduce_config_selectorIN6thrust23THRUST_200600_302600_NS5tupleIblNS6_9null_typeES8_S8_S8_S8_S8_S8_S8_EEEEZNS1_11reduce_implILb1ES3_NS6_12zip_iteratorINS7_INS6_11hip_rocprim26transform_input_iterator_tIbNSD_35transform_pair_of_input_iterators_tIbNS6_6detail15normal_iteratorINS6_10device_ptrIKfEEEESL_NS6_8equal_toIfEEEENSG_9not_fun_tINSD_8identityEEEEENSD_19counting_iterator_tIlEES8_S8_S8_S8_S8_S8_S8_S8_EEEEPS9_S9_NSD_9__find_if7functorIS9_EEEE10hipError_tPvRmT1_T2_T3_mT4_P12ihipStream_tbEUlT_E1_NS1_11comp_targetILNS1_3genE3ELNS1_11target_archE908ELNS1_3gpuE7ELNS1_3repE0EEENS1_30default_config_static_selectorELNS0_4arch9wavefront6targetE0EEEvS14_.uses_flat_scratch, 0
	.set _ZN7rocprim17ROCPRIM_400000_NS6detail17trampoline_kernelINS0_14default_configENS1_22reduce_config_selectorIN6thrust23THRUST_200600_302600_NS5tupleIblNS6_9null_typeES8_S8_S8_S8_S8_S8_S8_EEEEZNS1_11reduce_implILb1ES3_NS6_12zip_iteratorINS7_INS6_11hip_rocprim26transform_input_iterator_tIbNSD_35transform_pair_of_input_iterators_tIbNS6_6detail15normal_iteratorINS6_10device_ptrIKfEEEESL_NS6_8equal_toIfEEEENSG_9not_fun_tINSD_8identityEEEEENSD_19counting_iterator_tIlEES8_S8_S8_S8_S8_S8_S8_S8_EEEEPS9_S9_NSD_9__find_if7functorIS9_EEEE10hipError_tPvRmT1_T2_T3_mT4_P12ihipStream_tbEUlT_E1_NS1_11comp_targetILNS1_3genE3ELNS1_11target_archE908ELNS1_3gpuE7ELNS1_3repE0EEENS1_30default_config_static_selectorELNS0_4arch9wavefront6targetE0EEEvS14_.has_dyn_sized_stack, 0
	.set _ZN7rocprim17ROCPRIM_400000_NS6detail17trampoline_kernelINS0_14default_configENS1_22reduce_config_selectorIN6thrust23THRUST_200600_302600_NS5tupleIblNS6_9null_typeES8_S8_S8_S8_S8_S8_S8_EEEEZNS1_11reduce_implILb1ES3_NS6_12zip_iteratorINS7_INS6_11hip_rocprim26transform_input_iterator_tIbNSD_35transform_pair_of_input_iterators_tIbNS6_6detail15normal_iteratorINS6_10device_ptrIKfEEEESL_NS6_8equal_toIfEEEENSG_9not_fun_tINSD_8identityEEEEENSD_19counting_iterator_tIlEES8_S8_S8_S8_S8_S8_S8_S8_EEEEPS9_S9_NSD_9__find_if7functorIS9_EEEE10hipError_tPvRmT1_T2_T3_mT4_P12ihipStream_tbEUlT_E1_NS1_11comp_targetILNS1_3genE3ELNS1_11target_archE908ELNS1_3gpuE7ELNS1_3repE0EEENS1_30default_config_static_selectorELNS0_4arch9wavefront6targetE0EEEvS14_.has_recursion, 0
	.set _ZN7rocprim17ROCPRIM_400000_NS6detail17trampoline_kernelINS0_14default_configENS1_22reduce_config_selectorIN6thrust23THRUST_200600_302600_NS5tupleIblNS6_9null_typeES8_S8_S8_S8_S8_S8_S8_EEEEZNS1_11reduce_implILb1ES3_NS6_12zip_iteratorINS7_INS6_11hip_rocprim26transform_input_iterator_tIbNSD_35transform_pair_of_input_iterators_tIbNS6_6detail15normal_iteratorINS6_10device_ptrIKfEEEESL_NS6_8equal_toIfEEEENSG_9not_fun_tINSD_8identityEEEEENSD_19counting_iterator_tIlEES8_S8_S8_S8_S8_S8_S8_S8_EEEEPS9_S9_NSD_9__find_if7functorIS9_EEEE10hipError_tPvRmT1_T2_T3_mT4_P12ihipStream_tbEUlT_E1_NS1_11comp_targetILNS1_3genE3ELNS1_11target_archE908ELNS1_3gpuE7ELNS1_3repE0EEENS1_30default_config_static_selectorELNS0_4arch9wavefront6targetE0EEEvS14_.has_indirect_call, 0
	.section	.AMDGPU.csdata,"",@progbits
; Kernel info:
; codeLenInByte = 0
; TotalNumSgprs: 0
; NumVgprs: 0
; ScratchSize: 0
; MemoryBound: 0
; FloatMode: 240
; IeeeMode: 1
; LDSByteSize: 0 bytes/workgroup (compile time only)
; SGPRBlocks: 0
; VGPRBlocks: 0
; NumSGPRsForWavesPerEU: 1
; NumVGPRsForWavesPerEU: 1
; Occupancy: 16
; WaveLimiterHint : 0
; COMPUTE_PGM_RSRC2:SCRATCH_EN: 0
; COMPUTE_PGM_RSRC2:USER_SGPR: 6
; COMPUTE_PGM_RSRC2:TRAP_HANDLER: 0
; COMPUTE_PGM_RSRC2:TGID_X_EN: 1
; COMPUTE_PGM_RSRC2:TGID_Y_EN: 0
; COMPUTE_PGM_RSRC2:TGID_Z_EN: 0
; COMPUTE_PGM_RSRC2:TIDIG_COMP_CNT: 0
	.section	.text._ZN7rocprim17ROCPRIM_400000_NS6detail17trampoline_kernelINS0_14default_configENS1_22reduce_config_selectorIN6thrust23THRUST_200600_302600_NS5tupleIblNS6_9null_typeES8_S8_S8_S8_S8_S8_S8_EEEEZNS1_11reduce_implILb1ES3_NS6_12zip_iteratorINS7_INS6_11hip_rocprim26transform_input_iterator_tIbNSD_35transform_pair_of_input_iterators_tIbNS6_6detail15normal_iteratorINS6_10device_ptrIKfEEEESL_NS6_8equal_toIfEEEENSG_9not_fun_tINSD_8identityEEEEENSD_19counting_iterator_tIlEES8_S8_S8_S8_S8_S8_S8_S8_EEEEPS9_S9_NSD_9__find_if7functorIS9_EEEE10hipError_tPvRmT1_T2_T3_mT4_P12ihipStream_tbEUlT_E1_NS1_11comp_targetILNS1_3genE2ELNS1_11target_archE906ELNS1_3gpuE6ELNS1_3repE0EEENS1_30default_config_static_selectorELNS0_4arch9wavefront6targetE0EEEvS14_,"axG",@progbits,_ZN7rocprim17ROCPRIM_400000_NS6detail17trampoline_kernelINS0_14default_configENS1_22reduce_config_selectorIN6thrust23THRUST_200600_302600_NS5tupleIblNS6_9null_typeES8_S8_S8_S8_S8_S8_S8_EEEEZNS1_11reduce_implILb1ES3_NS6_12zip_iteratorINS7_INS6_11hip_rocprim26transform_input_iterator_tIbNSD_35transform_pair_of_input_iterators_tIbNS6_6detail15normal_iteratorINS6_10device_ptrIKfEEEESL_NS6_8equal_toIfEEEENSG_9not_fun_tINSD_8identityEEEEENSD_19counting_iterator_tIlEES8_S8_S8_S8_S8_S8_S8_S8_EEEEPS9_S9_NSD_9__find_if7functorIS9_EEEE10hipError_tPvRmT1_T2_T3_mT4_P12ihipStream_tbEUlT_E1_NS1_11comp_targetILNS1_3genE2ELNS1_11target_archE906ELNS1_3gpuE6ELNS1_3repE0EEENS1_30default_config_static_selectorELNS0_4arch9wavefront6targetE0EEEvS14_,comdat
	.protected	_ZN7rocprim17ROCPRIM_400000_NS6detail17trampoline_kernelINS0_14default_configENS1_22reduce_config_selectorIN6thrust23THRUST_200600_302600_NS5tupleIblNS6_9null_typeES8_S8_S8_S8_S8_S8_S8_EEEEZNS1_11reduce_implILb1ES3_NS6_12zip_iteratorINS7_INS6_11hip_rocprim26transform_input_iterator_tIbNSD_35transform_pair_of_input_iterators_tIbNS6_6detail15normal_iteratorINS6_10device_ptrIKfEEEESL_NS6_8equal_toIfEEEENSG_9not_fun_tINSD_8identityEEEEENSD_19counting_iterator_tIlEES8_S8_S8_S8_S8_S8_S8_S8_EEEEPS9_S9_NSD_9__find_if7functorIS9_EEEE10hipError_tPvRmT1_T2_T3_mT4_P12ihipStream_tbEUlT_E1_NS1_11comp_targetILNS1_3genE2ELNS1_11target_archE906ELNS1_3gpuE6ELNS1_3repE0EEENS1_30default_config_static_selectorELNS0_4arch9wavefront6targetE0EEEvS14_ ; -- Begin function _ZN7rocprim17ROCPRIM_400000_NS6detail17trampoline_kernelINS0_14default_configENS1_22reduce_config_selectorIN6thrust23THRUST_200600_302600_NS5tupleIblNS6_9null_typeES8_S8_S8_S8_S8_S8_S8_EEEEZNS1_11reduce_implILb1ES3_NS6_12zip_iteratorINS7_INS6_11hip_rocprim26transform_input_iterator_tIbNSD_35transform_pair_of_input_iterators_tIbNS6_6detail15normal_iteratorINS6_10device_ptrIKfEEEESL_NS6_8equal_toIfEEEENSG_9not_fun_tINSD_8identityEEEEENSD_19counting_iterator_tIlEES8_S8_S8_S8_S8_S8_S8_S8_EEEEPS9_S9_NSD_9__find_if7functorIS9_EEEE10hipError_tPvRmT1_T2_T3_mT4_P12ihipStream_tbEUlT_E1_NS1_11comp_targetILNS1_3genE2ELNS1_11target_archE906ELNS1_3gpuE6ELNS1_3repE0EEENS1_30default_config_static_selectorELNS0_4arch9wavefront6targetE0EEEvS14_
	.globl	_ZN7rocprim17ROCPRIM_400000_NS6detail17trampoline_kernelINS0_14default_configENS1_22reduce_config_selectorIN6thrust23THRUST_200600_302600_NS5tupleIblNS6_9null_typeES8_S8_S8_S8_S8_S8_S8_EEEEZNS1_11reduce_implILb1ES3_NS6_12zip_iteratorINS7_INS6_11hip_rocprim26transform_input_iterator_tIbNSD_35transform_pair_of_input_iterators_tIbNS6_6detail15normal_iteratorINS6_10device_ptrIKfEEEESL_NS6_8equal_toIfEEEENSG_9not_fun_tINSD_8identityEEEEENSD_19counting_iterator_tIlEES8_S8_S8_S8_S8_S8_S8_S8_EEEEPS9_S9_NSD_9__find_if7functorIS9_EEEE10hipError_tPvRmT1_T2_T3_mT4_P12ihipStream_tbEUlT_E1_NS1_11comp_targetILNS1_3genE2ELNS1_11target_archE906ELNS1_3gpuE6ELNS1_3repE0EEENS1_30default_config_static_selectorELNS0_4arch9wavefront6targetE0EEEvS14_
	.p2align	8
	.type	_ZN7rocprim17ROCPRIM_400000_NS6detail17trampoline_kernelINS0_14default_configENS1_22reduce_config_selectorIN6thrust23THRUST_200600_302600_NS5tupleIblNS6_9null_typeES8_S8_S8_S8_S8_S8_S8_EEEEZNS1_11reduce_implILb1ES3_NS6_12zip_iteratorINS7_INS6_11hip_rocprim26transform_input_iterator_tIbNSD_35transform_pair_of_input_iterators_tIbNS6_6detail15normal_iteratorINS6_10device_ptrIKfEEEESL_NS6_8equal_toIfEEEENSG_9not_fun_tINSD_8identityEEEEENSD_19counting_iterator_tIlEES8_S8_S8_S8_S8_S8_S8_S8_EEEEPS9_S9_NSD_9__find_if7functorIS9_EEEE10hipError_tPvRmT1_T2_T3_mT4_P12ihipStream_tbEUlT_E1_NS1_11comp_targetILNS1_3genE2ELNS1_11target_archE906ELNS1_3gpuE6ELNS1_3repE0EEENS1_30default_config_static_selectorELNS0_4arch9wavefront6targetE0EEEvS14_,@function
_ZN7rocprim17ROCPRIM_400000_NS6detail17trampoline_kernelINS0_14default_configENS1_22reduce_config_selectorIN6thrust23THRUST_200600_302600_NS5tupleIblNS6_9null_typeES8_S8_S8_S8_S8_S8_S8_EEEEZNS1_11reduce_implILb1ES3_NS6_12zip_iteratorINS7_INS6_11hip_rocprim26transform_input_iterator_tIbNSD_35transform_pair_of_input_iterators_tIbNS6_6detail15normal_iteratorINS6_10device_ptrIKfEEEESL_NS6_8equal_toIfEEEENSG_9not_fun_tINSD_8identityEEEEENSD_19counting_iterator_tIlEES8_S8_S8_S8_S8_S8_S8_S8_EEEEPS9_S9_NSD_9__find_if7functorIS9_EEEE10hipError_tPvRmT1_T2_T3_mT4_P12ihipStream_tbEUlT_E1_NS1_11comp_targetILNS1_3genE2ELNS1_11target_archE906ELNS1_3gpuE6ELNS1_3repE0EEENS1_30default_config_static_selectorELNS0_4arch9wavefront6targetE0EEEvS14_: ; @_ZN7rocprim17ROCPRIM_400000_NS6detail17trampoline_kernelINS0_14default_configENS1_22reduce_config_selectorIN6thrust23THRUST_200600_302600_NS5tupleIblNS6_9null_typeES8_S8_S8_S8_S8_S8_S8_EEEEZNS1_11reduce_implILb1ES3_NS6_12zip_iteratorINS7_INS6_11hip_rocprim26transform_input_iterator_tIbNSD_35transform_pair_of_input_iterators_tIbNS6_6detail15normal_iteratorINS6_10device_ptrIKfEEEESL_NS6_8equal_toIfEEEENSG_9not_fun_tINSD_8identityEEEEENSD_19counting_iterator_tIlEES8_S8_S8_S8_S8_S8_S8_S8_EEEEPS9_S9_NSD_9__find_if7functorIS9_EEEE10hipError_tPvRmT1_T2_T3_mT4_P12ihipStream_tbEUlT_E1_NS1_11comp_targetILNS1_3genE2ELNS1_11target_archE906ELNS1_3gpuE6ELNS1_3repE0EEENS1_30default_config_static_selectorELNS0_4arch9wavefront6targetE0EEEvS14_
; %bb.0:
	.section	.rodata,"a",@progbits
	.p2align	6, 0x0
	.amdhsa_kernel _ZN7rocprim17ROCPRIM_400000_NS6detail17trampoline_kernelINS0_14default_configENS1_22reduce_config_selectorIN6thrust23THRUST_200600_302600_NS5tupleIblNS6_9null_typeES8_S8_S8_S8_S8_S8_S8_EEEEZNS1_11reduce_implILb1ES3_NS6_12zip_iteratorINS7_INS6_11hip_rocprim26transform_input_iterator_tIbNSD_35transform_pair_of_input_iterators_tIbNS6_6detail15normal_iteratorINS6_10device_ptrIKfEEEESL_NS6_8equal_toIfEEEENSG_9not_fun_tINSD_8identityEEEEENSD_19counting_iterator_tIlEES8_S8_S8_S8_S8_S8_S8_S8_EEEEPS9_S9_NSD_9__find_if7functorIS9_EEEE10hipError_tPvRmT1_T2_T3_mT4_P12ihipStream_tbEUlT_E1_NS1_11comp_targetILNS1_3genE2ELNS1_11target_archE906ELNS1_3gpuE6ELNS1_3repE0EEENS1_30default_config_static_selectorELNS0_4arch9wavefront6targetE0EEEvS14_
		.amdhsa_group_segment_fixed_size 0
		.amdhsa_private_segment_fixed_size 0
		.amdhsa_kernarg_size 88
		.amdhsa_user_sgpr_count 6
		.amdhsa_user_sgpr_private_segment_buffer 1
		.amdhsa_user_sgpr_dispatch_ptr 0
		.amdhsa_user_sgpr_queue_ptr 0
		.amdhsa_user_sgpr_kernarg_segment_ptr 1
		.amdhsa_user_sgpr_dispatch_id 0
		.amdhsa_user_sgpr_flat_scratch_init 0
		.amdhsa_user_sgpr_private_segment_size 0
		.amdhsa_wavefront_size32 1
		.amdhsa_uses_dynamic_stack 0
		.amdhsa_system_sgpr_private_segment_wavefront_offset 0
		.amdhsa_system_sgpr_workgroup_id_x 1
		.amdhsa_system_sgpr_workgroup_id_y 0
		.amdhsa_system_sgpr_workgroup_id_z 0
		.amdhsa_system_sgpr_workgroup_info 0
		.amdhsa_system_vgpr_workitem_id 0
		.amdhsa_next_free_vgpr 1
		.amdhsa_next_free_sgpr 1
		.amdhsa_reserve_vcc 0
		.amdhsa_reserve_flat_scratch 0
		.amdhsa_float_round_mode_32 0
		.amdhsa_float_round_mode_16_64 0
		.amdhsa_float_denorm_mode_32 3
		.amdhsa_float_denorm_mode_16_64 3
		.amdhsa_dx10_clamp 1
		.amdhsa_ieee_mode 1
		.amdhsa_fp16_overflow 0
		.amdhsa_workgroup_processor_mode 1
		.amdhsa_memory_ordered 1
		.amdhsa_forward_progress 1
		.amdhsa_shared_vgpr_count 0
		.amdhsa_exception_fp_ieee_invalid_op 0
		.amdhsa_exception_fp_denorm_src 0
		.amdhsa_exception_fp_ieee_div_zero 0
		.amdhsa_exception_fp_ieee_overflow 0
		.amdhsa_exception_fp_ieee_underflow 0
		.amdhsa_exception_fp_ieee_inexact 0
		.amdhsa_exception_int_div_zero 0
	.end_amdhsa_kernel
	.section	.text._ZN7rocprim17ROCPRIM_400000_NS6detail17trampoline_kernelINS0_14default_configENS1_22reduce_config_selectorIN6thrust23THRUST_200600_302600_NS5tupleIblNS6_9null_typeES8_S8_S8_S8_S8_S8_S8_EEEEZNS1_11reduce_implILb1ES3_NS6_12zip_iteratorINS7_INS6_11hip_rocprim26transform_input_iterator_tIbNSD_35transform_pair_of_input_iterators_tIbNS6_6detail15normal_iteratorINS6_10device_ptrIKfEEEESL_NS6_8equal_toIfEEEENSG_9not_fun_tINSD_8identityEEEEENSD_19counting_iterator_tIlEES8_S8_S8_S8_S8_S8_S8_S8_EEEEPS9_S9_NSD_9__find_if7functorIS9_EEEE10hipError_tPvRmT1_T2_T3_mT4_P12ihipStream_tbEUlT_E1_NS1_11comp_targetILNS1_3genE2ELNS1_11target_archE906ELNS1_3gpuE6ELNS1_3repE0EEENS1_30default_config_static_selectorELNS0_4arch9wavefront6targetE0EEEvS14_,"axG",@progbits,_ZN7rocprim17ROCPRIM_400000_NS6detail17trampoline_kernelINS0_14default_configENS1_22reduce_config_selectorIN6thrust23THRUST_200600_302600_NS5tupleIblNS6_9null_typeES8_S8_S8_S8_S8_S8_S8_EEEEZNS1_11reduce_implILb1ES3_NS6_12zip_iteratorINS7_INS6_11hip_rocprim26transform_input_iterator_tIbNSD_35transform_pair_of_input_iterators_tIbNS6_6detail15normal_iteratorINS6_10device_ptrIKfEEEESL_NS6_8equal_toIfEEEENSG_9not_fun_tINSD_8identityEEEEENSD_19counting_iterator_tIlEES8_S8_S8_S8_S8_S8_S8_S8_EEEEPS9_S9_NSD_9__find_if7functorIS9_EEEE10hipError_tPvRmT1_T2_T3_mT4_P12ihipStream_tbEUlT_E1_NS1_11comp_targetILNS1_3genE2ELNS1_11target_archE906ELNS1_3gpuE6ELNS1_3repE0EEENS1_30default_config_static_selectorELNS0_4arch9wavefront6targetE0EEEvS14_,comdat
.Lfunc_end90:
	.size	_ZN7rocprim17ROCPRIM_400000_NS6detail17trampoline_kernelINS0_14default_configENS1_22reduce_config_selectorIN6thrust23THRUST_200600_302600_NS5tupleIblNS6_9null_typeES8_S8_S8_S8_S8_S8_S8_EEEEZNS1_11reduce_implILb1ES3_NS6_12zip_iteratorINS7_INS6_11hip_rocprim26transform_input_iterator_tIbNSD_35transform_pair_of_input_iterators_tIbNS6_6detail15normal_iteratorINS6_10device_ptrIKfEEEESL_NS6_8equal_toIfEEEENSG_9not_fun_tINSD_8identityEEEEENSD_19counting_iterator_tIlEES8_S8_S8_S8_S8_S8_S8_S8_EEEEPS9_S9_NSD_9__find_if7functorIS9_EEEE10hipError_tPvRmT1_T2_T3_mT4_P12ihipStream_tbEUlT_E1_NS1_11comp_targetILNS1_3genE2ELNS1_11target_archE906ELNS1_3gpuE6ELNS1_3repE0EEENS1_30default_config_static_selectorELNS0_4arch9wavefront6targetE0EEEvS14_, .Lfunc_end90-_ZN7rocprim17ROCPRIM_400000_NS6detail17trampoline_kernelINS0_14default_configENS1_22reduce_config_selectorIN6thrust23THRUST_200600_302600_NS5tupleIblNS6_9null_typeES8_S8_S8_S8_S8_S8_S8_EEEEZNS1_11reduce_implILb1ES3_NS6_12zip_iteratorINS7_INS6_11hip_rocprim26transform_input_iterator_tIbNSD_35transform_pair_of_input_iterators_tIbNS6_6detail15normal_iteratorINS6_10device_ptrIKfEEEESL_NS6_8equal_toIfEEEENSG_9not_fun_tINSD_8identityEEEEENSD_19counting_iterator_tIlEES8_S8_S8_S8_S8_S8_S8_S8_EEEEPS9_S9_NSD_9__find_if7functorIS9_EEEE10hipError_tPvRmT1_T2_T3_mT4_P12ihipStream_tbEUlT_E1_NS1_11comp_targetILNS1_3genE2ELNS1_11target_archE906ELNS1_3gpuE6ELNS1_3repE0EEENS1_30default_config_static_selectorELNS0_4arch9wavefront6targetE0EEEvS14_
                                        ; -- End function
	.set _ZN7rocprim17ROCPRIM_400000_NS6detail17trampoline_kernelINS0_14default_configENS1_22reduce_config_selectorIN6thrust23THRUST_200600_302600_NS5tupleIblNS6_9null_typeES8_S8_S8_S8_S8_S8_S8_EEEEZNS1_11reduce_implILb1ES3_NS6_12zip_iteratorINS7_INS6_11hip_rocprim26transform_input_iterator_tIbNSD_35transform_pair_of_input_iterators_tIbNS6_6detail15normal_iteratorINS6_10device_ptrIKfEEEESL_NS6_8equal_toIfEEEENSG_9not_fun_tINSD_8identityEEEEENSD_19counting_iterator_tIlEES8_S8_S8_S8_S8_S8_S8_S8_EEEEPS9_S9_NSD_9__find_if7functorIS9_EEEE10hipError_tPvRmT1_T2_T3_mT4_P12ihipStream_tbEUlT_E1_NS1_11comp_targetILNS1_3genE2ELNS1_11target_archE906ELNS1_3gpuE6ELNS1_3repE0EEENS1_30default_config_static_selectorELNS0_4arch9wavefront6targetE0EEEvS14_.num_vgpr, 0
	.set _ZN7rocprim17ROCPRIM_400000_NS6detail17trampoline_kernelINS0_14default_configENS1_22reduce_config_selectorIN6thrust23THRUST_200600_302600_NS5tupleIblNS6_9null_typeES8_S8_S8_S8_S8_S8_S8_EEEEZNS1_11reduce_implILb1ES3_NS6_12zip_iteratorINS7_INS6_11hip_rocprim26transform_input_iterator_tIbNSD_35transform_pair_of_input_iterators_tIbNS6_6detail15normal_iteratorINS6_10device_ptrIKfEEEESL_NS6_8equal_toIfEEEENSG_9not_fun_tINSD_8identityEEEEENSD_19counting_iterator_tIlEES8_S8_S8_S8_S8_S8_S8_S8_EEEEPS9_S9_NSD_9__find_if7functorIS9_EEEE10hipError_tPvRmT1_T2_T3_mT4_P12ihipStream_tbEUlT_E1_NS1_11comp_targetILNS1_3genE2ELNS1_11target_archE906ELNS1_3gpuE6ELNS1_3repE0EEENS1_30default_config_static_selectorELNS0_4arch9wavefront6targetE0EEEvS14_.num_agpr, 0
	.set _ZN7rocprim17ROCPRIM_400000_NS6detail17trampoline_kernelINS0_14default_configENS1_22reduce_config_selectorIN6thrust23THRUST_200600_302600_NS5tupleIblNS6_9null_typeES8_S8_S8_S8_S8_S8_S8_EEEEZNS1_11reduce_implILb1ES3_NS6_12zip_iteratorINS7_INS6_11hip_rocprim26transform_input_iterator_tIbNSD_35transform_pair_of_input_iterators_tIbNS6_6detail15normal_iteratorINS6_10device_ptrIKfEEEESL_NS6_8equal_toIfEEEENSG_9not_fun_tINSD_8identityEEEEENSD_19counting_iterator_tIlEES8_S8_S8_S8_S8_S8_S8_S8_EEEEPS9_S9_NSD_9__find_if7functorIS9_EEEE10hipError_tPvRmT1_T2_T3_mT4_P12ihipStream_tbEUlT_E1_NS1_11comp_targetILNS1_3genE2ELNS1_11target_archE906ELNS1_3gpuE6ELNS1_3repE0EEENS1_30default_config_static_selectorELNS0_4arch9wavefront6targetE0EEEvS14_.numbered_sgpr, 0
	.set _ZN7rocprim17ROCPRIM_400000_NS6detail17trampoline_kernelINS0_14default_configENS1_22reduce_config_selectorIN6thrust23THRUST_200600_302600_NS5tupleIblNS6_9null_typeES8_S8_S8_S8_S8_S8_S8_EEEEZNS1_11reduce_implILb1ES3_NS6_12zip_iteratorINS7_INS6_11hip_rocprim26transform_input_iterator_tIbNSD_35transform_pair_of_input_iterators_tIbNS6_6detail15normal_iteratorINS6_10device_ptrIKfEEEESL_NS6_8equal_toIfEEEENSG_9not_fun_tINSD_8identityEEEEENSD_19counting_iterator_tIlEES8_S8_S8_S8_S8_S8_S8_S8_EEEEPS9_S9_NSD_9__find_if7functorIS9_EEEE10hipError_tPvRmT1_T2_T3_mT4_P12ihipStream_tbEUlT_E1_NS1_11comp_targetILNS1_3genE2ELNS1_11target_archE906ELNS1_3gpuE6ELNS1_3repE0EEENS1_30default_config_static_selectorELNS0_4arch9wavefront6targetE0EEEvS14_.num_named_barrier, 0
	.set _ZN7rocprim17ROCPRIM_400000_NS6detail17trampoline_kernelINS0_14default_configENS1_22reduce_config_selectorIN6thrust23THRUST_200600_302600_NS5tupleIblNS6_9null_typeES8_S8_S8_S8_S8_S8_S8_EEEEZNS1_11reduce_implILb1ES3_NS6_12zip_iteratorINS7_INS6_11hip_rocprim26transform_input_iterator_tIbNSD_35transform_pair_of_input_iterators_tIbNS6_6detail15normal_iteratorINS6_10device_ptrIKfEEEESL_NS6_8equal_toIfEEEENSG_9not_fun_tINSD_8identityEEEEENSD_19counting_iterator_tIlEES8_S8_S8_S8_S8_S8_S8_S8_EEEEPS9_S9_NSD_9__find_if7functorIS9_EEEE10hipError_tPvRmT1_T2_T3_mT4_P12ihipStream_tbEUlT_E1_NS1_11comp_targetILNS1_3genE2ELNS1_11target_archE906ELNS1_3gpuE6ELNS1_3repE0EEENS1_30default_config_static_selectorELNS0_4arch9wavefront6targetE0EEEvS14_.private_seg_size, 0
	.set _ZN7rocprim17ROCPRIM_400000_NS6detail17trampoline_kernelINS0_14default_configENS1_22reduce_config_selectorIN6thrust23THRUST_200600_302600_NS5tupleIblNS6_9null_typeES8_S8_S8_S8_S8_S8_S8_EEEEZNS1_11reduce_implILb1ES3_NS6_12zip_iteratorINS7_INS6_11hip_rocprim26transform_input_iterator_tIbNSD_35transform_pair_of_input_iterators_tIbNS6_6detail15normal_iteratorINS6_10device_ptrIKfEEEESL_NS6_8equal_toIfEEEENSG_9not_fun_tINSD_8identityEEEEENSD_19counting_iterator_tIlEES8_S8_S8_S8_S8_S8_S8_S8_EEEEPS9_S9_NSD_9__find_if7functorIS9_EEEE10hipError_tPvRmT1_T2_T3_mT4_P12ihipStream_tbEUlT_E1_NS1_11comp_targetILNS1_3genE2ELNS1_11target_archE906ELNS1_3gpuE6ELNS1_3repE0EEENS1_30default_config_static_selectorELNS0_4arch9wavefront6targetE0EEEvS14_.uses_vcc, 0
	.set _ZN7rocprim17ROCPRIM_400000_NS6detail17trampoline_kernelINS0_14default_configENS1_22reduce_config_selectorIN6thrust23THRUST_200600_302600_NS5tupleIblNS6_9null_typeES8_S8_S8_S8_S8_S8_S8_EEEEZNS1_11reduce_implILb1ES3_NS6_12zip_iteratorINS7_INS6_11hip_rocprim26transform_input_iterator_tIbNSD_35transform_pair_of_input_iterators_tIbNS6_6detail15normal_iteratorINS6_10device_ptrIKfEEEESL_NS6_8equal_toIfEEEENSG_9not_fun_tINSD_8identityEEEEENSD_19counting_iterator_tIlEES8_S8_S8_S8_S8_S8_S8_S8_EEEEPS9_S9_NSD_9__find_if7functorIS9_EEEE10hipError_tPvRmT1_T2_T3_mT4_P12ihipStream_tbEUlT_E1_NS1_11comp_targetILNS1_3genE2ELNS1_11target_archE906ELNS1_3gpuE6ELNS1_3repE0EEENS1_30default_config_static_selectorELNS0_4arch9wavefront6targetE0EEEvS14_.uses_flat_scratch, 0
	.set _ZN7rocprim17ROCPRIM_400000_NS6detail17trampoline_kernelINS0_14default_configENS1_22reduce_config_selectorIN6thrust23THRUST_200600_302600_NS5tupleIblNS6_9null_typeES8_S8_S8_S8_S8_S8_S8_EEEEZNS1_11reduce_implILb1ES3_NS6_12zip_iteratorINS7_INS6_11hip_rocprim26transform_input_iterator_tIbNSD_35transform_pair_of_input_iterators_tIbNS6_6detail15normal_iteratorINS6_10device_ptrIKfEEEESL_NS6_8equal_toIfEEEENSG_9not_fun_tINSD_8identityEEEEENSD_19counting_iterator_tIlEES8_S8_S8_S8_S8_S8_S8_S8_EEEEPS9_S9_NSD_9__find_if7functorIS9_EEEE10hipError_tPvRmT1_T2_T3_mT4_P12ihipStream_tbEUlT_E1_NS1_11comp_targetILNS1_3genE2ELNS1_11target_archE906ELNS1_3gpuE6ELNS1_3repE0EEENS1_30default_config_static_selectorELNS0_4arch9wavefront6targetE0EEEvS14_.has_dyn_sized_stack, 0
	.set _ZN7rocprim17ROCPRIM_400000_NS6detail17trampoline_kernelINS0_14default_configENS1_22reduce_config_selectorIN6thrust23THRUST_200600_302600_NS5tupleIblNS6_9null_typeES8_S8_S8_S8_S8_S8_S8_EEEEZNS1_11reduce_implILb1ES3_NS6_12zip_iteratorINS7_INS6_11hip_rocprim26transform_input_iterator_tIbNSD_35transform_pair_of_input_iterators_tIbNS6_6detail15normal_iteratorINS6_10device_ptrIKfEEEESL_NS6_8equal_toIfEEEENSG_9not_fun_tINSD_8identityEEEEENSD_19counting_iterator_tIlEES8_S8_S8_S8_S8_S8_S8_S8_EEEEPS9_S9_NSD_9__find_if7functorIS9_EEEE10hipError_tPvRmT1_T2_T3_mT4_P12ihipStream_tbEUlT_E1_NS1_11comp_targetILNS1_3genE2ELNS1_11target_archE906ELNS1_3gpuE6ELNS1_3repE0EEENS1_30default_config_static_selectorELNS0_4arch9wavefront6targetE0EEEvS14_.has_recursion, 0
	.set _ZN7rocprim17ROCPRIM_400000_NS6detail17trampoline_kernelINS0_14default_configENS1_22reduce_config_selectorIN6thrust23THRUST_200600_302600_NS5tupleIblNS6_9null_typeES8_S8_S8_S8_S8_S8_S8_EEEEZNS1_11reduce_implILb1ES3_NS6_12zip_iteratorINS7_INS6_11hip_rocprim26transform_input_iterator_tIbNSD_35transform_pair_of_input_iterators_tIbNS6_6detail15normal_iteratorINS6_10device_ptrIKfEEEESL_NS6_8equal_toIfEEEENSG_9not_fun_tINSD_8identityEEEEENSD_19counting_iterator_tIlEES8_S8_S8_S8_S8_S8_S8_S8_EEEEPS9_S9_NSD_9__find_if7functorIS9_EEEE10hipError_tPvRmT1_T2_T3_mT4_P12ihipStream_tbEUlT_E1_NS1_11comp_targetILNS1_3genE2ELNS1_11target_archE906ELNS1_3gpuE6ELNS1_3repE0EEENS1_30default_config_static_selectorELNS0_4arch9wavefront6targetE0EEEvS14_.has_indirect_call, 0
	.section	.AMDGPU.csdata,"",@progbits
; Kernel info:
; codeLenInByte = 0
; TotalNumSgprs: 0
; NumVgprs: 0
; ScratchSize: 0
; MemoryBound: 0
; FloatMode: 240
; IeeeMode: 1
; LDSByteSize: 0 bytes/workgroup (compile time only)
; SGPRBlocks: 0
; VGPRBlocks: 0
; NumSGPRsForWavesPerEU: 1
; NumVGPRsForWavesPerEU: 1
; Occupancy: 16
; WaveLimiterHint : 0
; COMPUTE_PGM_RSRC2:SCRATCH_EN: 0
; COMPUTE_PGM_RSRC2:USER_SGPR: 6
; COMPUTE_PGM_RSRC2:TRAP_HANDLER: 0
; COMPUTE_PGM_RSRC2:TGID_X_EN: 1
; COMPUTE_PGM_RSRC2:TGID_Y_EN: 0
; COMPUTE_PGM_RSRC2:TGID_Z_EN: 0
; COMPUTE_PGM_RSRC2:TIDIG_COMP_CNT: 0
	.section	.text._ZN7rocprim17ROCPRIM_400000_NS6detail17trampoline_kernelINS0_14default_configENS1_22reduce_config_selectorIN6thrust23THRUST_200600_302600_NS5tupleIblNS6_9null_typeES8_S8_S8_S8_S8_S8_S8_EEEEZNS1_11reduce_implILb1ES3_NS6_12zip_iteratorINS7_INS6_11hip_rocprim26transform_input_iterator_tIbNSD_35transform_pair_of_input_iterators_tIbNS6_6detail15normal_iteratorINS6_10device_ptrIKfEEEESL_NS6_8equal_toIfEEEENSG_9not_fun_tINSD_8identityEEEEENSD_19counting_iterator_tIlEES8_S8_S8_S8_S8_S8_S8_S8_EEEEPS9_S9_NSD_9__find_if7functorIS9_EEEE10hipError_tPvRmT1_T2_T3_mT4_P12ihipStream_tbEUlT_E1_NS1_11comp_targetILNS1_3genE10ELNS1_11target_archE1201ELNS1_3gpuE5ELNS1_3repE0EEENS1_30default_config_static_selectorELNS0_4arch9wavefront6targetE0EEEvS14_,"axG",@progbits,_ZN7rocprim17ROCPRIM_400000_NS6detail17trampoline_kernelINS0_14default_configENS1_22reduce_config_selectorIN6thrust23THRUST_200600_302600_NS5tupleIblNS6_9null_typeES8_S8_S8_S8_S8_S8_S8_EEEEZNS1_11reduce_implILb1ES3_NS6_12zip_iteratorINS7_INS6_11hip_rocprim26transform_input_iterator_tIbNSD_35transform_pair_of_input_iterators_tIbNS6_6detail15normal_iteratorINS6_10device_ptrIKfEEEESL_NS6_8equal_toIfEEEENSG_9not_fun_tINSD_8identityEEEEENSD_19counting_iterator_tIlEES8_S8_S8_S8_S8_S8_S8_S8_EEEEPS9_S9_NSD_9__find_if7functorIS9_EEEE10hipError_tPvRmT1_T2_T3_mT4_P12ihipStream_tbEUlT_E1_NS1_11comp_targetILNS1_3genE10ELNS1_11target_archE1201ELNS1_3gpuE5ELNS1_3repE0EEENS1_30default_config_static_selectorELNS0_4arch9wavefront6targetE0EEEvS14_,comdat
	.protected	_ZN7rocprim17ROCPRIM_400000_NS6detail17trampoline_kernelINS0_14default_configENS1_22reduce_config_selectorIN6thrust23THRUST_200600_302600_NS5tupleIblNS6_9null_typeES8_S8_S8_S8_S8_S8_S8_EEEEZNS1_11reduce_implILb1ES3_NS6_12zip_iteratorINS7_INS6_11hip_rocprim26transform_input_iterator_tIbNSD_35transform_pair_of_input_iterators_tIbNS6_6detail15normal_iteratorINS6_10device_ptrIKfEEEESL_NS6_8equal_toIfEEEENSG_9not_fun_tINSD_8identityEEEEENSD_19counting_iterator_tIlEES8_S8_S8_S8_S8_S8_S8_S8_EEEEPS9_S9_NSD_9__find_if7functorIS9_EEEE10hipError_tPvRmT1_T2_T3_mT4_P12ihipStream_tbEUlT_E1_NS1_11comp_targetILNS1_3genE10ELNS1_11target_archE1201ELNS1_3gpuE5ELNS1_3repE0EEENS1_30default_config_static_selectorELNS0_4arch9wavefront6targetE0EEEvS14_ ; -- Begin function _ZN7rocprim17ROCPRIM_400000_NS6detail17trampoline_kernelINS0_14default_configENS1_22reduce_config_selectorIN6thrust23THRUST_200600_302600_NS5tupleIblNS6_9null_typeES8_S8_S8_S8_S8_S8_S8_EEEEZNS1_11reduce_implILb1ES3_NS6_12zip_iteratorINS7_INS6_11hip_rocprim26transform_input_iterator_tIbNSD_35transform_pair_of_input_iterators_tIbNS6_6detail15normal_iteratorINS6_10device_ptrIKfEEEESL_NS6_8equal_toIfEEEENSG_9not_fun_tINSD_8identityEEEEENSD_19counting_iterator_tIlEES8_S8_S8_S8_S8_S8_S8_S8_EEEEPS9_S9_NSD_9__find_if7functorIS9_EEEE10hipError_tPvRmT1_T2_T3_mT4_P12ihipStream_tbEUlT_E1_NS1_11comp_targetILNS1_3genE10ELNS1_11target_archE1201ELNS1_3gpuE5ELNS1_3repE0EEENS1_30default_config_static_selectorELNS0_4arch9wavefront6targetE0EEEvS14_
	.globl	_ZN7rocprim17ROCPRIM_400000_NS6detail17trampoline_kernelINS0_14default_configENS1_22reduce_config_selectorIN6thrust23THRUST_200600_302600_NS5tupleIblNS6_9null_typeES8_S8_S8_S8_S8_S8_S8_EEEEZNS1_11reduce_implILb1ES3_NS6_12zip_iteratorINS7_INS6_11hip_rocprim26transform_input_iterator_tIbNSD_35transform_pair_of_input_iterators_tIbNS6_6detail15normal_iteratorINS6_10device_ptrIKfEEEESL_NS6_8equal_toIfEEEENSG_9not_fun_tINSD_8identityEEEEENSD_19counting_iterator_tIlEES8_S8_S8_S8_S8_S8_S8_S8_EEEEPS9_S9_NSD_9__find_if7functorIS9_EEEE10hipError_tPvRmT1_T2_T3_mT4_P12ihipStream_tbEUlT_E1_NS1_11comp_targetILNS1_3genE10ELNS1_11target_archE1201ELNS1_3gpuE5ELNS1_3repE0EEENS1_30default_config_static_selectorELNS0_4arch9wavefront6targetE0EEEvS14_
	.p2align	8
	.type	_ZN7rocprim17ROCPRIM_400000_NS6detail17trampoline_kernelINS0_14default_configENS1_22reduce_config_selectorIN6thrust23THRUST_200600_302600_NS5tupleIblNS6_9null_typeES8_S8_S8_S8_S8_S8_S8_EEEEZNS1_11reduce_implILb1ES3_NS6_12zip_iteratorINS7_INS6_11hip_rocprim26transform_input_iterator_tIbNSD_35transform_pair_of_input_iterators_tIbNS6_6detail15normal_iteratorINS6_10device_ptrIKfEEEESL_NS6_8equal_toIfEEEENSG_9not_fun_tINSD_8identityEEEEENSD_19counting_iterator_tIlEES8_S8_S8_S8_S8_S8_S8_S8_EEEEPS9_S9_NSD_9__find_if7functorIS9_EEEE10hipError_tPvRmT1_T2_T3_mT4_P12ihipStream_tbEUlT_E1_NS1_11comp_targetILNS1_3genE10ELNS1_11target_archE1201ELNS1_3gpuE5ELNS1_3repE0EEENS1_30default_config_static_selectorELNS0_4arch9wavefront6targetE0EEEvS14_,@function
_ZN7rocprim17ROCPRIM_400000_NS6detail17trampoline_kernelINS0_14default_configENS1_22reduce_config_selectorIN6thrust23THRUST_200600_302600_NS5tupleIblNS6_9null_typeES8_S8_S8_S8_S8_S8_S8_EEEEZNS1_11reduce_implILb1ES3_NS6_12zip_iteratorINS7_INS6_11hip_rocprim26transform_input_iterator_tIbNSD_35transform_pair_of_input_iterators_tIbNS6_6detail15normal_iteratorINS6_10device_ptrIKfEEEESL_NS6_8equal_toIfEEEENSG_9not_fun_tINSD_8identityEEEEENSD_19counting_iterator_tIlEES8_S8_S8_S8_S8_S8_S8_S8_EEEEPS9_S9_NSD_9__find_if7functorIS9_EEEE10hipError_tPvRmT1_T2_T3_mT4_P12ihipStream_tbEUlT_E1_NS1_11comp_targetILNS1_3genE10ELNS1_11target_archE1201ELNS1_3gpuE5ELNS1_3repE0EEENS1_30default_config_static_selectorELNS0_4arch9wavefront6targetE0EEEvS14_: ; @_ZN7rocprim17ROCPRIM_400000_NS6detail17trampoline_kernelINS0_14default_configENS1_22reduce_config_selectorIN6thrust23THRUST_200600_302600_NS5tupleIblNS6_9null_typeES8_S8_S8_S8_S8_S8_S8_EEEEZNS1_11reduce_implILb1ES3_NS6_12zip_iteratorINS7_INS6_11hip_rocprim26transform_input_iterator_tIbNSD_35transform_pair_of_input_iterators_tIbNS6_6detail15normal_iteratorINS6_10device_ptrIKfEEEESL_NS6_8equal_toIfEEEENSG_9not_fun_tINSD_8identityEEEEENSD_19counting_iterator_tIlEES8_S8_S8_S8_S8_S8_S8_S8_EEEEPS9_S9_NSD_9__find_if7functorIS9_EEEE10hipError_tPvRmT1_T2_T3_mT4_P12ihipStream_tbEUlT_E1_NS1_11comp_targetILNS1_3genE10ELNS1_11target_archE1201ELNS1_3gpuE5ELNS1_3repE0EEENS1_30default_config_static_selectorELNS0_4arch9wavefront6targetE0EEEvS14_
; %bb.0:
	.section	.rodata,"a",@progbits
	.p2align	6, 0x0
	.amdhsa_kernel _ZN7rocprim17ROCPRIM_400000_NS6detail17trampoline_kernelINS0_14default_configENS1_22reduce_config_selectorIN6thrust23THRUST_200600_302600_NS5tupleIblNS6_9null_typeES8_S8_S8_S8_S8_S8_S8_EEEEZNS1_11reduce_implILb1ES3_NS6_12zip_iteratorINS7_INS6_11hip_rocprim26transform_input_iterator_tIbNSD_35transform_pair_of_input_iterators_tIbNS6_6detail15normal_iteratorINS6_10device_ptrIKfEEEESL_NS6_8equal_toIfEEEENSG_9not_fun_tINSD_8identityEEEEENSD_19counting_iterator_tIlEES8_S8_S8_S8_S8_S8_S8_S8_EEEEPS9_S9_NSD_9__find_if7functorIS9_EEEE10hipError_tPvRmT1_T2_T3_mT4_P12ihipStream_tbEUlT_E1_NS1_11comp_targetILNS1_3genE10ELNS1_11target_archE1201ELNS1_3gpuE5ELNS1_3repE0EEENS1_30default_config_static_selectorELNS0_4arch9wavefront6targetE0EEEvS14_
		.amdhsa_group_segment_fixed_size 0
		.amdhsa_private_segment_fixed_size 0
		.amdhsa_kernarg_size 88
		.amdhsa_user_sgpr_count 6
		.amdhsa_user_sgpr_private_segment_buffer 1
		.amdhsa_user_sgpr_dispatch_ptr 0
		.amdhsa_user_sgpr_queue_ptr 0
		.amdhsa_user_sgpr_kernarg_segment_ptr 1
		.amdhsa_user_sgpr_dispatch_id 0
		.amdhsa_user_sgpr_flat_scratch_init 0
		.amdhsa_user_sgpr_private_segment_size 0
		.amdhsa_wavefront_size32 1
		.amdhsa_uses_dynamic_stack 0
		.amdhsa_system_sgpr_private_segment_wavefront_offset 0
		.amdhsa_system_sgpr_workgroup_id_x 1
		.amdhsa_system_sgpr_workgroup_id_y 0
		.amdhsa_system_sgpr_workgroup_id_z 0
		.amdhsa_system_sgpr_workgroup_info 0
		.amdhsa_system_vgpr_workitem_id 0
		.amdhsa_next_free_vgpr 1
		.amdhsa_next_free_sgpr 1
		.amdhsa_reserve_vcc 0
		.amdhsa_reserve_flat_scratch 0
		.amdhsa_float_round_mode_32 0
		.amdhsa_float_round_mode_16_64 0
		.amdhsa_float_denorm_mode_32 3
		.amdhsa_float_denorm_mode_16_64 3
		.amdhsa_dx10_clamp 1
		.amdhsa_ieee_mode 1
		.amdhsa_fp16_overflow 0
		.amdhsa_workgroup_processor_mode 1
		.amdhsa_memory_ordered 1
		.amdhsa_forward_progress 1
		.amdhsa_shared_vgpr_count 0
		.amdhsa_exception_fp_ieee_invalid_op 0
		.amdhsa_exception_fp_denorm_src 0
		.amdhsa_exception_fp_ieee_div_zero 0
		.amdhsa_exception_fp_ieee_overflow 0
		.amdhsa_exception_fp_ieee_underflow 0
		.amdhsa_exception_fp_ieee_inexact 0
		.amdhsa_exception_int_div_zero 0
	.end_amdhsa_kernel
	.section	.text._ZN7rocprim17ROCPRIM_400000_NS6detail17trampoline_kernelINS0_14default_configENS1_22reduce_config_selectorIN6thrust23THRUST_200600_302600_NS5tupleIblNS6_9null_typeES8_S8_S8_S8_S8_S8_S8_EEEEZNS1_11reduce_implILb1ES3_NS6_12zip_iteratorINS7_INS6_11hip_rocprim26transform_input_iterator_tIbNSD_35transform_pair_of_input_iterators_tIbNS6_6detail15normal_iteratorINS6_10device_ptrIKfEEEESL_NS6_8equal_toIfEEEENSG_9not_fun_tINSD_8identityEEEEENSD_19counting_iterator_tIlEES8_S8_S8_S8_S8_S8_S8_S8_EEEEPS9_S9_NSD_9__find_if7functorIS9_EEEE10hipError_tPvRmT1_T2_T3_mT4_P12ihipStream_tbEUlT_E1_NS1_11comp_targetILNS1_3genE10ELNS1_11target_archE1201ELNS1_3gpuE5ELNS1_3repE0EEENS1_30default_config_static_selectorELNS0_4arch9wavefront6targetE0EEEvS14_,"axG",@progbits,_ZN7rocprim17ROCPRIM_400000_NS6detail17trampoline_kernelINS0_14default_configENS1_22reduce_config_selectorIN6thrust23THRUST_200600_302600_NS5tupleIblNS6_9null_typeES8_S8_S8_S8_S8_S8_S8_EEEEZNS1_11reduce_implILb1ES3_NS6_12zip_iteratorINS7_INS6_11hip_rocprim26transform_input_iterator_tIbNSD_35transform_pair_of_input_iterators_tIbNS6_6detail15normal_iteratorINS6_10device_ptrIKfEEEESL_NS6_8equal_toIfEEEENSG_9not_fun_tINSD_8identityEEEEENSD_19counting_iterator_tIlEES8_S8_S8_S8_S8_S8_S8_S8_EEEEPS9_S9_NSD_9__find_if7functorIS9_EEEE10hipError_tPvRmT1_T2_T3_mT4_P12ihipStream_tbEUlT_E1_NS1_11comp_targetILNS1_3genE10ELNS1_11target_archE1201ELNS1_3gpuE5ELNS1_3repE0EEENS1_30default_config_static_selectorELNS0_4arch9wavefront6targetE0EEEvS14_,comdat
.Lfunc_end91:
	.size	_ZN7rocprim17ROCPRIM_400000_NS6detail17trampoline_kernelINS0_14default_configENS1_22reduce_config_selectorIN6thrust23THRUST_200600_302600_NS5tupleIblNS6_9null_typeES8_S8_S8_S8_S8_S8_S8_EEEEZNS1_11reduce_implILb1ES3_NS6_12zip_iteratorINS7_INS6_11hip_rocprim26transform_input_iterator_tIbNSD_35transform_pair_of_input_iterators_tIbNS6_6detail15normal_iteratorINS6_10device_ptrIKfEEEESL_NS6_8equal_toIfEEEENSG_9not_fun_tINSD_8identityEEEEENSD_19counting_iterator_tIlEES8_S8_S8_S8_S8_S8_S8_S8_EEEEPS9_S9_NSD_9__find_if7functorIS9_EEEE10hipError_tPvRmT1_T2_T3_mT4_P12ihipStream_tbEUlT_E1_NS1_11comp_targetILNS1_3genE10ELNS1_11target_archE1201ELNS1_3gpuE5ELNS1_3repE0EEENS1_30default_config_static_selectorELNS0_4arch9wavefront6targetE0EEEvS14_, .Lfunc_end91-_ZN7rocprim17ROCPRIM_400000_NS6detail17trampoline_kernelINS0_14default_configENS1_22reduce_config_selectorIN6thrust23THRUST_200600_302600_NS5tupleIblNS6_9null_typeES8_S8_S8_S8_S8_S8_S8_EEEEZNS1_11reduce_implILb1ES3_NS6_12zip_iteratorINS7_INS6_11hip_rocprim26transform_input_iterator_tIbNSD_35transform_pair_of_input_iterators_tIbNS6_6detail15normal_iteratorINS6_10device_ptrIKfEEEESL_NS6_8equal_toIfEEEENSG_9not_fun_tINSD_8identityEEEEENSD_19counting_iterator_tIlEES8_S8_S8_S8_S8_S8_S8_S8_EEEEPS9_S9_NSD_9__find_if7functorIS9_EEEE10hipError_tPvRmT1_T2_T3_mT4_P12ihipStream_tbEUlT_E1_NS1_11comp_targetILNS1_3genE10ELNS1_11target_archE1201ELNS1_3gpuE5ELNS1_3repE0EEENS1_30default_config_static_selectorELNS0_4arch9wavefront6targetE0EEEvS14_
                                        ; -- End function
	.set _ZN7rocprim17ROCPRIM_400000_NS6detail17trampoline_kernelINS0_14default_configENS1_22reduce_config_selectorIN6thrust23THRUST_200600_302600_NS5tupleIblNS6_9null_typeES8_S8_S8_S8_S8_S8_S8_EEEEZNS1_11reduce_implILb1ES3_NS6_12zip_iteratorINS7_INS6_11hip_rocprim26transform_input_iterator_tIbNSD_35transform_pair_of_input_iterators_tIbNS6_6detail15normal_iteratorINS6_10device_ptrIKfEEEESL_NS6_8equal_toIfEEEENSG_9not_fun_tINSD_8identityEEEEENSD_19counting_iterator_tIlEES8_S8_S8_S8_S8_S8_S8_S8_EEEEPS9_S9_NSD_9__find_if7functorIS9_EEEE10hipError_tPvRmT1_T2_T3_mT4_P12ihipStream_tbEUlT_E1_NS1_11comp_targetILNS1_3genE10ELNS1_11target_archE1201ELNS1_3gpuE5ELNS1_3repE0EEENS1_30default_config_static_selectorELNS0_4arch9wavefront6targetE0EEEvS14_.num_vgpr, 0
	.set _ZN7rocprim17ROCPRIM_400000_NS6detail17trampoline_kernelINS0_14default_configENS1_22reduce_config_selectorIN6thrust23THRUST_200600_302600_NS5tupleIblNS6_9null_typeES8_S8_S8_S8_S8_S8_S8_EEEEZNS1_11reduce_implILb1ES3_NS6_12zip_iteratorINS7_INS6_11hip_rocprim26transform_input_iterator_tIbNSD_35transform_pair_of_input_iterators_tIbNS6_6detail15normal_iteratorINS6_10device_ptrIKfEEEESL_NS6_8equal_toIfEEEENSG_9not_fun_tINSD_8identityEEEEENSD_19counting_iterator_tIlEES8_S8_S8_S8_S8_S8_S8_S8_EEEEPS9_S9_NSD_9__find_if7functorIS9_EEEE10hipError_tPvRmT1_T2_T3_mT4_P12ihipStream_tbEUlT_E1_NS1_11comp_targetILNS1_3genE10ELNS1_11target_archE1201ELNS1_3gpuE5ELNS1_3repE0EEENS1_30default_config_static_selectorELNS0_4arch9wavefront6targetE0EEEvS14_.num_agpr, 0
	.set _ZN7rocprim17ROCPRIM_400000_NS6detail17trampoline_kernelINS0_14default_configENS1_22reduce_config_selectorIN6thrust23THRUST_200600_302600_NS5tupleIblNS6_9null_typeES8_S8_S8_S8_S8_S8_S8_EEEEZNS1_11reduce_implILb1ES3_NS6_12zip_iteratorINS7_INS6_11hip_rocprim26transform_input_iterator_tIbNSD_35transform_pair_of_input_iterators_tIbNS6_6detail15normal_iteratorINS6_10device_ptrIKfEEEESL_NS6_8equal_toIfEEEENSG_9not_fun_tINSD_8identityEEEEENSD_19counting_iterator_tIlEES8_S8_S8_S8_S8_S8_S8_S8_EEEEPS9_S9_NSD_9__find_if7functorIS9_EEEE10hipError_tPvRmT1_T2_T3_mT4_P12ihipStream_tbEUlT_E1_NS1_11comp_targetILNS1_3genE10ELNS1_11target_archE1201ELNS1_3gpuE5ELNS1_3repE0EEENS1_30default_config_static_selectorELNS0_4arch9wavefront6targetE0EEEvS14_.numbered_sgpr, 0
	.set _ZN7rocprim17ROCPRIM_400000_NS6detail17trampoline_kernelINS0_14default_configENS1_22reduce_config_selectorIN6thrust23THRUST_200600_302600_NS5tupleIblNS6_9null_typeES8_S8_S8_S8_S8_S8_S8_EEEEZNS1_11reduce_implILb1ES3_NS6_12zip_iteratorINS7_INS6_11hip_rocprim26transform_input_iterator_tIbNSD_35transform_pair_of_input_iterators_tIbNS6_6detail15normal_iteratorINS6_10device_ptrIKfEEEESL_NS6_8equal_toIfEEEENSG_9not_fun_tINSD_8identityEEEEENSD_19counting_iterator_tIlEES8_S8_S8_S8_S8_S8_S8_S8_EEEEPS9_S9_NSD_9__find_if7functorIS9_EEEE10hipError_tPvRmT1_T2_T3_mT4_P12ihipStream_tbEUlT_E1_NS1_11comp_targetILNS1_3genE10ELNS1_11target_archE1201ELNS1_3gpuE5ELNS1_3repE0EEENS1_30default_config_static_selectorELNS0_4arch9wavefront6targetE0EEEvS14_.num_named_barrier, 0
	.set _ZN7rocprim17ROCPRIM_400000_NS6detail17trampoline_kernelINS0_14default_configENS1_22reduce_config_selectorIN6thrust23THRUST_200600_302600_NS5tupleIblNS6_9null_typeES8_S8_S8_S8_S8_S8_S8_EEEEZNS1_11reduce_implILb1ES3_NS6_12zip_iteratorINS7_INS6_11hip_rocprim26transform_input_iterator_tIbNSD_35transform_pair_of_input_iterators_tIbNS6_6detail15normal_iteratorINS6_10device_ptrIKfEEEESL_NS6_8equal_toIfEEEENSG_9not_fun_tINSD_8identityEEEEENSD_19counting_iterator_tIlEES8_S8_S8_S8_S8_S8_S8_S8_EEEEPS9_S9_NSD_9__find_if7functorIS9_EEEE10hipError_tPvRmT1_T2_T3_mT4_P12ihipStream_tbEUlT_E1_NS1_11comp_targetILNS1_3genE10ELNS1_11target_archE1201ELNS1_3gpuE5ELNS1_3repE0EEENS1_30default_config_static_selectorELNS0_4arch9wavefront6targetE0EEEvS14_.private_seg_size, 0
	.set _ZN7rocprim17ROCPRIM_400000_NS6detail17trampoline_kernelINS0_14default_configENS1_22reduce_config_selectorIN6thrust23THRUST_200600_302600_NS5tupleIblNS6_9null_typeES8_S8_S8_S8_S8_S8_S8_EEEEZNS1_11reduce_implILb1ES3_NS6_12zip_iteratorINS7_INS6_11hip_rocprim26transform_input_iterator_tIbNSD_35transform_pair_of_input_iterators_tIbNS6_6detail15normal_iteratorINS6_10device_ptrIKfEEEESL_NS6_8equal_toIfEEEENSG_9not_fun_tINSD_8identityEEEEENSD_19counting_iterator_tIlEES8_S8_S8_S8_S8_S8_S8_S8_EEEEPS9_S9_NSD_9__find_if7functorIS9_EEEE10hipError_tPvRmT1_T2_T3_mT4_P12ihipStream_tbEUlT_E1_NS1_11comp_targetILNS1_3genE10ELNS1_11target_archE1201ELNS1_3gpuE5ELNS1_3repE0EEENS1_30default_config_static_selectorELNS0_4arch9wavefront6targetE0EEEvS14_.uses_vcc, 0
	.set _ZN7rocprim17ROCPRIM_400000_NS6detail17trampoline_kernelINS0_14default_configENS1_22reduce_config_selectorIN6thrust23THRUST_200600_302600_NS5tupleIblNS6_9null_typeES8_S8_S8_S8_S8_S8_S8_EEEEZNS1_11reduce_implILb1ES3_NS6_12zip_iteratorINS7_INS6_11hip_rocprim26transform_input_iterator_tIbNSD_35transform_pair_of_input_iterators_tIbNS6_6detail15normal_iteratorINS6_10device_ptrIKfEEEESL_NS6_8equal_toIfEEEENSG_9not_fun_tINSD_8identityEEEEENSD_19counting_iterator_tIlEES8_S8_S8_S8_S8_S8_S8_S8_EEEEPS9_S9_NSD_9__find_if7functorIS9_EEEE10hipError_tPvRmT1_T2_T3_mT4_P12ihipStream_tbEUlT_E1_NS1_11comp_targetILNS1_3genE10ELNS1_11target_archE1201ELNS1_3gpuE5ELNS1_3repE0EEENS1_30default_config_static_selectorELNS0_4arch9wavefront6targetE0EEEvS14_.uses_flat_scratch, 0
	.set _ZN7rocprim17ROCPRIM_400000_NS6detail17trampoline_kernelINS0_14default_configENS1_22reduce_config_selectorIN6thrust23THRUST_200600_302600_NS5tupleIblNS6_9null_typeES8_S8_S8_S8_S8_S8_S8_EEEEZNS1_11reduce_implILb1ES3_NS6_12zip_iteratorINS7_INS6_11hip_rocprim26transform_input_iterator_tIbNSD_35transform_pair_of_input_iterators_tIbNS6_6detail15normal_iteratorINS6_10device_ptrIKfEEEESL_NS6_8equal_toIfEEEENSG_9not_fun_tINSD_8identityEEEEENSD_19counting_iterator_tIlEES8_S8_S8_S8_S8_S8_S8_S8_EEEEPS9_S9_NSD_9__find_if7functorIS9_EEEE10hipError_tPvRmT1_T2_T3_mT4_P12ihipStream_tbEUlT_E1_NS1_11comp_targetILNS1_3genE10ELNS1_11target_archE1201ELNS1_3gpuE5ELNS1_3repE0EEENS1_30default_config_static_selectorELNS0_4arch9wavefront6targetE0EEEvS14_.has_dyn_sized_stack, 0
	.set _ZN7rocprim17ROCPRIM_400000_NS6detail17trampoline_kernelINS0_14default_configENS1_22reduce_config_selectorIN6thrust23THRUST_200600_302600_NS5tupleIblNS6_9null_typeES8_S8_S8_S8_S8_S8_S8_EEEEZNS1_11reduce_implILb1ES3_NS6_12zip_iteratorINS7_INS6_11hip_rocprim26transform_input_iterator_tIbNSD_35transform_pair_of_input_iterators_tIbNS6_6detail15normal_iteratorINS6_10device_ptrIKfEEEESL_NS6_8equal_toIfEEEENSG_9not_fun_tINSD_8identityEEEEENSD_19counting_iterator_tIlEES8_S8_S8_S8_S8_S8_S8_S8_EEEEPS9_S9_NSD_9__find_if7functorIS9_EEEE10hipError_tPvRmT1_T2_T3_mT4_P12ihipStream_tbEUlT_E1_NS1_11comp_targetILNS1_3genE10ELNS1_11target_archE1201ELNS1_3gpuE5ELNS1_3repE0EEENS1_30default_config_static_selectorELNS0_4arch9wavefront6targetE0EEEvS14_.has_recursion, 0
	.set _ZN7rocprim17ROCPRIM_400000_NS6detail17trampoline_kernelINS0_14default_configENS1_22reduce_config_selectorIN6thrust23THRUST_200600_302600_NS5tupleIblNS6_9null_typeES8_S8_S8_S8_S8_S8_S8_EEEEZNS1_11reduce_implILb1ES3_NS6_12zip_iteratorINS7_INS6_11hip_rocprim26transform_input_iterator_tIbNSD_35transform_pair_of_input_iterators_tIbNS6_6detail15normal_iteratorINS6_10device_ptrIKfEEEESL_NS6_8equal_toIfEEEENSG_9not_fun_tINSD_8identityEEEEENSD_19counting_iterator_tIlEES8_S8_S8_S8_S8_S8_S8_S8_EEEEPS9_S9_NSD_9__find_if7functorIS9_EEEE10hipError_tPvRmT1_T2_T3_mT4_P12ihipStream_tbEUlT_E1_NS1_11comp_targetILNS1_3genE10ELNS1_11target_archE1201ELNS1_3gpuE5ELNS1_3repE0EEENS1_30default_config_static_selectorELNS0_4arch9wavefront6targetE0EEEvS14_.has_indirect_call, 0
	.section	.AMDGPU.csdata,"",@progbits
; Kernel info:
; codeLenInByte = 0
; TotalNumSgprs: 0
; NumVgprs: 0
; ScratchSize: 0
; MemoryBound: 0
; FloatMode: 240
; IeeeMode: 1
; LDSByteSize: 0 bytes/workgroup (compile time only)
; SGPRBlocks: 0
; VGPRBlocks: 0
; NumSGPRsForWavesPerEU: 1
; NumVGPRsForWavesPerEU: 1
; Occupancy: 16
; WaveLimiterHint : 0
; COMPUTE_PGM_RSRC2:SCRATCH_EN: 0
; COMPUTE_PGM_RSRC2:USER_SGPR: 6
; COMPUTE_PGM_RSRC2:TRAP_HANDLER: 0
; COMPUTE_PGM_RSRC2:TGID_X_EN: 1
; COMPUTE_PGM_RSRC2:TGID_Y_EN: 0
; COMPUTE_PGM_RSRC2:TGID_Z_EN: 0
; COMPUTE_PGM_RSRC2:TIDIG_COMP_CNT: 0
	.section	.text._ZN7rocprim17ROCPRIM_400000_NS6detail17trampoline_kernelINS0_14default_configENS1_22reduce_config_selectorIN6thrust23THRUST_200600_302600_NS5tupleIblNS6_9null_typeES8_S8_S8_S8_S8_S8_S8_EEEEZNS1_11reduce_implILb1ES3_NS6_12zip_iteratorINS7_INS6_11hip_rocprim26transform_input_iterator_tIbNSD_35transform_pair_of_input_iterators_tIbNS6_6detail15normal_iteratorINS6_10device_ptrIKfEEEESL_NS6_8equal_toIfEEEENSG_9not_fun_tINSD_8identityEEEEENSD_19counting_iterator_tIlEES8_S8_S8_S8_S8_S8_S8_S8_EEEEPS9_S9_NSD_9__find_if7functorIS9_EEEE10hipError_tPvRmT1_T2_T3_mT4_P12ihipStream_tbEUlT_E1_NS1_11comp_targetILNS1_3genE10ELNS1_11target_archE1200ELNS1_3gpuE4ELNS1_3repE0EEENS1_30default_config_static_selectorELNS0_4arch9wavefront6targetE0EEEvS14_,"axG",@progbits,_ZN7rocprim17ROCPRIM_400000_NS6detail17trampoline_kernelINS0_14default_configENS1_22reduce_config_selectorIN6thrust23THRUST_200600_302600_NS5tupleIblNS6_9null_typeES8_S8_S8_S8_S8_S8_S8_EEEEZNS1_11reduce_implILb1ES3_NS6_12zip_iteratorINS7_INS6_11hip_rocprim26transform_input_iterator_tIbNSD_35transform_pair_of_input_iterators_tIbNS6_6detail15normal_iteratorINS6_10device_ptrIKfEEEESL_NS6_8equal_toIfEEEENSG_9not_fun_tINSD_8identityEEEEENSD_19counting_iterator_tIlEES8_S8_S8_S8_S8_S8_S8_S8_EEEEPS9_S9_NSD_9__find_if7functorIS9_EEEE10hipError_tPvRmT1_T2_T3_mT4_P12ihipStream_tbEUlT_E1_NS1_11comp_targetILNS1_3genE10ELNS1_11target_archE1200ELNS1_3gpuE4ELNS1_3repE0EEENS1_30default_config_static_selectorELNS0_4arch9wavefront6targetE0EEEvS14_,comdat
	.protected	_ZN7rocprim17ROCPRIM_400000_NS6detail17trampoline_kernelINS0_14default_configENS1_22reduce_config_selectorIN6thrust23THRUST_200600_302600_NS5tupleIblNS6_9null_typeES8_S8_S8_S8_S8_S8_S8_EEEEZNS1_11reduce_implILb1ES3_NS6_12zip_iteratorINS7_INS6_11hip_rocprim26transform_input_iterator_tIbNSD_35transform_pair_of_input_iterators_tIbNS6_6detail15normal_iteratorINS6_10device_ptrIKfEEEESL_NS6_8equal_toIfEEEENSG_9not_fun_tINSD_8identityEEEEENSD_19counting_iterator_tIlEES8_S8_S8_S8_S8_S8_S8_S8_EEEEPS9_S9_NSD_9__find_if7functorIS9_EEEE10hipError_tPvRmT1_T2_T3_mT4_P12ihipStream_tbEUlT_E1_NS1_11comp_targetILNS1_3genE10ELNS1_11target_archE1200ELNS1_3gpuE4ELNS1_3repE0EEENS1_30default_config_static_selectorELNS0_4arch9wavefront6targetE0EEEvS14_ ; -- Begin function _ZN7rocprim17ROCPRIM_400000_NS6detail17trampoline_kernelINS0_14default_configENS1_22reduce_config_selectorIN6thrust23THRUST_200600_302600_NS5tupleIblNS6_9null_typeES8_S8_S8_S8_S8_S8_S8_EEEEZNS1_11reduce_implILb1ES3_NS6_12zip_iteratorINS7_INS6_11hip_rocprim26transform_input_iterator_tIbNSD_35transform_pair_of_input_iterators_tIbNS6_6detail15normal_iteratorINS6_10device_ptrIKfEEEESL_NS6_8equal_toIfEEEENSG_9not_fun_tINSD_8identityEEEEENSD_19counting_iterator_tIlEES8_S8_S8_S8_S8_S8_S8_S8_EEEEPS9_S9_NSD_9__find_if7functorIS9_EEEE10hipError_tPvRmT1_T2_T3_mT4_P12ihipStream_tbEUlT_E1_NS1_11comp_targetILNS1_3genE10ELNS1_11target_archE1200ELNS1_3gpuE4ELNS1_3repE0EEENS1_30default_config_static_selectorELNS0_4arch9wavefront6targetE0EEEvS14_
	.globl	_ZN7rocprim17ROCPRIM_400000_NS6detail17trampoline_kernelINS0_14default_configENS1_22reduce_config_selectorIN6thrust23THRUST_200600_302600_NS5tupleIblNS6_9null_typeES8_S8_S8_S8_S8_S8_S8_EEEEZNS1_11reduce_implILb1ES3_NS6_12zip_iteratorINS7_INS6_11hip_rocprim26transform_input_iterator_tIbNSD_35transform_pair_of_input_iterators_tIbNS6_6detail15normal_iteratorINS6_10device_ptrIKfEEEESL_NS6_8equal_toIfEEEENSG_9not_fun_tINSD_8identityEEEEENSD_19counting_iterator_tIlEES8_S8_S8_S8_S8_S8_S8_S8_EEEEPS9_S9_NSD_9__find_if7functorIS9_EEEE10hipError_tPvRmT1_T2_T3_mT4_P12ihipStream_tbEUlT_E1_NS1_11comp_targetILNS1_3genE10ELNS1_11target_archE1200ELNS1_3gpuE4ELNS1_3repE0EEENS1_30default_config_static_selectorELNS0_4arch9wavefront6targetE0EEEvS14_
	.p2align	8
	.type	_ZN7rocprim17ROCPRIM_400000_NS6detail17trampoline_kernelINS0_14default_configENS1_22reduce_config_selectorIN6thrust23THRUST_200600_302600_NS5tupleIblNS6_9null_typeES8_S8_S8_S8_S8_S8_S8_EEEEZNS1_11reduce_implILb1ES3_NS6_12zip_iteratorINS7_INS6_11hip_rocprim26transform_input_iterator_tIbNSD_35transform_pair_of_input_iterators_tIbNS6_6detail15normal_iteratorINS6_10device_ptrIKfEEEESL_NS6_8equal_toIfEEEENSG_9not_fun_tINSD_8identityEEEEENSD_19counting_iterator_tIlEES8_S8_S8_S8_S8_S8_S8_S8_EEEEPS9_S9_NSD_9__find_if7functorIS9_EEEE10hipError_tPvRmT1_T2_T3_mT4_P12ihipStream_tbEUlT_E1_NS1_11comp_targetILNS1_3genE10ELNS1_11target_archE1200ELNS1_3gpuE4ELNS1_3repE0EEENS1_30default_config_static_selectorELNS0_4arch9wavefront6targetE0EEEvS14_,@function
_ZN7rocprim17ROCPRIM_400000_NS6detail17trampoline_kernelINS0_14default_configENS1_22reduce_config_selectorIN6thrust23THRUST_200600_302600_NS5tupleIblNS6_9null_typeES8_S8_S8_S8_S8_S8_S8_EEEEZNS1_11reduce_implILb1ES3_NS6_12zip_iteratorINS7_INS6_11hip_rocprim26transform_input_iterator_tIbNSD_35transform_pair_of_input_iterators_tIbNS6_6detail15normal_iteratorINS6_10device_ptrIKfEEEESL_NS6_8equal_toIfEEEENSG_9not_fun_tINSD_8identityEEEEENSD_19counting_iterator_tIlEES8_S8_S8_S8_S8_S8_S8_S8_EEEEPS9_S9_NSD_9__find_if7functorIS9_EEEE10hipError_tPvRmT1_T2_T3_mT4_P12ihipStream_tbEUlT_E1_NS1_11comp_targetILNS1_3genE10ELNS1_11target_archE1200ELNS1_3gpuE4ELNS1_3repE0EEENS1_30default_config_static_selectorELNS0_4arch9wavefront6targetE0EEEvS14_: ; @_ZN7rocprim17ROCPRIM_400000_NS6detail17trampoline_kernelINS0_14default_configENS1_22reduce_config_selectorIN6thrust23THRUST_200600_302600_NS5tupleIblNS6_9null_typeES8_S8_S8_S8_S8_S8_S8_EEEEZNS1_11reduce_implILb1ES3_NS6_12zip_iteratorINS7_INS6_11hip_rocprim26transform_input_iterator_tIbNSD_35transform_pair_of_input_iterators_tIbNS6_6detail15normal_iteratorINS6_10device_ptrIKfEEEESL_NS6_8equal_toIfEEEENSG_9not_fun_tINSD_8identityEEEEENSD_19counting_iterator_tIlEES8_S8_S8_S8_S8_S8_S8_S8_EEEEPS9_S9_NSD_9__find_if7functorIS9_EEEE10hipError_tPvRmT1_T2_T3_mT4_P12ihipStream_tbEUlT_E1_NS1_11comp_targetILNS1_3genE10ELNS1_11target_archE1200ELNS1_3gpuE4ELNS1_3repE0EEENS1_30default_config_static_selectorELNS0_4arch9wavefront6targetE0EEEvS14_
; %bb.0:
	.section	.rodata,"a",@progbits
	.p2align	6, 0x0
	.amdhsa_kernel _ZN7rocprim17ROCPRIM_400000_NS6detail17trampoline_kernelINS0_14default_configENS1_22reduce_config_selectorIN6thrust23THRUST_200600_302600_NS5tupleIblNS6_9null_typeES8_S8_S8_S8_S8_S8_S8_EEEEZNS1_11reduce_implILb1ES3_NS6_12zip_iteratorINS7_INS6_11hip_rocprim26transform_input_iterator_tIbNSD_35transform_pair_of_input_iterators_tIbNS6_6detail15normal_iteratorINS6_10device_ptrIKfEEEESL_NS6_8equal_toIfEEEENSG_9not_fun_tINSD_8identityEEEEENSD_19counting_iterator_tIlEES8_S8_S8_S8_S8_S8_S8_S8_EEEEPS9_S9_NSD_9__find_if7functorIS9_EEEE10hipError_tPvRmT1_T2_T3_mT4_P12ihipStream_tbEUlT_E1_NS1_11comp_targetILNS1_3genE10ELNS1_11target_archE1200ELNS1_3gpuE4ELNS1_3repE0EEENS1_30default_config_static_selectorELNS0_4arch9wavefront6targetE0EEEvS14_
		.amdhsa_group_segment_fixed_size 0
		.amdhsa_private_segment_fixed_size 0
		.amdhsa_kernarg_size 88
		.amdhsa_user_sgpr_count 6
		.amdhsa_user_sgpr_private_segment_buffer 1
		.amdhsa_user_sgpr_dispatch_ptr 0
		.amdhsa_user_sgpr_queue_ptr 0
		.amdhsa_user_sgpr_kernarg_segment_ptr 1
		.amdhsa_user_sgpr_dispatch_id 0
		.amdhsa_user_sgpr_flat_scratch_init 0
		.amdhsa_user_sgpr_private_segment_size 0
		.amdhsa_wavefront_size32 1
		.amdhsa_uses_dynamic_stack 0
		.amdhsa_system_sgpr_private_segment_wavefront_offset 0
		.amdhsa_system_sgpr_workgroup_id_x 1
		.amdhsa_system_sgpr_workgroup_id_y 0
		.amdhsa_system_sgpr_workgroup_id_z 0
		.amdhsa_system_sgpr_workgroup_info 0
		.amdhsa_system_vgpr_workitem_id 0
		.amdhsa_next_free_vgpr 1
		.amdhsa_next_free_sgpr 1
		.amdhsa_reserve_vcc 0
		.amdhsa_reserve_flat_scratch 0
		.amdhsa_float_round_mode_32 0
		.amdhsa_float_round_mode_16_64 0
		.amdhsa_float_denorm_mode_32 3
		.amdhsa_float_denorm_mode_16_64 3
		.amdhsa_dx10_clamp 1
		.amdhsa_ieee_mode 1
		.amdhsa_fp16_overflow 0
		.amdhsa_workgroup_processor_mode 1
		.amdhsa_memory_ordered 1
		.amdhsa_forward_progress 1
		.amdhsa_shared_vgpr_count 0
		.amdhsa_exception_fp_ieee_invalid_op 0
		.amdhsa_exception_fp_denorm_src 0
		.amdhsa_exception_fp_ieee_div_zero 0
		.amdhsa_exception_fp_ieee_overflow 0
		.amdhsa_exception_fp_ieee_underflow 0
		.amdhsa_exception_fp_ieee_inexact 0
		.amdhsa_exception_int_div_zero 0
	.end_amdhsa_kernel
	.section	.text._ZN7rocprim17ROCPRIM_400000_NS6detail17trampoline_kernelINS0_14default_configENS1_22reduce_config_selectorIN6thrust23THRUST_200600_302600_NS5tupleIblNS6_9null_typeES8_S8_S8_S8_S8_S8_S8_EEEEZNS1_11reduce_implILb1ES3_NS6_12zip_iteratorINS7_INS6_11hip_rocprim26transform_input_iterator_tIbNSD_35transform_pair_of_input_iterators_tIbNS6_6detail15normal_iteratorINS6_10device_ptrIKfEEEESL_NS6_8equal_toIfEEEENSG_9not_fun_tINSD_8identityEEEEENSD_19counting_iterator_tIlEES8_S8_S8_S8_S8_S8_S8_S8_EEEEPS9_S9_NSD_9__find_if7functorIS9_EEEE10hipError_tPvRmT1_T2_T3_mT4_P12ihipStream_tbEUlT_E1_NS1_11comp_targetILNS1_3genE10ELNS1_11target_archE1200ELNS1_3gpuE4ELNS1_3repE0EEENS1_30default_config_static_selectorELNS0_4arch9wavefront6targetE0EEEvS14_,"axG",@progbits,_ZN7rocprim17ROCPRIM_400000_NS6detail17trampoline_kernelINS0_14default_configENS1_22reduce_config_selectorIN6thrust23THRUST_200600_302600_NS5tupleIblNS6_9null_typeES8_S8_S8_S8_S8_S8_S8_EEEEZNS1_11reduce_implILb1ES3_NS6_12zip_iteratorINS7_INS6_11hip_rocprim26transform_input_iterator_tIbNSD_35transform_pair_of_input_iterators_tIbNS6_6detail15normal_iteratorINS6_10device_ptrIKfEEEESL_NS6_8equal_toIfEEEENSG_9not_fun_tINSD_8identityEEEEENSD_19counting_iterator_tIlEES8_S8_S8_S8_S8_S8_S8_S8_EEEEPS9_S9_NSD_9__find_if7functorIS9_EEEE10hipError_tPvRmT1_T2_T3_mT4_P12ihipStream_tbEUlT_E1_NS1_11comp_targetILNS1_3genE10ELNS1_11target_archE1200ELNS1_3gpuE4ELNS1_3repE0EEENS1_30default_config_static_selectorELNS0_4arch9wavefront6targetE0EEEvS14_,comdat
.Lfunc_end92:
	.size	_ZN7rocprim17ROCPRIM_400000_NS6detail17trampoline_kernelINS0_14default_configENS1_22reduce_config_selectorIN6thrust23THRUST_200600_302600_NS5tupleIblNS6_9null_typeES8_S8_S8_S8_S8_S8_S8_EEEEZNS1_11reduce_implILb1ES3_NS6_12zip_iteratorINS7_INS6_11hip_rocprim26transform_input_iterator_tIbNSD_35transform_pair_of_input_iterators_tIbNS6_6detail15normal_iteratorINS6_10device_ptrIKfEEEESL_NS6_8equal_toIfEEEENSG_9not_fun_tINSD_8identityEEEEENSD_19counting_iterator_tIlEES8_S8_S8_S8_S8_S8_S8_S8_EEEEPS9_S9_NSD_9__find_if7functorIS9_EEEE10hipError_tPvRmT1_T2_T3_mT4_P12ihipStream_tbEUlT_E1_NS1_11comp_targetILNS1_3genE10ELNS1_11target_archE1200ELNS1_3gpuE4ELNS1_3repE0EEENS1_30default_config_static_selectorELNS0_4arch9wavefront6targetE0EEEvS14_, .Lfunc_end92-_ZN7rocprim17ROCPRIM_400000_NS6detail17trampoline_kernelINS0_14default_configENS1_22reduce_config_selectorIN6thrust23THRUST_200600_302600_NS5tupleIblNS6_9null_typeES8_S8_S8_S8_S8_S8_S8_EEEEZNS1_11reduce_implILb1ES3_NS6_12zip_iteratorINS7_INS6_11hip_rocprim26transform_input_iterator_tIbNSD_35transform_pair_of_input_iterators_tIbNS6_6detail15normal_iteratorINS6_10device_ptrIKfEEEESL_NS6_8equal_toIfEEEENSG_9not_fun_tINSD_8identityEEEEENSD_19counting_iterator_tIlEES8_S8_S8_S8_S8_S8_S8_S8_EEEEPS9_S9_NSD_9__find_if7functorIS9_EEEE10hipError_tPvRmT1_T2_T3_mT4_P12ihipStream_tbEUlT_E1_NS1_11comp_targetILNS1_3genE10ELNS1_11target_archE1200ELNS1_3gpuE4ELNS1_3repE0EEENS1_30default_config_static_selectorELNS0_4arch9wavefront6targetE0EEEvS14_
                                        ; -- End function
	.set _ZN7rocprim17ROCPRIM_400000_NS6detail17trampoline_kernelINS0_14default_configENS1_22reduce_config_selectorIN6thrust23THRUST_200600_302600_NS5tupleIblNS6_9null_typeES8_S8_S8_S8_S8_S8_S8_EEEEZNS1_11reduce_implILb1ES3_NS6_12zip_iteratorINS7_INS6_11hip_rocprim26transform_input_iterator_tIbNSD_35transform_pair_of_input_iterators_tIbNS6_6detail15normal_iteratorINS6_10device_ptrIKfEEEESL_NS6_8equal_toIfEEEENSG_9not_fun_tINSD_8identityEEEEENSD_19counting_iterator_tIlEES8_S8_S8_S8_S8_S8_S8_S8_EEEEPS9_S9_NSD_9__find_if7functorIS9_EEEE10hipError_tPvRmT1_T2_T3_mT4_P12ihipStream_tbEUlT_E1_NS1_11comp_targetILNS1_3genE10ELNS1_11target_archE1200ELNS1_3gpuE4ELNS1_3repE0EEENS1_30default_config_static_selectorELNS0_4arch9wavefront6targetE0EEEvS14_.num_vgpr, 0
	.set _ZN7rocprim17ROCPRIM_400000_NS6detail17trampoline_kernelINS0_14default_configENS1_22reduce_config_selectorIN6thrust23THRUST_200600_302600_NS5tupleIblNS6_9null_typeES8_S8_S8_S8_S8_S8_S8_EEEEZNS1_11reduce_implILb1ES3_NS6_12zip_iteratorINS7_INS6_11hip_rocprim26transform_input_iterator_tIbNSD_35transform_pair_of_input_iterators_tIbNS6_6detail15normal_iteratorINS6_10device_ptrIKfEEEESL_NS6_8equal_toIfEEEENSG_9not_fun_tINSD_8identityEEEEENSD_19counting_iterator_tIlEES8_S8_S8_S8_S8_S8_S8_S8_EEEEPS9_S9_NSD_9__find_if7functorIS9_EEEE10hipError_tPvRmT1_T2_T3_mT4_P12ihipStream_tbEUlT_E1_NS1_11comp_targetILNS1_3genE10ELNS1_11target_archE1200ELNS1_3gpuE4ELNS1_3repE0EEENS1_30default_config_static_selectorELNS0_4arch9wavefront6targetE0EEEvS14_.num_agpr, 0
	.set _ZN7rocprim17ROCPRIM_400000_NS6detail17trampoline_kernelINS0_14default_configENS1_22reduce_config_selectorIN6thrust23THRUST_200600_302600_NS5tupleIblNS6_9null_typeES8_S8_S8_S8_S8_S8_S8_EEEEZNS1_11reduce_implILb1ES3_NS6_12zip_iteratorINS7_INS6_11hip_rocprim26transform_input_iterator_tIbNSD_35transform_pair_of_input_iterators_tIbNS6_6detail15normal_iteratorINS6_10device_ptrIKfEEEESL_NS6_8equal_toIfEEEENSG_9not_fun_tINSD_8identityEEEEENSD_19counting_iterator_tIlEES8_S8_S8_S8_S8_S8_S8_S8_EEEEPS9_S9_NSD_9__find_if7functorIS9_EEEE10hipError_tPvRmT1_T2_T3_mT4_P12ihipStream_tbEUlT_E1_NS1_11comp_targetILNS1_3genE10ELNS1_11target_archE1200ELNS1_3gpuE4ELNS1_3repE0EEENS1_30default_config_static_selectorELNS0_4arch9wavefront6targetE0EEEvS14_.numbered_sgpr, 0
	.set _ZN7rocprim17ROCPRIM_400000_NS6detail17trampoline_kernelINS0_14default_configENS1_22reduce_config_selectorIN6thrust23THRUST_200600_302600_NS5tupleIblNS6_9null_typeES8_S8_S8_S8_S8_S8_S8_EEEEZNS1_11reduce_implILb1ES3_NS6_12zip_iteratorINS7_INS6_11hip_rocprim26transform_input_iterator_tIbNSD_35transform_pair_of_input_iterators_tIbNS6_6detail15normal_iteratorINS6_10device_ptrIKfEEEESL_NS6_8equal_toIfEEEENSG_9not_fun_tINSD_8identityEEEEENSD_19counting_iterator_tIlEES8_S8_S8_S8_S8_S8_S8_S8_EEEEPS9_S9_NSD_9__find_if7functorIS9_EEEE10hipError_tPvRmT1_T2_T3_mT4_P12ihipStream_tbEUlT_E1_NS1_11comp_targetILNS1_3genE10ELNS1_11target_archE1200ELNS1_3gpuE4ELNS1_3repE0EEENS1_30default_config_static_selectorELNS0_4arch9wavefront6targetE0EEEvS14_.num_named_barrier, 0
	.set _ZN7rocprim17ROCPRIM_400000_NS6detail17trampoline_kernelINS0_14default_configENS1_22reduce_config_selectorIN6thrust23THRUST_200600_302600_NS5tupleIblNS6_9null_typeES8_S8_S8_S8_S8_S8_S8_EEEEZNS1_11reduce_implILb1ES3_NS6_12zip_iteratorINS7_INS6_11hip_rocprim26transform_input_iterator_tIbNSD_35transform_pair_of_input_iterators_tIbNS6_6detail15normal_iteratorINS6_10device_ptrIKfEEEESL_NS6_8equal_toIfEEEENSG_9not_fun_tINSD_8identityEEEEENSD_19counting_iterator_tIlEES8_S8_S8_S8_S8_S8_S8_S8_EEEEPS9_S9_NSD_9__find_if7functorIS9_EEEE10hipError_tPvRmT1_T2_T3_mT4_P12ihipStream_tbEUlT_E1_NS1_11comp_targetILNS1_3genE10ELNS1_11target_archE1200ELNS1_3gpuE4ELNS1_3repE0EEENS1_30default_config_static_selectorELNS0_4arch9wavefront6targetE0EEEvS14_.private_seg_size, 0
	.set _ZN7rocprim17ROCPRIM_400000_NS6detail17trampoline_kernelINS0_14default_configENS1_22reduce_config_selectorIN6thrust23THRUST_200600_302600_NS5tupleIblNS6_9null_typeES8_S8_S8_S8_S8_S8_S8_EEEEZNS1_11reduce_implILb1ES3_NS6_12zip_iteratorINS7_INS6_11hip_rocprim26transform_input_iterator_tIbNSD_35transform_pair_of_input_iterators_tIbNS6_6detail15normal_iteratorINS6_10device_ptrIKfEEEESL_NS6_8equal_toIfEEEENSG_9not_fun_tINSD_8identityEEEEENSD_19counting_iterator_tIlEES8_S8_S8_S8_S8_S8_S8_S8_EEEEPS9_S9_NSD_9__find_if7functorIS9_EEEE10hipError_tPvRmT1_T2_T3_mT4_P12ihipStream_tbEUlT_E1_NS1_11comp_targetILNS1_3genE10ELNS1_11target_archE1200ELNS1_3gpuE4ELNS1_3repE0EEENS1_30default_config_static_selectorELNS0_4arch9wavefront6targetE0EEEvS14_.uses_vcc, 0
	.set _ZN7rocprim17ROCPRIM_400000_NS6detail17trampoline_kernelINS0_14default_configENS1_22reduce_config_selectorIN6thrust23THRUST_200600_302600_NS5tupleIblNS6_9null_typeES8_S8_S8_S8_S8_S8_S8_EEEEZNS1_11reduce_implILb1ES3_NS6_12zip_iteratorINS7_INS6_11hip_rocprim26transform_input_iterator_tIbNSD_35transform_pair_of_input_iterators_tIbNS6_6detail15normal_iteratorINS6_10device_ptrIKfEEEESL_NS6_8equal_toIfEEEENSG_9not_fun_tINSD_8identityEEEEENSD_19counting_iterator_tIlEES8_S8_S8_S8_S8_S8_S8_S8_EEEEPS9_S9_NSD_9__find_if7functorIS9_EEEE10hipError_tPvRmT1_T2_T3_mT4_P12ihipStream_tbEUlT_E1_NS1_11comp_targetILNS1_3genE10ELNS1_11target_archE1200ELNS1_3gpuE4ELNS1_3repE0EEENS1_30default_config_static_selectorELNS0_4arch9wavefront6targetE0EEEvS14_.uses_flat_scratch, 0
	.set _ZN7rocprim17ROCPRIM_400000_NS6detail17trampoline_kernelINS0_14default_configENS1_22reduce_config_selectorIN6thrust23THRUST_200600_302600_NS5tupleIblNS6_9null_typeES8_S8_S8_S8_S8_S8_S8_EEEEZNS1_11reduce_implILb1ES3_NS6_12zip_iteratorINS7_INS6_11hip_rocprim26transform_input_iterator_tIbNSD_35transform_pair_of_input_iterators_tIbNS6_6detail15normal_iteratorINS6_10device_ptrIKfEEEESL_NS6_8equal_toIfEEEENSG_9not_fun_tINSD_8identityEEEEENSD_19counting_iterator_tIlEES8_S8_S8_S8_S8_S8_S8_S8_EEEEPS9_S9_NSD_9__find_if7functorIS9_EEEE10hipError_tPvRmT1_T2_T3_mT4_P12ihipStream_tbEUlT_E1_NS1_11comp_targetILNS1_3genE10ELNS1_11target_archE1200ELNS1_3gpuE4ELNS1_3repE0EEENS1_30default_config_static_selectorELNS0_4arch9wavefront6targetE0EEEvS14_.has_dyn_sized_stack, 0
	.set _ZN7rocprim17ROCPRIM_400000_NS6detail17trampoline_kernelINS0_14default_configENS1_22reduce_config_selectorIN6thrust23THRUST_200600_302600_NS5tupleIblNS6_9null_typeES8_S8_S8_S8_S8_S8_S8_EEEEZNS1_11reduce_implILb1ES3_NS6_12zip_iteratorINS7_INS6_11hip_rocprim26transform_input_iterator_tIbNSD_35transform_pair_of_input_iterators_tIbNS6_6detail15normal_iteratorINS6_10device_ptrIKfEEEESL_NS6_8equal_toIfEEEENSG_9not_fun_tINSD_8identityEEEEENSD_19counting_iterator_tIlEES8_S8_S8_S8_S8_S8_S8_S8_EEEEPS9_S9_NSD_9__find_if7functorIS9_EEEE10hipError_tPvRmT1_T2_T3_mT4_P12ihipStream_tbEUlT_E1_NS1_11comp_targetILNS1_3genE10ELNS1_11target_archE1200ELNS1_3gpuE4ELNS1_3repE0EEENS1_30default_config_static_selectorELNS0_4arch9wavefront6targetE0EEEvS14_.has_recursion, 0
	.set _ZN7rocprim17ROCPRIM_400000_NS6detail17trampoline_kernelINS0_14default_configENS1_22reduce_config_selectorIN6thrust23THRUST_200600_302600_NS5tupleIblNS6_9null_typeES8_S8_S8_S8_S8_S8_S8_EEEEZNS1_11reduce_implILb1ES3_NS6_12zip_iteratorINS7_INS6_11hip_rocprim26transform_input_iterator_tIbNSD_35transform_pair_of_input_iterators_tIbNS6_6detail15normal_iteratorINS6_10device_ptrIKfEEEESL_NS6_8equal_toIfEEEENSG_9not_fun_tINSD_8identityEEEEENSD_19counting_iterator_tIlEES8_S8_S8_S8_S8_S8_S8_S8_EEEEPS9_S9_NSD_9__find_if7functorIS9_EEEE10hipError_tPvRmT1_T2_T3_mT4_P12ihipStream_tbEUlT_E1_NS1_11comp_targetILNS1_3genE10ELNS1_11target_archE1200ELNS1_3gpuE4ELNS1_3repE0EEENS1_30default_config_static_selectorELNS0_4arch9wavefront6targetE0EEEvS14_.has_indirect_call, 0
	.section	.AMDGPU.csdata,"",@progbits
; Kernel info:
; codeLenInByte = 0
; TotalNumSgprs: 0
; NumVgprs: 0
; ScratchSize: 0
; MemoryBound: 0
; FloatMode: 240
; IeeeMode: 1
; LDSByteSize: 0 bytes/workgroup (compile time only)
; SGPRBlocks: 0
; VGPRBlocks: 0
; NumSGPRsForWavesPerEU: 1
; NumVGPRsForWavesPerEU: 1
; Occupancy: 16
; WaveLimiterHint : 0
; COMPUTE_PGM_RSRC2:SCRATCH_EN: 0
; COMPUTE_PGM_RSRC2:USER_SGPR: 6
; COMPUTE_PGM_RSRC2:TRAP_HANDLER: 0
; COMPUTE_PGM_RSRC2:TGID_X_EN: 1
; COMPUTE_PGM_RSRC2:TGID_Y_EN: 0
; COMPUTE_PGM_RSRC2:TGID_Z_EN: 0
; COMPUTE_PGM_RSRC2:TIDIG_COMP_CNT: 0
	.section	.text._ZN7rocprim17ROCPRIM_400000_NS6detail17trampoline_kernelINS0_14default_configENS1_22reduce_config_selectorIN6thrust23THRUST_200600_302600_NS5tupleIblNS6_9null_typeES8_S8_S8_S8_S8_S8_S8_EEEEZNS1_11reduce_implILb1ES3_NS6_12zip_iteratorINS7_INS6_11hip_rocprim26transform_input_iterator_tIbNSD_35transform_pair_of_input_iterators_tIbNS6_6detail15normal_iteratorINS6_10device_ptrIKfEEEESL_NS6_8equal_toIfEEEENSG_9not_fun_tINSD_8identityEEEEENSD_19counting_iterator_tIlEES8_S8_S8_S8_S8_S8_S8_S8_EEEEPS9_S9_NSD_9__find_if7functorIS9_EEEE10hipError_tPvRmT1_T2_T3_mT4_P12ihipStream_tbEUlT_E1_NS1_11comp_targetILNS1_3genE9ELNS1_11target_archE1100ELNS1_3gpuE3ELNS1_3repE0EEENS1_30default_config_static_selectorELNS0_4arch9wavefront6targetE0EEEvS14_,"axG",@progbits,_ZN7rocprim17ROCPRIM_400000_NS6detail17trampoline_kernelINS0_14default_configENS1_22reduce_config_selectorIN6thrust23THRUST_200600_302600_NS5tupleIblNS6_9null_typeES8_S8_S8_S8_S8_S8_S8_EEEEZNS1_11reduce_implILb1ES3_NS6_12zip_iteratorINS7_INS6_11hip_rocprim26transform_input_iterator_tIbNSD_35transform_pair_of_input_iterators_tIbNS6_6detail15normal_iteratorINS6_10device_ptrIKfEEEESL_NS6_8equal_toIfEEEENSG_9not_fun_tINSD_8identityEEEEENSD_19counting_iterator_tIlEES8_S8_S8_S8_S8_S8_S8_S8_EEEEPS9_S9_NSD_9__find_if7functorIS9_EEEE10hipError_tPvRmT1_T2_T3_mT4_P12ihipStream_tbEUlT_E1_NS1_11comp_targetILNS1_3genE9ELNS1_11target_archE1100ELNS1_3gpuE3ELNS1_3repE0EEENS1_30default_config_static_selectorELNS0_4arch9wavefront6targetE0EEEvS14_,comdat
	.protected	_ZN7rocprim17ROCPRIM_400000_NS6detail17trampoline_kernelINS0_14default_configENS1_22reduce_config_selectorIN6thrust23THRUST_200600_302600_NS5tupleIblNS6_9null_typeES8_S8_S8_S8_S8_S8_S8_EEEEZNS1_11reduce_implILb1ES3_NS6_12zip_iteratorINS7_INS6_11hip_rocprim26transform_input_iterator_tIbNSD_35transform_pair_of_input_iterators_tIbNS6_6detail15normal_iteratorINS6_10device_ptrIKfEEEESL_NS6_8equal_toIfEEEENSG_9not_fun_tINSD_8identityEEEEENSD_19counting_iterator_tIlEES8_S8_S8_S8_S8_S8_S8_S8_EEEEPS9_S9_NSD_9__find_if7functorIS9_EEEE10hipError_tPvRmT1_T2_T3_mT4_P12ihipStream_tbEUlT_E1_NS1_11comp_targetILNS1_3genE9ELNS1_11target_archE1100ELNS1_3gpuE3ELNS1_3repE0EEENS1_30default_config_static_selectorELNS0_4arch9wavefront6targetE0EEEvS14_ ; -- Begin function _ZN7rocprim17ROCPRIM_400000_NS6detail17trampoline_kernelINS0_14default_configENS1_22reduce_config_selectorIN6thrust23THRUST_200600_302600_NS5tupleIblNS6_9null_typeES8_S8_S8_S8_S8_S8_S8_EEEEZNS1_11reduce_implILb1ES3_NS6_12zip_iteratorINS7_INS6_11hip_rocprim26transform_input_iterator_tIbNSD_35transform_pair_of_input_iterators_tIbNS6_6detail15normal_iteratorINS6_10device_ptrIKfEEEESL_NS6_8equal_toIfEEEENSG_9not_fun_tINSD_8identityEEEEENSD_19counting_iterator_tIlEES8_S8_S8_S8_S8_S8_S8_S8_EEEEPS9_S9_NSD_9__find_if7functorIS9_EEEE10hipError_tPvRmT1_T2_T3_mT4_P12ihipStream_tbEUlT_E1_NS1_11comp_targetILNS1_3genE9ELNS1_11target_archE1100ELNS1_3gpuE3ELNS1_3repE0EEENS1_30default_config_static_selectorELNS0_4arch9wavefront6targetE0EEEvS14_
	.globl	_ZN7rocprim17ROCPRIM_400000_NS6detail17trampoline_kernelINS0_14default_configENS1_22reduce_config_selectorIN6thrust23THRUST_200600_302600_NS5tupleIblNS6_9null_typeES8_S8_S8_S8_S8_S8_S8_EEEEZNS1_11reduce_implILb1ES3_NS6_12zip_iteratorINS7_INS6_11hip_rocprim26transform_input_iterator_tIbNSD_35transform_pair_of_input_iterators_tIbNS6_6detail15normal_iteratorINS6_10device_ptrIKfEEEESL_NS6_8equal_toIfEEEENSG_9not_fun_tINSD_8identityEEEEENSD_19counting_iterator_tIlEES8_S8_S8_S8_S8_S8_S8_S8_EEEEPS9_S9_NSD_9__find_if7functorIS9_EEEE10hipError_tPvRmT1_T2_T3_mT4_P12ihipStream_tbEUlT_E1_NS1_11comp_targetILNS1_3genE9ELNS1_11target_archE1100ELNS1_3gpuE3ELNS1_3repE0EEENS1_30default_config_static_selectorELNS0_4arch9wavefront6targetE0EEEvS14_
	.p2align	8
	.type	_ZN7rocprim17ROCPRIM_400000_NS6detail17trampoline_kernelINS0_14default_configENS1_22reduce_config_selectorIN6thrust23THRUST_200600_302600_NS5tupleIblNS6_9null_typeES8_S8_S8_S8_S8_S8_S8_EEEEZNS1_11reduce_implILb1ES3_NS6_12zip_iteratorINS7_INS6_11hip_rocprim26transform_input_iterator_tIbNSD_35transform_pair_of_input_iterators_tIbNS6_6detail15normal_iteratorINS6_10device_ptrIKfEEEESL_NS6_8equal_toIfEEEENSG_9not_fun_tINSD_8identityEEEEENSD_19counting_iterator_tIlEES8_S8_S8_S8_S8_S8_S8_S8_EEEEPS9_S9_NSD_9__find_if7functorIS9_EEEE10hipError_tPvRmT1_T2_T3_mT4_P12ihipStream_tbEUlT_E1_NS1_11comp_targetILNS1_3genE9ELNS1_11target_archE1100ELNS1_3gpuE3ELNS1_3repE0EEENS1_30default_config_static_selectorELNS0_4arch9wavefront6targetE0EEEvS14_,@function
_ZN7rocprim17ROCPRIM_400000_NS6detail17trampoline_kernelINS0_14default_configENS1_22reduce_config_selectorIN6thrust23THRUST_200600_302600_NS5tupleIblNS6_9null_typeES8_S8_S8_S8_S8_S8_S8_EEEEZNS1_11reduce_implILb1ES3_NS6_12zip_iteratorINS7_INS6_11hip_rocprim26transform_input_iterator_tIbNSD_35transform_pair_of_input_iterators_tIbNS6_6detail15normal_iteratorINS6_10device_ptrIKfEEEESL_NS6_8equal_toIfEEEENSG_9not_fun_tINSD_8identityEEEEENSD_19counting_iterator_tIlEES8_S8_S8_S8_S8_S8_S8_S8_EEEEPS9_S9_NSD_9__find_if7functorIS9_EEEE10hipError_tPvRmT1_T2_T3_mT4_P12ihipStream_tbEUlT_E1_NS1_11comp_targetILNS1_3genE9ELNS1_11target_archE1100ELNS1_3gpuE3ELNS1_3repE0EEENS1_30default_config_static_selectorELNS0_4arch9wavefront6targetE0EEEvS14_: ; @_ZN7rocprim17ROCPRIM_400000_NS6detail17trampoline_kernelINS0_14default_configENS1_22reduce_config_selectorIN6thrust23THRUST_200600_302600_NS5tupleIblNS6_9null_typeES8_S8_S8_S8_S8_S8_S8_EEEEZNS1_11reduce_implILb1ES3_NS6_12zip_iteratorINS7_INS6_11hip_rocprim26transform_input_iterator_tIbNSD_35transform_pair_of_input_iterators_tIbNS6_6detail15normal_iteratorINS6_10device_ptrIKfEEEESL_NS6_8equal_toIfEEEENSG_9not_fun_tINSD_8identityEEEEENSD_19counting_iterator_tIlEES8_S8_S8_S8_S8_S8_S8_S8_EEEEPS9_S9_NSD_9__find_if7functorIS9_EEEE10hipError_tPvRmT1_T2_T3_mT4_P12ihipStream_tbEUlT_E1_NS1_11comp_targetILNS1_3genE9ELNS1_11target_archE1100ELNS1_3gpuE3ELNS1_3repE0EEENS1_30default_config_static_selectorELNS0_4arch9wavefront6targetE0EEEvS14_
; %bb.0:
	.section	.rodata,"a",@progbits
	.p2align	6, 0x0
	.amdhsa_kernel _ZN7rocprim17ROCPRIM_400000_NS6detail17trampoline_kernelINS0_14default_configENS1_22reduce_config_selectorIN6thrust23THRUST_200600_302600_NS5tupleIblNS6_9null_typeES8_S8_S8_S8_S8_S8_S8_EEEEZNS1_11reduce_implILb1ES3_NS6_12zip_iteratorINS7_INS6_11hip_rocprim26transform_input_iterator_tIbNSD_35transform_pair_of_input_iterators_tIbNS6_6detail15normal_iteratorINS6_10device_ptrIKfEEEESL_NS6_8equal_toIfEEEENSG_9not_fun_tINSD_8identityEEEEENSD_19counting_iterator_tIlEES8_S8_S8_S8_S8_S8_S8_S8_EEEEPS9_S9_NSD_9__find_if7functorIS9_EEEE10hipError_tPvRmT1_T2_T3_mT4_P12ihipStream_tbEUlT_E1_NS1_11comp_targetILNS1_3genE9ELNS1_11target_archE1100ELNS1_3gpuE3ELNS1_3repE0EEENS1_30default_config_static_selectorELNS0_4arch9wavefront6targetE0EEEvS14_
		.amdhsa_group_segment_fixed_size 0
		.amdhsa_private_segment_fixed_size 0
		.amdhsa_kernarg_size 88
		.amdhsa_user_sgpr_count 6
		.amdhsa_user_sgpr_private_segment_buffer 1
		.amdhsa_user_sgpr_dispatch_ptr 0
		.amdhsa_user_sgpr_queue_ptr 0
		.amdhsa_user_sgpr_kernarg_segment_ptr 1
		.amdhsa_user_sgpr_dispatch_id 0
		.amdhsa_user_sgpr_flat_scratch_init 0
		.amdhsa_user_sgpr_private_segment_size 0
		.amdhsa_wavefront_size32 1
		.amdhsa_uses_dynamic_stack 0
		.amdhsa_system_sgpr_private_segment_wavefront_offset 0
		.amdhsa_system_sgpr_workgroup_id_x 1
		.amdhsa_system_sgpr_workgroup_id_y 0
		.amdhsa_system_sgpr_workgroup_id_z 0
		.amdhsa_system_sgpr_workgroup_info 0
		.amdhsa_system_vgpr_workitem_id 0
		.amdhsa_next_free_vgpr 1
		.amdhsa_next_free_sgpr 1
		.amdhsa_reserve_vcc 0
		.amdhsa_reserve_flat_scratch 0
		.amdhsa_float_round_mode_32 0
		.amdhsa_float_round_mode_16_64 0
		.amdhsa_float_denorm_mode_32 3
		.amdhsa_float_denorm_mode_16_64 3
		.amdhsa_dx10_clamp 1
		.amdhsa_ieee_mode 1
		.amdhsa_fp16_overflow 0
		.amdhsa_workgroup_processor_mode 1
		.amdhsa_memory_ordered 1
		.amdhsa_forward_progress 1
		.amdhsa_shared_vgpr_count 0
		.amdhsa_exception_fp_ieee_invalid_op 0
		.amdhsa_exception_fp_denorm_src 0
		.amdhsa_exception_fp_ieee_div_zero 0
		.amdhsa_exception_fp_ieee_overflow 0
		.amdhsa_exception_fp_ieee_underflow 0
		.amdhsa_exception_fp_ieee_inexact 0
		.amdhsa_exception_int_div_zero 0
	.end_amdhsa_kernel
	.section	.text._ZN7rocprim17ROCPRIM_400000_NS6detail17trampoline_kernelINS0_14default_configENS1_22reduce_config_selectorIN6thrust23THRUST_200600_302600_NS5tupleIblNS6_9null_typeES8_S8_S8_S8_S8_S8_S8_EEEEZNS1_11reduce_implILb1ES3_NS6_12zip_iteratorINS7_INS6_11hip_rocprim26transform_input_iterator_tIbNSD_35transform_pair_of_input_iterators_tIbNS6_6detail15normal_iteratorINS6_10device_ptrIKfEEEESL_NS6_8equal_toIfEEEENSG_9not_fun_tINSD_8identityEEEEENSD_19counting_iterator_tIlEES8_S8_S8_S8_S8_S8_S8_S8_EEEEPS9_S9_NSD_9__find_if7functorIS9_EEEE10hipError_tPvRmT1_T2_T3_mT4_P12ihipStream_tbEUlT_E1_NS1_11comp_targetILNS1_3genE9ELNS1_11target_archE1100ELNS1_3gpuE3ELNS1_3repE0EEENS1_30default_config_static_selectorELNS0_4arch9wavefront6targetE0EEEvS14_,"axG",@progbits,_ZN7rocprim17ROCPRIM_400000_NS6detail17trampoline_kernelINS0_14default_configENS1_22reduce_config_selectorIN6thrust23THRUST_200600_302600_NS5tupleIblNS6_9null_typeES8_S8_S8_S8_S8_S8_S8_EEEEZNS1_11reduce_implILb1ES3_NS6_12zip_iteratorINS7_INS6_11hip_rocprim26transform_input_iterator_tIbNSD_35transform_pair_of_input_iterators_tIbNS6_6detail15normal_iteratorINS6_10device_ptrIKfEEEESL_NS6_8equal_toIfEEEENSG_9not_fun_tINSD_8identityEEEEENSD_19counting_iterator_tIlEES8_S8_S8_S8_S8_S8_S8_S8_EEEEPS9_S9_NSD_9__find_if7functorIS9_EEEE10hipError_tPvRmT1_T2_T3_mT4_P12ihipStream_tbEUlT_E1_NS1_11comp_targetILNS1_3genE9ELNS1_11target_archE1100ELNS1_3gpuE3ELNS1_3repE0EEENS1_30default_config_static_selectorELNS0_4arch9wavefront6targetE0EEEvS14_,comdat
.Lfunc_end93:
	.size	_ZN7rocprim17ROCPRIM_400000_NS6detail17trampoline_kernelINS0_14default_configENS1_22reduce_config_selectorIN6thrust23THRUST_200600_302600_NS5tupleIblNS6_9null_typeES8_S8_S8_S8_S8_S8_S8_EEEEZNS1_11reduce_implILb1ES3_NS6_12zip_iteratorINS7_INS6_11hip_rocprim26transform_input_iterator_tIbNSD_35transform_pair_of_input_iterators_tIbNS6_6detail15normal_iteratorINS6_10device_ptrIKfEEEESL_NS6_8equal_toIfEEEENSG_9not_fun_tINSD_8identityEEEEENSD_19counting_iterator_tIlEES8_S8_S8_S8_S8_S8_S8_S8_EEEEPS9_S9_NSD_9__find_if7functorIS9_EEEE10hipError_tPvRmT1_T2_T3_mT4_P12ihipStream_tbEUlT_E1_NS1_11comp_targetILNS1_3genE9ELNS1_11target_archE1100ELNS1_3gpuE3ELNS1_3repE0EEENS1_30default_config_static_selectorELNS0_4arch9wavefront6targetE0EEEvS14_, .Lfunc_end93-_ZN7rocprim17ROCPRIM_400000_NS6detail17trampoline_kernelINS0_14default_configENS1_22reduce_config_selectorIN6thrust23THRUST_200600_302600_NS5tupleIblNS6_9null_typeES8_S8_S8_S8_S8_S8_S8_EEEEZNS1_11reduce_implILb1ES3_NS6_12zip_iteratorINS7_INS6_11hip_rocprim26transform_input_iterator_tIbNSD_35transform_pair_of_input_iterators_tIbNS6_6detail15normal_iteratorINS6_10device_ptrIKfEEEESL_NS6_8equal_toIfEEEENSG_9not_fun_tINSD_8identityEEEEENSD_19counting_iterator_tIlEES8_S8_S8_S8_S8_S8_S8_S8_EEEEPS9_S9_NSD_9__find_if7functorIS9_EEEE10hipError_tPvRmT1_T2_T3_mT4_P12ihipStream_tbEUlT_E1_NS1_11comp_targetILNS1_3genE9ELNS1_11target_archE1100ELNS1_3gpuE3ELNS1_3repE0EEENS1_30default_config_static_selectorELNS0_4arch9wavefront6targetE0EEEvS14_
                                        ; -- End function
	.set _ZN7rocprim17ROCPRIM_400000_NS6detail17trampoline_kernelINS0_14default_configENS1_22reduce_config_selectorIN6thrust23THRUST_200600_302600_NS5tupleIblNS6_9null_typeES8_S8_S8_S8_S8_S8_S8_EEEEZNS1_11reduce_implILb1ES3_NS6_12zip_iteratorINS7_INS6_11hip_rocprim26transform_input_iterator_tIbNSD_35transform_pair_of_input_iterators_tIbNS6_6detail15normal_iteratorINS6_10device_ptrIKfEEEESL_NS6_8equal_toIfEEEENSG_9not_fun_tINSD_8identityEEEEENSD_19counting_iterator_tIlEES8_S8_S8_S8_S8_S8_S8_S8_EEEEPS9_S9_NSD_9__find_if7functorIS9_EEEE10hipError_tPvRmT1_T2_T3_mT4_P12ihipStream_tbEUlT_E1_NS1_11comp_targetILNS1_3genE9ELNS1_11target_archE1100ELNS1_3gpuE3ELNS1_3repE0EEENS1_30default_config_static_selectorELNS0_4arch9wavefront6targetE0EEEvS14_.num_vgpr, 0
	.set _ZN7rocprim17ROCPRIM_400000_NS6detail17trampoline_kernelINS0_14default_configENS1_22reduce_config_selectorIN6thrust23THRUST_200600_302600_NS5tupleIblNS6_9null_typeES8_S8_S8_S8_S8_S8_S8_EEEEZNS1_11reduce_implILb1ES3_NS6_12zip_iteratorINS7_INS6_11hip_rocprim26transform_input_iterator_tIbNSD_35transform_pair_of_input_iterators_tIbNS6_6detail15normal_iteratorINS6_10device_ptrIKfEEEESL_NS6_8equal_toIfEEEENSG_9not_fun_tINSD_8identityEEEEENSD_19counting_iterator_tIlEES8_S8_S8_S8_S8_S8_S8_S8_EEEEPS9_S9_NSD_9__find_if7functorIS9_EEEE10hipError_tPvRmT1_T2_T3_mT4_P12ihipStream_tbEUlT_E1_NS1_11comp_targetILNS1_3genE9ELNS1_11target_archE1100ELNS1_3gpuE3ELNS1_3repE0EEENS1_30default_config_static_selectorELNS0_4arch9wavefront6targetE0EEEvS14_.num_agpr, 0
	.set _ZN7rocprim17ROCPRIM_400000_NS6detail17trampoline_kernelINS0_14default_configENS1_22reduce_config_selectorIN6thrust23THRUST_200600_302600_NS5tupleIblNS6_9null_typeES8_S8_S8_S8_S8_S8_S8_EEEEZNS1_11reduce_implILb1ES3_NS6_12zip_iteratorINS7_INS6_11hip_rocprim26transform_input_iterator_tIbNSD_35transform_pair_of_input_iterators_tIbNS6_6detail15normal_iteratorINS6_10device_ptrIKfEEEESL_NS6_8equal_toIfEEEENSG_9not_fun_tINSD_8identityEEEEENSD_19counting_iterator_tIlEES8_S8_S8_S8_S8_S8_S8_S8_EEEEPS9_S9_NSD_9__find_if7functorIS9_EEEE10hipError_tPvRmT1_T2_T3_mT4_P12ihipStream_tbEUlT_E1_NS1_11comp_targetILNS1_3genE9ELNS1_11target_archE1100ELNS1_3gpuE3ELNS1_3repE0EEENS1_30default_config_static_selectorELNS0_4arch9wavefront6targetE0EEEvS14_.numbered_sgpr, 0
	.set _ZN7rocprim17ROCPRIM_400000_NS6detail17trampoline_kernelINS0_14default_configENS1_22reduce_config_selectorIN6thrust23THRUST_200600_302600_NS5tupleIblNS6_9null_typeES8_S8_S8_S8_S8_S8_S8_EEEEZNS1_11reduce_implILb1ES3_NS6_12zip_iteratorINS7_INS6_11hip_rocprim26transform_input_iterator_tIbNSD_35transform_pair_of_input_iterators_tIbNS6_6detail15normal_iteratorINS6_10device_ptrIKfEEEESL_NS6_8equal_toIfEEEENSG_9not_fun_tINSD_8identityEEEEENSD_19counting_iterator_tIlEES8_S8_S8_S8_S8_S8_S8_S8_EEEEPS9_S9_NSD_9__find_if7functorIS9_EEEE10hipError_tPvRmT1_T2_T3_mT4_P12ihipStream_tbEUlT_E1_NS1_11comp_targetILNS1_3genE9ELNS1_11target_archE1100ELNS1_3gpuE3ELNS1_3repE0EEENS1_30default_config_static_selectorELNS0_4arch9wavefront6targetE0EEEvS14_.num_named_barrier, 0
	.set _ZN7rocprim17ROCPRIM_400000_NS6detail17trampoline_kernelINS0_14default_configENS1_22reduce_config_selectorIN6thrust23THRUST_200600_302600_NS5tupleIblNS6_9null_typeES8_S8_S8_S8_S8_S8_S8_EEEEZNS1_11reduce_implILb1ES3_NS6_12zip_iteratorINS7_INS6_11hip_rocprim26transform_input_iterator_tIbNSD_35transform_pair_of_input_iterators_tIbNS6_6detail15normal_iteratorINS6_10device_ptrIKfEEEESL_NS6_8equal_toIfEEEENSG_9not_fun_tINSD_8identityEEEEENSD_19counting_iterator_tIlEES8_S8_S8_S8_S8_S8_S8_S8_EEEEPS9_S9_NSD_9__find_if7functorIS9_EEEE10hipError_tPvRmT1_T2_T3_mT4_P12ihipStream_tbEUlT_E1_NS1_11comp_targetILNS1_3genE9ELNS1_11target_archE1100ELNS1_3gpuE3ELNS1_3repE0EEENS1_30default_config_static_selectorELNS0_4arch9wavefront6targetE0EEEvS14_.private_seg_size, 0
	.set _ZN7rocprim17ROCPRIM_400000_NS6detail17trampoline_kernelINS0_14default_configENS1_22reduce_config_selectorIN6thrust23THRUST_200600_302600_NS5tupleIblNS6_9null_typeES8_S8_S8_S8_S8_S8_S8_EEEEZNS1_11reduce_implILb1ES3_NS6_12zip_iteratorINS7_INS6_11hip_rocprim26transform_input_iterator_tIbNSD_35transform_pair_of_input_iterators_tIbNS6_6detail15normal_iteratorINS6_10device_ptrIKfEEEESL_NS6_8equal_toIfEEEENSG_9not_fun_tINSD_8identityEEEEENSD_19counting_iterator_tIlEES8_S8_S8_S8_S8_S8_S8_S8_EEEEPS9_S9_NSD_9__find_if7functorIS9_EEEE10hipError_tPvRmT1_T2_T3_mT4_P12ihipStream_tbEUlT_E1_NS1_11comp_targetILNS1_3genE9ELNS1_11target_archE1100ELNS1_3gpuE3ELNS1_3repE0EEENS1_30default_config_static_selectorELNS0_4arch9wavefront6targetE0EEEvS14_.uses_vcc, 0
	.set _ZN7rocprim17ROCPRIM_400000_NS6detail17trampoline_kernelINS0_14default_configENS1_22reduce_config_selectorIN6thrust23THRUST_200600_302600_NS5tupleIblNS6_9null_typeES8_S8_S8_S8_S8_S8_S8_EEEEZNS1_11reduce_implILb1ES3_NS6_12zip_iteratorINS7_INS6_11hip_rocprim26transform_input_iterator_tIbNSD_35transform_pair_of_input_iterators_tIbNS6_6detail15normal_iteratorINS6_10device_ptrIKfEEEESL_NS6_8equal_toIfEEEENSG_9not_fun_tINSD_8identityEEEEENSD_19counting_iterator_tIlEES8_S8_S8_S8_S8_S8_S8_S8_EEEEPS9_S9_NSD_9__find_if7functorIS9_EEEE10hipError_tPvRmT1_T2_T3_mT4_P12ihipStream_tbEUlT_E1_NS1_11comp_targetILNS1_3genE9ELNS1_11target_archE1100ELNS1_3gpuE3ELNS1_3repE0EEENS1_30default_config_static_selectorELNS0_4arch9wavefront6targetE0EEEvS14_.uses_flat_scratch, 0
	.set _ZN7rocprim17ROCPRIM_400000_NS6detail17trampoline_kernelINS0_14default_configENS1_22reduce_config_selectorIN6thrust23THRUST_200600_302600_NS5tupleIblNS6_9null_typeES8_S8_S8_S8_S8_S8_S8_EEEEZNS1_11reduce_implILb1ES3_NS6_12zip_iteratorINS7_INS6_11hip_rocprim26transform_input_iterator_tIbNSD_35transform_pair_of_input_iterators_tIbNS6_6detail15normal_iteratorINS6_10device_ptrIKfEEEESL_NS6_8equal_toIfEEEENSG_9not_fun_tINSD_8identityEEEEENSD_19counting_iterator_tIlEES8_S8_S8_S8_S8_S8_S8_S8_EEEEPS9_S9_NSD_9__find_if7functorIS9_EEEE10hipError_tPvRmT1_T2_T3_mT4_P12ihipStream_tbEUlT_E1_NS1_11comp_targetILNS1_3genE9ELNS1_11target_archE1100ELNS1_3gpuE3ELNS1_3repE0EEENS1_30default_config_static_selectorELNS0_4arch9wavefront6targetE0EEEvS14_.has_dyn_sized_stack, 0
	.set _ZN7rocprim17ROCPRIM_400000_NS6detail17trampoline_kernelINS0_14default_configENS1_22reduce_config_selectorIN6thrust23THRUST_200600_302600_NS5tupleIblNS6_9null_typeES8_S8_S8_S8_S8_S8_S8_EEEEZNS1_11reduce_implILb1ES3_NS6_12zip_iteratorINS7_INS6_11hip_rocprim26transform_input_iterator_tIbNSD_35transform_pair_of_input_iterators_tIbNS6_6detail15normal_iteratorINS6_10device_ptrIKfEEEESL_NS6_8equal_toIfEEEENSG_9not_fun_tINSD_8identityEEEEENSD_19counting_iterator_tIlEES8_S8_S8_S8_S8_S8_S8_S8_EEEEPS9_S9_NSD_9__find_if7functorIS9_EEEE10hipError_tPvRmT1_T2_T3_mT4_P12ihipStream_tbEUlT_E1_NS1_11comp_targetILNS1_3genE9ELNS1_11target_archE1100ELNS1_3gpuE3ELNS1_3repE0EEENS1_30default_config_static_selectorELNS0_4arch9wavefront6targetE0EEEvS14_.has_recursion, 0
	.set _ZN7rocprim17ROCPRIM_400000_NS6detail17trampoline_kernelINS0_14default_configENS1_22reduce_config_selectorIN6thrust23THRUST_200600_302600_NS5tupleIblNS6_9null_typeES8_S8_S8_S8_S8_S8_S8_EEEEZNS1_11reduce_implILb1ES3_NS6_12zip_iteratorINS7_INS6_11hip_rocprim26transform_input_iterator_tIbNSD_35transform_pair_of_input_iterators_tIbNS6_6detail15normal_iteratorINS6_10device_ptrIKfEEEESL_NS6_8equal_toIfEEEENSG_9not_fun_tINSD_8identityEEEEENSD_19counting_iterator_tIlEES8_S8_S8_S8_S8_S8_S8_S8_EEEEPS9_S9_NSD_9__find_if7functorIS9_EEEE10hipError_tPvRmT1_T2_T3_mT4_P12ihipStream_tbEUlT_E1_NS1_11comp_targetILNS1_3genE9ELNS1_11target_archE1100ELNS1_3gpuE3ELNS1_3repE0EEENS1_30default_config_static_selectorELNS0_4arch9wavefront6targetE0EEEvS14_.has_indirect_call, 0
	.section	.AMDGPU.csdata,"",@progbits
; Kernel info:
; codeLenInByte = 0
; TotalNumSgprs: 0
; NumVgprs: 0
; ScratchSize: 0
; MemoryBound: 0
; FloatMode: 240
; IeeeMode: 1
; LDSByteSize: 0 bytes/workgroup (compile time only)
; SGPRBlocks: 0
; VGPRBlocks: 0
; NumSGPRsForWavesPerEU: 1
; NumVGPRsForWavesPerEU: 1
; Occupancy: 16
; WaveLimiterHint : 0
; COMPUTE_PGM_RSRC2:SCRATCH_EN: 0
; COMPUTE_PGM_RSRC2:USER_SGPR: 6
; COMPUTE_PGM_RSRC2:TRAP_HANDLER: 0
; COMPUTE_PGM_RSRC2:TGID_X_EN: 1
; COMPUTE_PGM_RSRC2:TGID_Y_EN: 0
; COMPUTE_PGM_RSRC2:TGID_Z_EN: 0
; COMPUTE_PGM_RSRC2:TIDIG_COMP_CNT: 0
	.section	.text._ZN7rocprim17ROCPRIM_400000_NS6detail17trampoline_kernelINS0_14default_configENS1_22reduce_config_selectorIN6thrust23THRUST_200600_302600_NS5tupleIblNS6_9null_typeES8_S8_S8_S8_S8_S8_S8_EEEEZNS1_11reduce_implILb1ES3_NS6_12zip_iteratorINS7_INS6_11hip_rocprim26transform_input_iterator_tIbNSD_35transform_pair_of_input_iterators_tIbNS6_6detail15normal_iteratorINS6_10device_ptrIKfEEEESL_NS6_8equal_toIfEEEENSG_9not_fun_tINSD_8identityEEEEENSD_19counting_iterator_tIlEES8_S8_S8_S8_S8_S8_S8_S8_EEEEPS9_S9_NSD_9__find_if7functorIS9_EEEE10hipError_tPvRmT1_T2_T3_mT4_P12ihipStream_tbEUlT_E1_NS1_11comp_targetILNS1_3genE8ELNS1_11target_archE1030ELNS1_3gpuE2ELNS1_3repE0EEENS1_30default_config_static_selectorELNS0_4arch9wavefront6targetE0EEEvS14_,"axG",@progbits,_ZN7rocprim17ROCPRIM_400000_NS6detail17trampoline_kernelINS0_14default_configENS1_22reduce_config_selectorIN6thrust23THRUST_200600_302600_NS5tupleIblNS6_9null_typeES8_S8_S8_S8_S8_S8_S8_EEEEZNS1_11reduce_implILb1ES3_NS6_12zip_iteratorINS7_INS6_11hip_rocprim26transform_input_iterator_tIbNSD_35transform_pair_of_input_iterators_tIbNS6_6detail15normal_iteratorINS6_10device_ptrIKfEEEESL_NS6_8equal_toIfEEEENSG_9not_fun_tINSD_8identityEEEEENSD_19counting_iterator_tIlEES8_S8_S8_S8_S8_S8_S8_S8_EEEEPS9_S9_NSD_9__find_if7functorIS9_EEEE10hipError_tPvRmT1_T2_T3_mT4_P12ihipStream_tbEUlT_E1_NS1_11comp_targetILNS1_3genE8ELNS1_11target_archE1030ELNS1_3gpuE2ELNS1_3repE0EEENS1_30default_config_static_selectorELNS0_4arch9wavefront6targetE0EEEvS14_,comdat
	.protected	_ZN7rocprim17ROCPRIM_400000_NS6detail17trampoline_kernelINS0_14default_configENS1_22reduce_config_selectorIN6thrust23THRUST_200600_302600_NS5tupleIblNS6_9null_typeES8_S8_S8_S8_S8_S8_S8_EEEEZNS1_11reduce_implILb1ES3_NS6_12zip_iteratorINS7_INS6_11hip_rocprim26transform_input_iterator_tIbNSD_35transform_pair_of_input_iterators_tIbNS6_6detail15normal_iteratorINS6_10device_ptrIKfEEEESL_NS6_8equal_toIfEEEENSG_9not_fun_tINSD_8identityEEEEENSD_19counting_iterator_tIlEES8_S8_S8_S8_S8_S8_S8_S8_EEEEPS9_S9_NSD_9__find_if7functorIS9_EEEE10hipError_tPvRmT1_T2_T3_mT4_P12ihipStream_tbEUlT_E1_NS1_11comp_targetILNS1_3genE8ELNS1_11target_archE1030ELNS1_3gpuE2ELNS1_3repE0EEENS1_30default_config_static_selectorELNS0_4arch9wavefront6targetE0EEEvS14_ ; -- Begin function _ZN7rocprim17ROCPRIM_400000_NS6detail17trampoline_kernelINS0_14default_configENS1_22reduce_config_selectorIN6thrust23THRUST_200600_302600_NS5tupleIblNS6_9null_typeES8_S8_S8_S8_S8_S8_S8_EEEEZNS1_11reduce_implILb1ES3_NS6_12zip_iteratorINS7_INS6_11hip_rocprim26transform_input_iterator_tIbNSD_35transform_pair_of_input_iterators_tIbNS6_6detail15normal_iteratorINS6_10device_ptrIKfEEEESL_NS6_8equal_toIfEEEENSG_9not_fun_tINSD_8identityEEEEENSD_19counting_iterator_tIlEES8_S8_S8_S8_S8_S8_S8_S8_EEEEPS9_S9_NSD_9__find_if7functorIS9_EEEE10hipError_tPvRmT1_T2_T3_mT4_P12ihipStream_tbEUlT_E1_NS1_11comp_targetILNS1_3genE8ELNS1_11target_archE1030ELNS1_3gpuE2ELNS1_3repE0EEENS1_30default_config_static_selectorELNS0_4arch9wavefront6targetE0EEEvS14_
	.globl	_ZN7rocprim17ROCPRIM_400000_NS6detail17trampoline_kernelINS0_14default_configENS1_22reduce_config_selectorIN6thrust23THRUST_200600_302600_NS5tupleIblNS6_9null_typeES8_S8_S8_S8_S8_S8_S8_EEEEZNS1_11reduce_implILb1ES3_NS6_12zip_iteratorINS7_INS6_11hip_rocprim26transform_input_iterator_tIbNSD_35transform_pair_of_input_iterators_tIbNS6_6detail15normal_iteratorINS6_10device_ptrIKfEEEESL_NS6_8equal_toIfEEEENSG_9not_fun_tINSD_8identityEEEEENSD_19counting_iterator_tIlEES8_S8_S8_S8_S8_S8_S8_S8_EEEEPS9_S9_NSD_9__find_if7functorIS9_EEEE10hipError_tPvRmT1_T2_T3_mT4_P12ihipStream_tbEUlT_E1_NS1_11comp_targetILNS1_3genE8ELNS1_11target_archE1030ELNS1_3gpuE2ELNS1_3repE0EEENS1_30default_config_static_selectorELNS0_4arch9wavefront6targetE0EEEvS14_
	.p2align	8
	.type	_ZN7rocprim17ROCPRIM_400000_NS6detail17trampoline_kernelINS0_14default_configENS1_22reduce_config_selectorIN6thrust23THRUST_200600_302600_NS5tupleIblNS6_9null_typeES8_S8_S8_S8_S8_S8_S8_EEEEZNS1_11reduce_implILb1ES3_NS6_12zip_iteratorINS7_INS6_11hip_rocprim26transform_input_iterator_tIbNSD_35transform_pair_of_input_iterators_tIbNS6_6detail15normal_iteratorINS6_10device_ptrIKfEEEESL_NS6_8equal_toIfEEEENSG_9not_fun_tINSD_8identityEEEEENSD_19counting_iterator_tIlEES8_S8_S8_S8_S8_S8_S8_S8_EEEEPS9_S9_NSD_9__find_if7functorIS9_EEEE10hipError_tPvRmT1_T2_T3_mT4_P12ihipStream_tbEUlT_E1_NS1_11comp_targetILNS1_3genE8ELNS1_11target_archE1030ELNS1_3gpuE2ELNS1_3repE0EEENS1_30default_config_static_selectorELNS0_4arch9wavefront6targetE0EEEvS14_,@function
_ZN7rocprim17ROCPRIM_400000_NS6detail17trampoline_kernelINS0_14default_configENS1_22reduce_config_selectorIN6thrust23THRUST_200600_302600_NS5tupleIblNS6_9null_typeES8_S8_S8_S8_S8_S8_S8_EEEEZNS1_11reduce_implILb1ES3_NS6_12zip_iteratorINS7_INS6_11hip_rocprim26transform_input_iterator_tIbNSD_35transform_pair_of_input_iterators_tIbNS6_6detail15normal_iteratorINS6_10device_ptrIKfEEEESL_NS6_8equal_toIfEEEENSG_9not_fun_tINSD_8identityEEEEENSD_19counting_iterator_tIlEES8_S8_S8_S8_S8_S8_S8_S8_EEEEPS9_S9_NSD_9__find_if7functorIS9_EEEE10hipError_tPvRmT1_T2_T3_mT4_P12ihipStream_tbEUlT_E1_NS1_11comp_targetILNS1_3genE8ELNS1_11target_archE1030ELNS1_3gpuE2ELNS1_3repE0EEENS1_30default_config_static_selectorELNS0_4arch9wavefront6targetE0EEEvS14_: ; @_ZN7rocprim17ROCPRIM_400000_NS6detail17trampoline_kernelINS0_14default_configENS1_22reduce_config_selectorIN6thrust23THRUST_200600_302600_NS5tupleIblNS6_9null_typeES8_S8_S8_S8_S8_S8_S8_EEEEZNS1_11reduce_implILb1ES3_NS6_12zip_iteratorINS7_INS6_11hip_rocprim26transform_input_iterator_tIbNSD_35transform_pair_of_input_iterators_tIbNS6_6detail15normal_iteratorINS6_10device_ptrIKfEEEESL_NS6_8equal_toIfEEEENSG_9not_fun_tINSD_8identityEEEEENSD_19counting_iterator_tIlEES8_S8_S8_S8_S8_S8_S8_S8_EEEEPS9_S9_NSD_9__find_if7functorIS9_EEEE10hipError_tPvRmT1_T2_T3_mT4_P12ihipStream_tbEUlT_E1_NS1_11comp_targetILNS1_3genE8ELNS1_11target_archE1030ELNS1_3gpuE2ELNS1_3repE0EEENS1_30default_config_static_selectorELNS0_4arch9wavefront6targetE0EEEvS14_
; %bb.0:
	s_clause 0x4
	s_load_dword s25, s[4:5], 0x4
	s_load_dwordx4 s[16:19], s[4:5], 0x8
	s_load_dwordx4 s[12:15], s[4:5], 0x28
	s_load_dword s24, s[4:5], 0x40
	s_load_dwordx2 s[20:21], s[4:5], 0x48
	s_waitcnt lgkmcnt(0)
	s_cmp_lt_i32 s25, 4
	s_cbranch_scc1 .LBB94_21
; %bb.1:
	s_cmp_gt_i32 s25, 7
	s_cbranch_scc0 .LBB94_22
; %bb.2:
	s_cmp_eq_u32 s25, 8
	s_mov_b32 s26, 0
	s_cbranch_scc0 .LBB94_23
; %bb.3:
	s_mov_b32 s7, 0
	s_lshl_b32 s8, s6, 11
	s_mov_b32 s9, s7
	s_lshr_b64 s[2:3], s[14:15], 11
	s_lshl_b64 s[0:1], s[8:9], 2
	s_add_u32 s10, s16, s0
	s_addc_u32 s11, s17, s1
	s_add_u32 s22, s18, s0
	s_addc_u32 s23, s19, s1
	;; [unrolled: 2-line block ×3, first 2 shown]
	s_cmp_lg_u64 s[2:3], s[6:7]
	s_cbranch_scc0 .LBB94_44
; %bb.4:
	v_lshlrev_b32_e32 v1, 2, v0
	s_clause 0x3
	global_load_dword v13, v1, s[10:11]
	global_load_dword v14, v1, s[22:23]
	global_load_dword v15, v1, s[22:23] offset:1024
	global_load_dword v16, v1, s[10:11] offset:1024
	v_add_co_u32 v9, s0, s10, v1
	v_add_co_ci_u32_e64 v10, null, s11, 0, s0
	v_add_co_u32 v11, s0, s22, v1
	v_add_co_u32 v1, vcc_lo, 0x800, v9
	v_add_co_ci_u32_e64 v12, null, s23, 0, s0
	v_add_co_ci_u32_e64 v2, null, 0, v10, vcc_lo
	v_add_co_u32 v3, vcc_lo, v9, 0x1000
	v_add_co_ci_u32_e64 v4, null, 0, v10, vcc_lo
	v_add_co_u32 v5, vcc_lo, 0x800, v11
	;; [unrolled: 2-line block ×3, first 2 shown]
	global_load_dword v17, v[1:2], off offset:1024
	global_load_dword v18, v[5:6], off offset:1024
	v_add_co_ci_u32_e64 v8, null, 0, v12, vcc_lo
	v_add_co_u32 v1, vcc_lo, 0x1000, v9
	v_add_co_ci_u32_e64 v2, null, 0, v10, vcc_lo
	v_add_co_u32 v5, vcc_lo, 0x1000, v11
	v_add_co_ci_u32_e64 v6, null, 0, v12, vcc_lo
	s_clause 0x1
	global_load_dword v19, v[3:4], off offset:-2048
	global_load_dword v20, v[3:4], off
	s_clause 0x1
	global_load_dword v21, v[7:8], off offset:-2048
	global_load_dword v7, v[7:8], off
	global_load_dword v8, v[1:2], off offset:1024
	global_load_dword v5, v[5:6], off offset:1024
	v_add_co_u32 v1, vcc_lo, 0x1800, v11
	v_add_co_ci_u32_e64 v2, null, 0, v12, vcc_lo
	v_add_co_u32 v3, vcc_lo, 0x1800, v9
	v_add_co_ci_u32_e64 v4, null, 0, v10, vcc_lo
	global_load_dword v6, v[1:2], off
	s_clause 0x1
	global_load_dword v9, v[3:4], off
	global_load_dword v3, v[3:4], off offset:1024
	global_load_dword v1, v[1:2], off offset:1024
	v_mov_b32_e32 v2, 0x100
	v_mov_b32_e32 v4, 0x300
	;; [unrolled: 1-line block ×3, first 2 shown]
	s_waitcnt vmcnt(14)
	v_cmp_neq_f32_e64 s0, v13, v14
	s_waitcnt vmcnt(12)
	v_cmp_neq_f32_e32 vcc_lo, v16, v15
	v_cndmask_b32_e32 v2, 0x200, v2, vcc_lo
	s_or_b32 s3, s0, vcc_lo
	v_cndmask_b32_e64 v2, v2, 0, s0
	s_waitcnt vmcnt(10)
	v_cmp_neq_f32_e64 s0, v17, v18
	v_cndmask_b32_e64 v4, 0x400, v4, s0
	s_waitcnt vmcnt(7)
	v_cmp_neq_f32_e32 vcc_lo, v19, v21
	s_waitcnt vmcnt(6)
	v_cmp_neq_f32_e64 s1, v20, v7
	s_waitcnt vmcnt(4)
	v_cmp_neq_f32_e64 s2, v8, v5
	s_or_b32 vcc_lo, s3, vcc_lo
	v_cndmask_b32_e32 v2, v4, v2, vcc_lo
	v_cndmask_b32_e64 v5, 0x600, v10, s2
	s_or_b32 s0, vcc_lo, s0
	s_or_b32 s0, s0, s1
	s_waitcnt vmcnt(2)
	v_cmp_neq_f32_e32 vcc_lo, v9, v6
	v_cndmask_b32_e64 v2, v5, v2, s0
	s_or_b32 s0, s0, s2
	s_or_b32 vcc_lo, s0, vcc_lo
	v_add_co_u32 v4, s0, s28, v0
	v_cndmask_b32_e32 v2, 0x700, v2, vcc_lo
	v_add_co_ci_u32_e64 v5, null, s29, 0, s0
	s_waitcnt vmcnt(0)
	v_cmp_neq_f32_e64 s0, v3, v1
	v_add_co_u32 v1, s1, v4, v2
	v_add_co_ci_u32_e64 v2, null, 0, v5, s1
	s_or_b32 s0, vcc_lo, s0
	v_mov_b32_dpp v3, v1 quad_perm:[1,0,3,2] row_mask:0xf bank_mask:0xf
	v_cndmask_b32_e64 v5, 0, 1, s0
	v_mov_b32_dpp v4, v2 quad_perm:[1,0,3,2] row_mask:0xf bank_mask:0xf
	v_mov_b32_dpp v6, v5 quad_perm:[1,0,3,2] row_mask:0xf bank_mask:0xf
	v_cmp_lt_i64_e32 vcc_lo, v[1:2], v[3:4]
	v_and_b32_e32 v6, 1, v6
	s_and_b32 vcc_lo, s0, vcc_lo
	v_cndmask_b32_e32 v3, v3, v1, vcc_lo
	v_cndmask_b32_e32 v4, v4, v2, vcc_lo
	v_cmp_eq_u32_e32 vcc_lo, 1, v6
	v_cndmask_b32_e32 v2, v2, v4, vcc_lo
	v_cndmask_b32_e32 v1, v1, v3, vcc_lo
	v_cndmask_b32_e64 v5, v5, 1, vcc_lo
	v_mov_b32_dpp v4, v2 quad_perm:[2,3,0,1] row_mask:0xf bank_mask:0xf
	v_mov_b32_dpp v3, v1 quad_perm:[2,3,0,1] row_mask:0xf bank_mask:0xf
	v_and_b32_e32 v7, 1, v5
	v_mov_b32_dpp v6, v5 quad_perm:[2,3,0,1] row_mask:0xf bank_mask:0xf
	v_cmp_lt_i64_e32 vcc_lo, v[1:2], v[3:4]
	v_cmp_eq_u32_e64 s0, 1, v7
	v_and_b32_e32 v6, 1, v6
	s_and_b32 vcc_lo, s0, vcc_lo
	v_cmp_eq_u32_e64 s1, 1, v6
	v_cndmask_b32_e32 v3, v3, v1, vcc_lo
	v_cndmask_b32_e32 v4, v4, v2, vcc_lo
	v_cndmask_b32_e64 v5, v5, 1, s1
	v_cndmask_b32_e64 v1, v1, v3, s1
	;; [unrolled: 1-line block ×3, first 2 shown]
	v_and_b32_e32 v7, 1, v5
	v_mov_b32_dpp v3, v1 row_ror:4 row_mask:0xf bank_mask:0xf
	v_mov_b32_dpp v4, v2 row_ror:4 row_mask:0xf bank_mask:0xf
	;; [unrolled: 1-line block ×3, first 2 shown]
	v_cmp_eq_u32_e64 s0, 1, v7
	v_cmp_lt_i64_e32 vcc_lo, v[1:2], v[3:4]
	v_and_b32_e32 v6, 1, v6
	s_and_b32 vcc_lo, s0, vcc_lo
	v_cmp_eq_u32_e64 s1, 1, v6
	v_cndmask_b32_e32 v3, v3, v1, vcc_lo
	v_cndmask_b32_e32 v4, v4, v2, vcc_lo
	v_cndmask_b32_e64 v5, v5, 1, s1
	v_cndmask_b32_e64 v1, v1, v3, s1
	;; [unrolled: 1-line block ×3, first 2 shown]
	v_and_b32_e32 v7, 1, v5
	v_mov_b32_dpp v3, v1 row_ror:8 row_mask:0xf bank_mask:0xf
	v_mov_b32_dpp v4, v2 row_ror:8 row_mask:0xf bank_mask:0xf
	;; [unrolled: 1-line block ×3, first 2 shown]
	v_cmp_eq_u32_e64 s0, 1, v7
	v_cmp_lt_i64_e32 vcc_lo, v[1:2], v[3:4]
	v_and_b32_e32 v6, 1, v6
	s_and_b32 vcc_lo, s0, vcc_lo
	v_cmp_eq_u32_e64 s1, 1, v6
	v_cndmask_b32_e32 v3, v3, v1, vcc_lo
	v_cndmask_b32_e32 v4, v4, v2, vcc_lo
	v_cndmask_b32_e64 v5, v5, 1, s1
	v_cndmask_b32_e64 v1, v1, v3, s1
	;; [unrolled: 1-line block ×3, first 2 shown]
	ds_swizzle_b32 v6, v5 offset:swizzle(BROADCAST,32,15)
	ds_swizzle_b32 v3, v1 offset:swizzle(BROADCAST,32,15)
	;; [unrolled: 1-line block ×3, first 2 shown]
	v_and_b32_e32 v7, 1, v5
	v_cmp_eq_u32_e64 s0, 1, v7
	v_mbcnt_lo_u32_b32 v7, -1, 0
	s_waitcnt lgkmcnt(2)
	v_and_b32_e32 v6, 1, v6
	s_waitcnt lgkmcnt(0)
	v_cmp_lt_i64_e32 vcc_lo, v[1:2], v[3:4]
	v_cmp_eq_u32_e64 s1, 1, v6
	v_mov_b32_e32 v6, 0
	s_and_b32 vcc_lo, s0, vcc_lo
	s_mov_b32 s0, exec_lo
	v_cndmask_b32_e32 v3, v3, v1, vcc_lo
	v_cndmask_b32_e32 v4, v4, v2, vcc_lo
	v_cndmask_b32_e64 v5, v5, 1, s1
	v_cndmask_b32_e64 v1, v1, v3, s1
	;; [unrolled: 1-line block ×3, first 2 shown]
	ds_bpermute_b32 v17, v6, v5 offset:124
	ds_bpermute_b32 v1, v6, v1 offset:124
	ds_bpermute_b32 v2, v6, v2 offset:124
	v_cmpx_eq_u32_e32 0, v7
	s_cbranch_execz .LBB94_6
; %bb.5:
	v_lshrrev_b32_e32 v3, 1, v0
	v_and_b32_e32 v3, 0x70, v3
	s_waitcnt lgkmcnt(2)
	ds_write_b8 v3, v17 offset:384
	s_waitcnt lgkmcnt(1)
	ds_write_b64 v3, v[1:2] offset:392
.LBB94_6:
	s_or_b32 exec_lo, exec_lo, s0
	s_mov_b32 s0, exec_lo
	s_waitcnt lgkmcnt(0)
	s_barrier
	buffer_gl0_inv
	v_cmpx_gt_u32_e32 32, v0
	s_cbranch_execz .LBB94_20
; %bb.7:
	v_and_b32_e32 v8, 7, v7
	v_lshlrev_b32_e32 v1, 4, v8
	v_cmp_ne_u32_e32 vcc_lo, 7, v8
	ds_read_u8 v10, v1 offset:384
	ds_read_b64 v[3:4], v1 offset:392
	v_add_co_ci_u32_e64 v2, null, 0, v7, vcc_lo
	v_lshlrev_b32_e32 v2, 2, v2
	s_waitcnt lgkmcnt(1)
	v_and_b32_e32 v1, 0xff, v10
	s_waitcnt lgkmcnt(0)
	ds_bpermute_b32 v5, v2, v3
	ds_bpermute_b32 v6, v2, v4
	;; [unrolled: 1-line block ×3, first 2 shown]
	s_waitcnt lgkmcnt(0)
	v_and_b32_e32 v1, v10, v11
	v_and_b32_e32 v1, 1, v1
	v_cmp_eq_u32_e32 vcc_lo, 1, v1
                                        ; implicit-def: $vgpr1_vgpr2
	s_and_saveexec_b32 s1, vcc_lo
	s_xor_b32 s1, exec_lo, s1
; %bb.8:
	v_cmp_lt_i64_e32 vcc_lo, v[5:6], v[3:4]
                                        ; implicit-def: $vgpr10
                                        ; implicit-def: $vgpr11
	v_cndmask_b32_e32 v2, v4, v6, vcc_lo
	v_cndmask_b32_e32 v1, v3, v5, vcc_lo
                                        ; implicit-def: $vgpr5_vgpr6
                                        ; implicit-def: $vgpr3_vgpr4
; %bb.9:
	s_or_saveexec_b32 s1, s1
	v_mov_b32_e32 v9, 1
	s_xor_b32 exec_lo, exec_lo, s1
; %bb.10:
	v_and_b32_e32 v1, 1, v10
	v_and_b32_e32 v9, 0xff, v11
	v_cmp_eq_u32_e32 vcc_lo, 1, v1
	v_cndmask_b32_e32 v2, v6, v4, vcc_lo
	v_cndmask_b32_e32 v1, v5, v3, vcc_lo
	v_cndmask_b32_e64 v9, v9, 1, vcc_lo
; %bb.11:
	s_or_b32 exec_lo, exec_lo, s1
	v_cmp_gt_u32_e32 vcc_lo, 6, v8
	v_cndmask_b32_e64 v3, 0, 2, vcc_lo
	v_add_lshl_u32 v3, v3, v7, 2
	ds_bpermute_b32 v8, v3, v9
	ds_bpermute_b32 v5, v3, v1
	;; [unrolled: 1-line block ×3, first 2 shown]
	s_waitcnt lgkmcnt(2)
	v_and_b32_e32 v3, v9, v8
	v_and_b32_e32 v3, 1, v3
	v_cmp_eq_u32_e32 vcc_lo, 1, v3
                                        ; implicit-def: $vgpr3_vgpr4
	s_and_saveexec_b32 s1, vcc_lo
	s_xor_b32 s1, exec_lo, s1
	s_cbranch_execz .LBB94_13
; %bb.12:
	s_waitcnt lgkmcnt(0)
	v_cmp_lt_i64_e32 vcc_lo, v[5:6], v[1:2]
                                        ; implicit-def: $vgpr9
                                        ; implicit-def: $vgpr8
	v_cndmask_b32_e32 v4, v2, v6, vcc_lo
	v_cndmask_b32_e32 v3, v1, v5, vcc_lo
                                        ; implicit-def: $vgpr5_vgpr6
                                        ; implicit-def: $vgpr1_vgpr2
.LBB94_13:
	s_or_saveexec_b32 s1, s1
	v_lshlrev_b32_e32 v10, 2, v7
	v_mov_b32_e32 v7, 1
	s_xor_b32 exec_lo, exec_lo, s1
	s_cbranch_execz .LBB94_15
; %bb.14:
	v_and_b32_e32 v3, 1, v9
	v_and_b32_e32 v7, 0xff, v8
	v_cmp_eq_u32_e32 vcc_lo, 1, v3
	s_waitcnt lgkmcnt(0)
	v_cndmask_b32_e32 v4, v6, v2, vcc_lo
	v_cndmask_b32_e32 v3, v5, v1, vcc_lo
	v_cndmask_b32_e64 v7, v7, 1, vcc_lo
.LBB94_15:
	s_or_b32 exec_lo, exec_lo, s1
	v_or_b32_e32 v1, 16, v10
	ds_bpermute_b32 v8, v1, v7
	s_waitcnt lgkmcnt(2)
	ds_bpermute_b32 v5, v1, v3
	s_waitcnt lgkmcnt(2)
	;; [unrolled: 2-line block ×3, first 2 shown]
	v_and_b32_e32 v1, v7, v8
	v_and_b32_e32 v1, 1, v1
	v_cmp_eq_u32_e32 vcc_lo, 1, v1
                                        ; implicit-def: $vgpr1_vgpr2
	s_and_saveexec_b32 s1, vcc_lo
	s_xor_b32 s1, exec_lo, s1
	s_cbranch_execz .LBB94_17
; %bb.16:
	s_waitcnt lgkmcnt(0)
	v_cmp_lt_i64_e32 vcc_lo, v[5:6], v[3:4]
                                        ; implicit-def: $vgpr7
                                        ; implicit-def: $vgpr8
	v_cndmask_b32_e32 v2, v4, v6, vcc_lo
	v_cndmask_b32_e32 v1, v3, v5, vcc_lo
                                        ; implicit-def: $vgpr5_vgpr6
                                        ; implicit-def: $vgpr3_vgpr4
.LBB94_17:
	s_or_saveexec_b32 s1, s1
	v_mov_b32_e32 v17, 1
	s_xor_b32 exec_lo, exec_lo, s1
	s_cbranch_execz .LBB94_19
; %bb.18:
	v_and_b32_e32 v1, 1, v7
	v_cmp_eq_u32_e32 vcc_lo, 1, v1
	s_waitcnt lgkmcnt(0)
	v_cndmask_b32_e32 v2, v6, v4, vcc_lo
	v_cndmask_b32_e32 v1, v5, v3, vcc_lo
	v_cndmask_b32_e64 v17, v8, 1, vcc_lo
.LBB94_19:
	s_or_b32 exec_lo, exec_lo, s1
.LBB94_20:
	s_or_b32 exec_lo, exec_lo, s0
	s_branch .LBB94_167
.LBB94_21:
	s_mov_b32 s22, 0
                                        ; implicit-def: $vgpr3_vgpr4
                                        ; implicit-def: $vgpr5
                                        ; implicit-def: $vgpr1_vgpr2
	s_cbranch_execnz .LBB94_247
	s_branch .LBB94_356
.LBB94_22:
	s_mov_b32 s26, -1
.LBB94_23:
	s_mov_b32 s22, 0
                                        ; implicit-def: $vgpr3_vgpr4
                                        ; implicit-def: $vgpr5
                                        ; implicit-def: $vgpr1_vgpr2
	s_and_b32 vcc_lo, exec_lo, s26
	s_cbranch_vccz .LBB94_172
.LBB94_24:
	s_cmp_eq_u32 s25, 4
	s_cbranch_scc0 .LBB94_43
; %bb.25:
	s_mov_b32 s7, 0
	s_lshl_b32 s10, s6, 10
	s_mov_b32 s11, s7
	s_lshr_b64 s[26:27], s[14:15], 10
	s_lshl_b64 s[0:1], s[10:11], 2
	s_add_u32 s2, s16, s0
	s_addc_u32 s3, s17, s1
	s_add_u32 s8, s18, s0
	s_addc_u32 s9, s19, s1
	;; [unrolled: 2-line block ×3, first 2 shown]
	s_cmp_lg_u64 s[26:27], s[6:7]
	s_cbranch_scc0 .LBB94_67
; %bb.26:
	s_waitcnt lgkmcnt(1)
	v_lshlrev_b32_e32 v5, 2, v0
	v_add_co_u32 v1, s0, s2, v5
	v_add_co_ci_u32_e64 v2, null, s3, 0, s0
	v_add_co_u32 v3, s0, s8, v5
	s_waitcnt lgkmcnt(0)
	v_add_co_ci_u32_e64 v4, null, s9, 0, s0
	v_add_co_u32 v1, vcc_lo, 0x800, v1
	v_add_co_ci_u32_e64 v2, null, 0, v2, vcc_lo
	v_add_co_u32 v3, vcc_lo, 0x800, v3
	v_add_co_ci_u32_e64 v4, null, 0, v4, vcc_lo
	s_clause 0x3
	global_load_dword v6, v5, s[8:9] offset:1024
	global_load_dword v7, v5, s[2:3] offset:1024
	global_load_dword v8, v5, s[8:9]
	global_load_dword v5, v5, s[2:3]
	global_load_dword v9, v[3:4], off
	s_clause 0x1
	global_load_dword v10, v[1:2], off
	global_load_dword v1, v[1:2], off offset:1024
	global_load_dword v2, v[3:4], off offset:1024
	v_mov_b32_e32 v3, 0x100
	s_waitcnt vmcnt(6)
	v_cmp_neq_f32_e32 vcc_lo, v7, v6
	s_waitcnt vmcnt(4)
	v_cmp_neq_f32_e64 s0, v5, v8
	s_waitcnt vmcnt(2)
	v_cmp_neq_f32_e64 s1, v10, v9
	v_cndmask_b32_e32 v3, 0x200, v3, vcc_lo
	v_cndmask_b32_e64 v3, v3, 0, s0
	s_or_b32 s0, s0, vcc_lo
	s_or_b32 vcc_lo, s0, s1
	v_add_co_u32 v4, s0, s11, v0
	v_cndmask_b32_e32 v3, 0x300, v3, vcc_lo
	v_add_co_ci_u32_e64 v5, null, s23, 0, s0
	s_waitcnt vmcnt(0)
	v_cmp_neq_f32_e64 s0, v1, v2
	v_add_co_u32 v1, s1, v4, v3
	v_add_co_ci_u32_e64 v2, null, 0, v5, s1
	s_or_b32 s0, vcc_lo, s0
	v_mov_b32_dpp v3, v1 quad_perm:[1,0,3,2] row_mask:0xf bank_mask:0xf
	v_cndmask_b32_e64 v5, 0, 1, s0
	v_mov_b32_dpp v4, v2 quad_perm:[1,0,3,2] row_mask:0xf bank_mask:0xf
	v_mov_b32_dpp v6, v5 quad_perm:[1,0,3,2] row_mask:0xf bank_mask:0xf
	v_cmp_lt_i64_e32 vcc_lo, v[1:2], v[3:4]
	v_and_b32_e32 v6, 1, v6
	s_and_b32 vcc_lo, s0, vcc_lo
	v_cndmask_b32_e32 v3, v3, v1, vcc_lo
	v_cndmask_b32_e32 v4, v4, v2, vcc_lo
	v_cmp_eq_u32_e32 vcc_lo, 1, v6
	v_cndmask_b32_e32 v2, v2, v4, vcc_lo
	v_cndmask_b32_e32 v1, v1, v3, vcc_lo
	v_cndmask_b32_e64 v5, v5, 1, vcc_lo
	v_mov_b32_dpp v4, v2 quad_perm:[2,3,0,1] row_mask:0xf bank_mask:0xf
	v_mov_b32_dpp v3, v1 quad_perm:[2,3,0,1] row_mask:0xf bank_mask:0xf
	v_and_b32_e32 v7, 1, v5
	v_mov_b32_dpp v6, v5 quad_perm:[2,3,0,1] row_mask:0xf bank_mask:0xf
	v_cmp_lt_i64_e32 vcc_lo, v[1:2], v[3:4]
	v_cmp_eq_u32_e64 s0, 1, v7
	v_and_b32_e32 v6, 1, v6
	s_and_b32 vcc_lo, s0, vcc_lo
	v_cmp_eq_u32_e64 s1, 1, v6
	v_cndmask_b32_e32 v3, v3, v1, vcc_lo
	v_cndmask_b32_e32 v4, v4, v2, vcc_lo
	v_cndmask_b32_e64 v5, v5, 1, s1
	v_cndmask_b32_e64 v1, v1, v3, s1
	;; [unrolled: 1-line block ×3, first 2 shown]
	v_and_b32_e32 v7, 1, v5
	v_mov_b32_dpp v3, v1 row_ror:4 row_mask:0xf bank_mask:0xf
	v_mov_b32_dpp v4, v2 row_ror:4 row_mask:0xf bank_mask:0xf
	;; [unrolled: 1-line block ×3, first 2 shown]
	v_cmp_eq_u32_e64 s0, 1, v7
	v_cmp_lt_i64_e32 vcc_lo, v[1:2], v[3:4]
	v_and_b32_e32 v6, 1, v6
	s_and_b32 vcc_lo, s0, vcc_lo
	v_cmp_eq_u32_e64 s1, 1, v6
	v_cndmask_b32_e32 v3, v3, v1, vcc_lo
	v_cndmask_b32_e32 v4, v4, v2, vcc_lo
	v_cndmask_b32_e64 v5, v5, 1, s1
	v_cndmask_b32_e64 v1, v1, v3, s1
	;; [unrolled: 1-line block ×3, first 2 shown]
	v_and_b32_e32 v7, 1, v5
	v_mov_b32_dpp v3, v1 row_ror:8 row_mask:0xf bank_mask:0xf
	v_mov_b32_dpp v4, v2 row_ror:8 row_mask:0xf bank_mask:0xf
	;; [unrolled: 1-line block ×3, first 2 shown]
	v_cmp_eq_u32_e64 s0, 1, v7
	v_cmp_lt_i64_e32 vcc_lo, v[1:2], v[3:4]
	v_and_b32_e32 v6, 1, v6
	s_and_b32 vcc_lo, s0, vcc_lo
	v_cmp_eq_u32_e64 s1, 1, v6
	v_cndmask_b32_e32 v3, v3, v1, vcc_lo
	v_cndmask_b32_e32 v4, v4, v2, vcc_lo
	v_cndmask_b32_e64 v5, v5, 1, s1
	v_cndmask_b32_e64 v1, v1, v3, s1
	;; [unrolled: 1-line block ×3, first 2 shown]
	ds_swizzle_b32 v6, v5 offset:swizzle(BROADCAST,32,15)
	ds_swizzle_b32 v3, v1 offset:swizzle(BROADCAST,32,15)
	;; [unrolled: 1-line block ×3, first 2 shown]
	v_and_b32_e32 v7, 1, v5
	v_cmp_eq_u32_e64 s0, 1, v7
	v_mbcnt_lo_u32_b32 v7, -1, 0
	s_waitcnt lgkmcnt(2)
	v_and_b32_e32 v6, 1, v6
	s_waitcnt lgkmcnt(0)
	v_cmp_lt_i64_e32 vcc_lo, v[1:2], v[3:4]
	v_cmp_eq_u32_e64 s1, 1, v6
	v_mov_b32_e32 v6, 0
	s_and_b32 vcc_lo, s0, vcc_lo
	s_mov_b32 s0, exec_lo
	v_cndmask_b32_e32 v3, v3, v1, vcc_lo
	v_cndmask_b32_e32 v4, v4, v2, vcc_lo
	v_cndmask_b32_e64 v5, v5, 1, s1
	v_cndmask_b32_e64 v1, v1, v3, s1
	;; [unrolled: 1-line block ×3, first 2 shown]
	ds_bpermute_b32 v9, v6, v5 offset:124
	ds_bpermute_b32 v1, v6, v1 offset:124
	;; [unrolled: 1-line block ×3, first 2 shown]
	v_cmpx_eq_u32_e32 0, v7
	s_cbranch_execz .LBB94_28
; %bb.27:
	v_lshrrev_b32_e32 v3, 1, v0
	v_and_b32_e32 v3, 0x70, v3
	s_waitcnt lgkmcnt(2)
	ds_write_b8 v3, v9 offset:256
	s_waitcnt lgkmcnt(1)
	ds_write_b64 v3, v[1:2] offset:264
.LBB94_28:
	s_or_b32 exec_lo, exec_lo, s0
	s_mov_b32 s0, exec_lo
	s_waitcnt lgkmcnt(0)
	s_barrier
	buffer_gl0_inv
	v_cmpx_gt_u32_e32 32, v0
	s_cbranch_execz .LBB94_42
; %bb.29:
	v_and_b32_e32 v8, 7, v7
	v_lshlrev_b32_e32 v1, 4, v8
	v_cmp_ne_u32_e32 vcc_lo, 7, v8
	ds_read_u8 v10, v1 offset:256
	ds_read_b64 v[3:4], v1 offset:264
	v_add_co_ci_u32_e64 v2, null, 0, v7, vcc_lo
	v_lshlrev_b32_e32 v2, 2, v2
	s_waitcnt lgkmcnt(1)
	v_and_b32_e32 v1, 0xff, v10
	s_waitcnt lgkmcnt(0)
	ds_bpermute_b32 v5, v2, v3
	ds_bpermute_b32 v6, v2, v4
	ds_bpermute_b32 v11, v2, v1
	s_waitcnt lgkmcnt(0)
	v_and_b32_e32 v1, v10, v11
	v_and_b32_e32 v1, 1, v1
	v_cmp_eq_u32_e32 vcc_lo, 1, v1
                                        ; implicit-def: $vgpr1_vgpr2
	s_and_saveexec_b32 s1, vcc_lo
	s_xor_b32 s1, exec_lo, s1
; %bb.30:
	v_cmp_lt_i64_e32 vcc_lo, v[5:6], v[3:4]
                                        ; implicit-def: $vgpr10
                                        ; implicit-def: $vgpr11
	v_cndmask_b32_e32 v2, v4, v6, vcc_lo
	v_cndmask_b32_e32 v1, v3, v5, vcc_lo
                                        ; implicit-def: $vgpr5_vgpr6
                                        ; implicit-def: $vgpr3_vgpr4
; %bb.31:
	s_or_saveexec_b32 s1, s1
	v_mov_b32_e32 v9, 1
	s_xor_b32 exec_lo, exec_lo, s1
; %bb.32:
	v_and_b32_e32 v1, 1, v10
	v_and_b32_e32 v9, 0xff, v11
	v_cmp_eq_u32_e32 vcc_lo, 1, v1
	v_cndmask_b32_e32 v2, v6, v4, vcc_lo
	v_cndmask_b32_e32 v1, v5, v3, vcc_lo
	v_cndmask_b32_e64 v9, v9, 1, vcc_lo
; %bb.33:
	s_or_b32 exec_lo, exec_lo, s1
	v_cmp_gt_u32_e32 vcc_lo, 6, v8
	v_cndmask_b32_e64 v3, 0, 2, vcc_lo
	v_add_lshl_u32 v3, v3, v7, 2
	ds_bpermute_b32 v8, v3, v9
	ds_bpermute_b32 v5, v3, v1
	;; [unrolled: 1-line block ×3, first 2 shown]
	s_waitcnt lgkmcnt(2)
	v_and_b32_e32 v3, v9, v8
	v_and_b32_e32 v3, 1, v3
	v_cmp_eq_u32_e32 vcc_lo, 1, v3
                                        ; implicit-def: $vgpr3_vgpr4
	s_and_saveexec_b32 s1, vcc_lo
	s_xor_b32 s1, exec_lo, s1
	s_cbranch_execz .LBB94_35
; %bb.34:
	s_waitcnt lgkmcnt(0)
	v_cmp_lt_i64_e32 vcc_lo, v[5:6], v[1:2]
                                        ; implicit-def: $vgpr9
                                        ; implicit-def: $vgpr8
	v_cndmask_b32_e32 v4, v2, v6, vcc_lo
	v_cndmask_b32_e32 v3, v1, v5, vcc_lo
                                        ; implicit-def: $vgpr5_vgpr6
                                        ; implicit-def: $vgpr1_vgpr2
.LBB94_35:
	s_or_saveexec_b32 s1, s1
	v_lshlrev_b32_e32 v10, 2, v7
	v_mov_b32_e32 v7, 1
	s_xor_b32 exec_lo, exec_lo, s1
	s_cbranch_execz .LBB94_37
; %bb.36:
	v_and_b32_e32 v3, 1, v9
	v_and_b32_e32 v7, 0xff, v8
	v_cmp_eq_u32_e32 vcc_lo, 1, v3
	s_waitcnt lgkmcnt(0)
	v_cndmask_b32_e32 v4, v6, v2, vcc_lo
	v_cndmask_b32_e32 v3, v5, v1, vcc_lo
	v_cndmask_b32_e64 v7, v7, 1, vcc_lo
.LBB94_37:
	s_or_b32 exec_lo, exec_lo, s1
	v_or_b32_e32 v1, 16, v10
	ds_bpermute_b32 v8, v1, v7
	s_waitcnt lgkmcnt(2)
	ds_bpermute_b32 v5, v1, v3
	s_waitcnt lgkmcnt(2)
	;; [unrolled: 2-line block ×3, first 2 shown]
	v_and_b32_e32 v1, v7, v8
	v_and_b32_e32 v1, 1, v1
	v_cmp_eq_u32_e32 vcc_lo, 1, v1
                                        ; implicit-def: $vgpr1_vgpr2
	s_and_saveexec_b32 s1, vcc_lo
	s_xor_b32 s1, exec_lo, s1
	s_cbranch_execz .LBB94_39
; %bb.38:
	s_waitcnt lgkmcnt(0)
	v_cmp_lt_i64_e32 vcc_lo, v[5:6], v[3:4]
                                        ; implicit-def: $vgpr7
                                        ; implicit-def: $vgpr8
	v_cndmask_b32_e32 v2, v4, v6, vcc_lo
	v_cndmask_b32_e32 v1, v3, v5, vcc_lo
                                        ; implicit-def: $vgpr5_vgpr6
                                        ; implicit-def: $vgpr3_vgpr4
.LBB94_39:
	s_or_saveexec_b32 s1, s1
	v_mov_b32_e32 v9, 1
	s_xor_b32 exec_lo, exec_lo, s1
	s_cbranch_execz .LBB94_41
; %bb.40:
	v_and_b32_e32 v1, 1, v7
	v_cmp_eq_u32_e32 vcc_lo, 1, v1
	s_waitcnt lgkmcnt(0)
	v_cndmask_b32_e32 v2, v6, v4, vcc_lo
	v_cndmask_b32_e32 v1, v5, v3, vcc_lo
	v_cndmask_b32_e64 v9, v8, 1, vcc_lo
.LBB94_41:
	s_or_b32 exec_lo, exec_lo, s1
.LBB94_42:
	s_or_b32 exec_lo, exec_lo, s0
	s_branch .LBB94_242
.LBB94_43:
                                        ; implicit-def: $vgpr3_vgpr4
                                        ; implicit-def: $vgpr5
                                        ; implicit-def: $vgpr1_vgpr2
	s_branch .LBB94_356
.LBB94_44:
                                        ; implicit-def: $vgpr1_vgpr2
                                        ; implicit-def: $vgpr17
	s_cbranch_execz .LBB94_167
; %bb.45:
	v_mov_b32_e32 v15, 0
	v_mov_b32_e32 v1, 0
	;; [unrolled: 1-line block ×6, first 2 shown]
	s_sub_i32 s27, s14, s8
	s_mov_b32 s0, exec_lo
	v_cmpx_gt_u32_e64 s27, v0
	s_cbranch_execz .LBB94_47
; %bb.46:
	v_lshlrev_b32_e32 v1, 2, v0
	s_clause 0x1
	global_load_dword v3, v1, s[10:11]
	global_load_dword v4, v1, s[22:23]
	v_add_co_u32 v1, s1, s28, v0
	v_add_co_ci_u32_e64 v2, null, s29, 0, s1
	s_waitcnt vmcnt(0)
	v_cmp_neq_f32_e32 vcc_lo, v3, v4
	v_cndmask_b32_e64 v17, 0, 1, vcc_lo
.LBB94_47:
	s_or_b32 exec_lo, exec_lo, s0
	v_or_b32_e32 v3, 0x100, v0
	v_cmp_gt_u32_e64 s9, s27, v3
	s_and_saveexec_b32 s0, s9
	s_cbranch_execz .LBB94_49
; %bb.48:
	v_lshlrev_b32_e32 v4, 2, v0
	v_add_co_u32 v15, s1, s28, v3
	v_add_co_ci_u32_e64 v16, null, s29, 0, s1
	s_waitcnt lgkmcnt(1)
	s_clause 0x1
	global_load_dword v5, v4, s[10:11] offset:1024
	global_load_dword v4, v4, s[22:23] offset:1024
	s_waitcnt vmcnt(0)
	v_cmp_neq_f32_e32 vcc_lo, v5, v4
	v_cndmask_b32_e64 v24, 0, 1, vcc_lo
.LBB94_49:
	s_or_b32 exec_lo, exec_lo, s0
	v_or_b32_e32 v3, 0x200, v0
	v_mov_b32_e32 v11, 0
	v_mov_b32_e32 v13, 0
	;; [unrolled: 1-line block ×5, first 2 shown]
	v_cmp_gt_u32_e64 s8, s27, v3
	v_mov_b32_e32 v23, 0
	s_and_saveexec_b32 s0, s8
	s_cbranch_execz .LBB94_51
; %bb.50:
	v_lshlrev_b32_e32 v4, 2, v3
	v_add_co_u32 v13, s1, s28, v3
	v_add_co_ci_u32_e64 v14, null, s29, 0, s1
	s_waitcnt lgkmcnt(1)
	s_clause 0x1
	global_load_dword v5, v4, s[10:11]
	global_load_dword v4, v4, s[22:23]
	s_waitcnt vmcnt(0)
	v_cmp_neq_f32_e32 vcc_lo, v5, v4
	v_cndmask_b32_e64 v23, 0, 1, vcc_lo
.LBB94_51:
	s_or_b32 exec_lo, exec_lo, s0
	v_or_b32_e32 v3, 0x300, v0
	v_cmp_gt_u32_e64 s3, s27, v3
	s_and_saveexec_b32 s0, s3
	s_cbranch_execz .LBB94_53
; %bb.52:
	v_lshlrev_b32_e32 v4, 2, v3
	v_add_co_u32 v11, s1, s28, v3
	v_add_co_ci_u32_e64 v12, null, s29, 0, s1
	s_waitcnt lgkmcnt(1)
	s_clause 0x1
	global_load_dword v5, v4, s[10:11]
	global_load_dword v4, v4, s[22:23]
	s_waitcnt vmcnt(0)
	v_cmp_neq_f32_e32 vcc_lo, v5, v4
	v_cndmask_b32_e64 v22, 0, 1, vcc_lo
.LBB94_53:
	s_or_b32 exec_lo, exec_lo, s0
	v_or_b32_e32 v3, 0x400, v0
	v_mov_b32_e32 v7, 0
	v_mov_b32_e32 v9, 0
	;; [unrolled: 1-line block ×5, first 2 shown]
	v_cmp_gt_u32_e64 s2, s27, v3
	v_mov_b32_e32 v21, 0
	s_and_saveexec_b32 s0, s2
	s_cbranch_execz .LBB94_55
; %bb.54:
	v_lshlrev_b32_e32 v4, 2, v3
	v_add_co_u32 v9, s1, s28, v3
	v_add_co_ci_u32_e64 v10, null, s29, 0, s1
	s_waitcnt lgkmcnt(1)
	s_clause 0x1
	global_load_dword v5, v4, s[10:11]
	global_load_dword v4, v4, s[22:23]
	s_waitcnt vmcnt(0)
	v_cmp_neq_f32_e32 vcc_lo, v5, v4
	v_cndmask_b32_e64 v21, 0, 1, vcc_lo
.LBB94_55:
	s_or_b32 exec_lo, exec_lo, s0
	v_or_b32_e32 v3, 0x500, v0
	v_cmp_gt_u32_e64 s1, s27, v3
	s_and_saveexec_b32 s0, s1
	s_cbranch_execz .LBB94_57
; %bb.56:
	v_lshlrev_b32_e32 v4, 2, v3
	v_add_co_u32 v7, s30, s28, v3
	v_add_co_ci_u32_e64 v8, null, s29, 0, s30
	s_waitcnt lgkmcnt(1)
	s_clause 0x1
	global_load_dword v5, v4, s[10:11]
	global_load_dword v4, v4, s[22:23]
	s_waitcnt vmcnt(0)
	v_cmp_neq_f32_e32 vcc_lo, v5, v4
	v_cndmask_b32_e64 v20, 0, 1, vcc_lo
.LBB94_57:
	s_or_b32 exec_lo, exec_lo, s0
	v_or_b32_e32 v25, 0x600, v0
	v_mov_b32_e32 v3, 0
	s_waitcnt lgkmcnt(0)
	v_mov_b32_e32 v5, 0
	v_mov_b32_e32 v4, 0
	;; [unrolled: 1-line block ×4, first 2 shown]
	v_cmp_gt_u32_e64 s0, s27, v25
	v_mov_b32_e32 v19, 0
	s_and_saveexec_b32 s30, s0
	s_cbranch_execz .LBB94_59
; %bb.58:
	v_lshlrev_b32_e32 v5, 2, v25
	s_clause 0x1
	global_load_dword v19, v5, s[10:11]
	global_load_dword v26, v5, s[22:23]
	v_add_co_u32 v5, s31, s28, v25
	v_add_co_ci_u32_e64 v6, null, s29, 0, s31
	s_waitcnt vmcnt(0)
	v_cmp_neq_f32_e32 vcc_lo, v19, v26
	v_cndmask_b32_e64 v19, 0, 1, vcc_lo
.LBB94_59:
	s_or_b32 exec_lo, exec_lo, s30
	v_or_b32_e32 v25, 0x700, v0
	v_cmp_gt_u32_e32 vcc_lo, s27, v25
	s_and_saveexec_b32 s30, vcc_lo
	s_cbranch_execnz .LBB94_78
; %bb.60:
	s_or_b32 exec_lo, exec_lo, s30
	s_and_saveexec_b32 s11, s9
	s_cbranch_execnz .LBB94_79
.LBB94_61:
	s_or_b32 exec_lo, exec_lo, s11
	s_and_saveexec_b32 s10, s8
	s_cbranch_execnz .LBB94_84
.LBB94_62:
	s_or_b32 exec_lo, exec_lo, s10
	s_and_saveexec_b32 s9, s3
	s_cbranch_execnz .LBB94_89
.LBB94_63:
	s_or_b32 exec_lo, exec_lo, s9
	s_and_saveexec_b32 s8, s2
	s_cbranch_execnz .LBB94_94
.LBB94_64:
	s_or_b32 exec_lo, exec_lo, s8
	s_and_saveexec_b32 s3, s1
	s_cbranch_execnz .LBB94_99
.LBB94_65:
	s_or_b32 exec_lo, exec_lo, s3
	s_and_saveexec_b32 s2, s0
	s_cbranch_execnz .LBB94_104
.LBB94_66:
	s_or_b32 exec_lo, exec_lo, s2
	s_and_saveexec_b32 s1, vcc_lo
	s_cbranch_execnz .LBB94_109
	s_branch .LBB94_114
.LBB94_67:
                                        ; implicit-def: $vgpr1_vgpr2
                                        ; implicit-def: $vgpr9
	s_cbranch_execz .LBB94_242
; %bb.68:
	v_mov_b32_e32 v7, 0
	v_mov_b32_e32 v1, 0
	;; [unrolled: 1-line block ×6, first 2 shown]
	s_sub_i32 s10, s14, s10
	s_mov_b32 s0, exec_lo
	v_cmpx_gt_u32_e64 s10, v0
	s_cbranch_execz .LBB94_70
; %bb.69:
	v_lshlrev_b32_e32 v1, 2, v0
	s_waitcnt lgkmcnt(1)
	global_load_dword v3, v1, s[2:3]
	s_waitcnt lgkmcnt(0)
	global_load_dword v4, v1, s[8:9]
	v_add_co_u32 v1, s1, s11, v0
	v_add_co_ci_u32_e64 v2, null, s23, 0, s1
	s_waitcnt vmcnt(0)
	v_cmp_neq_f32_e32 vcc_lo, v3, v4
	v_cndmask_b32_e64 v9, 0, 1, vcc_lo
.LBB94_70:
	s_or_b32 exec_lo, exec_lo, s0
	s_waitcnt lgkmcnt(1)
	v_or_b32_e32 v3, 0x100, v0
	v_cmp_gt_u32_e64 s1, s10, v3
	s_and_saveexec_b32 s0, s1
	s_cbranch_execz .LBB94_72
; %bb.71:
	s_waitcnt lgkmcnt(0)
	v_lshlrev_b32_e32 v4, 2, v0
	v_add_co_u32 v7, s26, s11, v3
	v_add_co_ci_u32_e64 v8, null, s23, 0, s26
	s_clause 0x1
	global_load_dword v5, v4, s[2:3] offset:1024
	global_load_dword v4, v4, s[8:9] offset:1024
	s_waitcnt vmcnt(0)
	v_cmp_neq_f32_e32 vcc_lo, v5, v4
	v_cndmask_b32_e64 v12, 0, 1, vcc_lo
.LBB94_72:
	s_or_b32 exec_lo, exec_lo, s0
	v_or_b32_e32 v13, 0x200, v0
	s_waitcnt lgkmcnt(0)
	v_mov_b32_e32 v3, 0
	v_mov_b32_e32 v5, 0
	;; [unrolled: 1-line block ×5, first 2 shown]
	v_cmp_gt_u32_e64 s0, s10, v13
	v_mov_b32_e32 v11, 0
	s_and_saveexec_b32 s26, s0
	s_cbranch_execz .LBB94_74
; %bb.73:
	v_lshlrev_b32_e32 v5, 2, v13
	s_clause 0x1
	global_load_dword v11, v5, s[2:3]
	global_load_dword v14, v5, s[8:9]
	v_add_co_u32 v5, s27, s11, v13
	v_add_co_ci_u32_e64 v6, null, s23, 0, s27
	s_waitcnt vmcnt(0)
	v_cmp_neq_f32_e32 vcc_lo, v11, v14
	v_cndmask_b32_e64 v11, 0, 1, vcc_lo
.LBB94_74:
	s_or_b32 exec_lo, exec_lo, s26
	v_or_b32_e32 v13, 0x300, v0
	v_cmp_gt_u32_e32 vcc_lo, s10, v13
	s_and_saveexec_b32 s26, vcc_lo
	s_cbranch_execnz .LBB94_173
; %bb.75:
	s_or_b32 exec_lo, exec_lo, s26
	s_and_saveexec_b32 s3, s1
	s_cbranch_execnz .LBB94_174
.LBB94_76:
	s_or_b32 exec_lo, exec_lo, s3
	s_and_saveexec_b32 s2, s0
	s_cbranch_execnz .LBB94_179
.LBB94_77:
	s_or_b32 exec_lo, exec_lo, s2
	s_and_saveexec_b32 s1, vcc_lo
	s_cbranch_execnz .LBB94_184
	s_branch .LBB94_189
.LBB94_78:
	v_lshlrev_b32_e32 v3, 2, v25
	s_clause 0x1
	global_load_dword v18, v3, s[10:11]
	global_load_dword v26, v3, s[22:23]
	v_add_co_u32 v3, s10, s28, v25
	v_add_co_ci_u32_e64 v4, null, s29, 0, s10
	s_waitcnt vmcnt(0)
	v_cmp_neq_f32_e64 s10, v18, v26
	v_cndmask_b32_e64 v18, 0, 1, s10
	s_or_b32 exec_lo, exec_lo, s30
	s_and_saveexec_b32 s11, s9
	s_cbranch_execz .LBB94_61
.LBB94_79:
	v_and_b32_e32 v17, 1, v17
	v_and_b32_e32 v25, 1, v24
	v_cmp_eq_u32_e64 s9, 1, v17
	v_cmp_eq_u32_e64 s10, 1, v25
                                        ; implicit-def: $vgpr17
	s_and_b32 s10, s9, s10
	s_xor_b32 s10, s10, -1
	s_and_saveexec_b32 s22, s10
	s_xor_b32 s10, exec_lo, s22
; %bb.80:
	v_and_b32_e32 v17, 0xffff, v24
	v_cndmask_b32_e64 v2, v16, v2, s9
	v_cndmask_b32_e64 v1, v15, v1, s9
                                        ; implicit-def: $vgpr15_vgpr16
	v_cndmask_b32_e64 v17, v17, 1, s9
; %bb.81:
	s_andn2_saveexec_b32 s10, s10
; %bb.82:
	v_cmp_lt_i64_e64 s9, v[15:16], v[1:2]
	v_mov_b32_e32 v17, 1
	v_cndmask_b32_e64 v2, v2, v16, s9
	v_cndmask_b32_e64 v1, v1, v15, s9
; %bb.83:
	s_or_b32 exec_lo, exec_lo, s10
	s_or_b32 exec_lo, exec_lo, s11
	s_and_saveexec_b32 s10, s8
	s_cbranch_execz .LBB94_62
.LBB94_84:
	v_and_b32_e32 v15, 1, v17
	v_and_b32_e32 v16, 1, v23
                                        ; implicit-def: $vgpr17
	v_cmp_eq_u32_e64 s8, 1, v15
	v_cmp_eq_u32_e64 s9, 1, v16
	s_and_b32 s9, s8, s9
	s_xor_b32 s9, s9, -1
	s_and_saveexec_b32 s11, s9
	s_xor_b32 s9, exec_lo, s11
; %bb.85:
	v_and_b32_e32 v15, 0xffff, v23
	v_cndmask_b32_e64 v2, v14, v2, s8
	v_cndmask_b32_e64 v1, v13, v1, s8
                                        ; implicit-def: $vgpr13_vgpr14
	v_cndmask_b32_e64 v17, v15, 1, s8
; %bb.86:
	s_andn2_saveexec_b32 s9, s9
; %bb.87:
	v_cmp_lt_i64_e64 s8, v[13:14], v[1:2]
	v_mov_b32_e32 v17, 1
	v_cndmask_b32_e64 v2, v2, v14, s8
	v_cndmask_b32_e64 v1, v1, v13, s8
; %bb.88:
	s_or_b32 exec_lo, exec_lo, s9
	s_or_b32 exec_lo, exec_lo, s10
	s_and_saveexec_b32 s9, s3
	s_cbranch_execz .LBB94_63
.LBB94_89:
	v_and_b32_e32 v13, 1, v17
	v_and_b32_e32 v14, 1, v22
                                        ; implicit-def: $vgpr17
	v_cmp_eq_u32_e64 s3, 1, v13
	v_cmp_eq_u32_e64 s8, 1, v14
	s_and_b32 s8, s3, s8
	s_xor_b32 s8, s8, -1
	s_and_saveexec_b32 s10, s8
	s_xor_b32 s8, exec_lo, s10
; %bb.90:
	v_and_b32_e32 v13, 0xffff, v22
	v_cndmask_b32_e64 v2, v12, v2, s3
	v_cndmask_b32_e64 v1, v11, v1, s3
                                        ; implicit-def: $vgpr11_vgpr12
	v_cndmask_b32_e64 v17, v13, 1, s3
; %bb.91:
	s_andn2_saveexec_b32 s8, s8
; %bb.92:
	v_cmp_lt_i64_e64 s3, v[11:12], v[1:2]
	v_mov_b32_e32 v17, 1
	v_cndmask_b32_e64 v2, v2, v12, s3
	v_cndmask_b32_e64 v1, v1, v11, s3
; %bb.93:
	s_or_b32 exec_lo, exec_lo, s8
	s_or_b32 exec_lo, exec_lo, s9
	s_and_saveexec_b32 s8, s2
	s_cbranch_execz .LBB94_64
.LBB94_94:
	v_and_b32_e32 v11, 1, v17
	v_and_b32_e32 v12, 1, v21
                                        ; implicit-def: $vgpr17
	v_cmp_eq_u32_e64 s2, 1, v11
	v_cmp_eq_u32_e64 s3, 1, v12
	s_and_b32 s3, s2, s3
	s_xor_b32 s3, s3, -1
	s_and_saveexec_b32 s9, s3
	s_xor_b32 s3, exec_lo, s9
; %bb.95:
	v_and_b32_e32 v11, 0xffff, v21
	v_cndmask_b32_e64 v2, v10, v2, s2
	v_cndmask_b32_e64 v1, v9, v1, s2
                                        ; implicit-def: $vgpr9_vgpr10
	v_cndmask_b32_e64 v17, v11, 1, s2
; %bb.96:
	s_andn2_saveexec_b32 s3, s3
; %bb.97:
	v_cmp_lt_i64_e64 s2, v[9:10], v[1:2]
	v_mov_b32_e32 v17, 1
	v_cndmask_b32_e64 v2, v2, v10, s2
	v_cndmask_b32_e64 v1, v1, v9, s2
; %bb.98:
	s_or_b32 exec_lo, exec_lo, s3
	s_or_b32 exec_lo, exec_lo, s8
	s_and_saveexec_b32 s3, s1
	s_cbranch_execz .LBB94_65
.LBB94_99:
	v_and_b32_e32 v9, 1, v17
	v_and_b32_e32 v10, 1, v20
                                        ; implicit-def: $vgpr17
	v_cmp_eq_u32_e64 s1, 1, v9
	v_cmp_eq_u32_e64 s2, 1, v10
	s_and_b32 s2, s1, s2
	s_xor_b32 s2, s2, -1
	s_and_saveexec_b32 s8, s2
	s_xor_b32 s2, exec_lo, s8
; %bb.100:
	v_and_b32_e32 v9, 0xffff, v20
	v_cndmask_b32_e64 v2, v8, v2, s1
	v_cndmask_b32_e64 v1, v7, v1, s1
                                        ; implicit-def: $vgpr7_vgpr8
	v_cndmask_b32_e64 v17, v9, 1, s1
; %bb.101:
	s_andn2_saveexec_b32 s2, s2
; %bb.102:
	v_cmp_lt_i64_e64 s1, v[7:8], v[1:2]
	v_mov_b32_e32 v17, 1
	v_cndmask_b32_e64 v2, v2, v8, s1
	v_cndmask_b32_e64 v1, v1, v7, s1
; %bb.103:
	s_or_b32 exec_lo, exec_lo, s2
	s_or_b32 exec_lo, exec_lo, s3
	s_and_saveexec_b32 s2, s0
	s_cbranch_execz .LBB94_66
.LBB94_104:
	v_and_b32_e32 v7, 1, v17
	v_and_b32_e32 v8, 1, v19
                                        ; implicit-def: $vgpr17
	v_cmp_eq_u32_e64 s0, 1, v7
	v_cmp_eq_u32_e64 s1, 1, v8
	s_and_b32 s1, s0, s1
	s_xor_b32 s1, s1, -1
	s_and_saveexec_b32 s3, s1
	s_xor_b32 s1, exec_lo, s3
; %bb.105:
	v_and_b32_e32 v7, 0xffff, v19
	v_cndmask_b32_e64 v2, v6, v2, s0
	v_cndmask_b32_e64 v1, v5, v1, s0
                                        ; implicit-def: $vgpr5_vgpr6
	v_cndmask_b32_e64 v17, v7, 1, s0
; %bb.106:
	s_andn2_saveexec_b32 s1, s1
; %bb.107:
	v_cmp_lt_i64_e64 s0, v[5:6], v[1:2]
	v_mov_b32_e32 v17, 1
	v_cndmask_b32_e64 v2, v2, v6, s0
	v_cndmask_b32_e64 v1, v1, v5, s0
; %bb.108:
	s_or_b32 exec_lo, exec_lo, s1
	s_or_b32 exec_lo, exec_lo, s2
	s_and_saveexec_b32 s1, vcc_lo
	s_cbranch_execz .LBB94_114
.LBB94_109:
	v_and_b32_e32 v5, 1, v17
	v_and_b32_e32 v6, 1, v18
                                        ; implicit-def: $vgpr17
	v_cmp_eq_u32_e32 vcc_lo, 1, v5
	v_cmp_eq_u32_e64 s0, 1, v6
	s_and_b32 s0, vcc_lo, s0
	s_xor_b32 s0, s0, -1
	s_and_saveexec_b32 s2, s0
	s_xor_b32 s0, exec_lo, s2
; %bb.110:
	v_and_b32_e32 v5, 0xffff, v18
	v_cndmask_b32_e32 v2, v4, v2, vcc_lo
	v_cndmask_b32_e32 v1, v3, v1, vcc_lo
                                        ; implicit-def: $vgpr3_vgpr4
	v_cndmask_b32_e64 v17, v5, 1, vcc_lo
; %bb.111:
	s_andn2_saveexec_b32 s0, s0
; %bb.112:
	v_cmp_lt_i64_e32 vcc_lo, v[3:4], v[1:2]
	v_mov_b32_e32 v17, 1
	v_cndmask_b32_e32 v2, v2, v4, vcc_lo
	v_cndmask_b32_e32 v1, v1, v3, vcc_lo
; %bb.113:
	s_or_b32 exec_lo, exec_lo, s0
.LBB94_114:
	s_or_b32 exec_lo, exec_lo, s1
	v_mbcnt_lo_u32_b32 v5, -1, 0
	v_and_b32_e32 v6, 0xe0, v0
	s_min_u32 s0, s27, 0x100
	s_mov_b32 s1, exec_lo
	v_cmp_ne_u32_e32 vcc_lo, 31, v5
	v_sub_nc_u32_e64 v6, s0, v6 clamp
	v_add_nc_u32_e32 v8, 1, v5
	v_add_co_ci_u32_e64 v3, null, 0, v5, vcc_lo
	v_lshlrev_b32_e32 v4, 2, v3
	ds_bpermute_b32 v7, v4, v17
	ds_bpermute_b32 v3, v4, v1
	;; [unrolled: 1-line block ×3, first 2 shown]
	v_cmpx_lt_u32_e64 v8, v6
	s_xor_b32 s1, exec_lo, s1
	s_cbranch_execz .LBB94_120
; %bb.115:
	s_waitcnt lgkmcnt(2)
	v_and_b32_e32 v8, v7, v17
	s_mov_b32 s2, exec_lo
	v_cmpx_ne_u32_e32 0, v8
	s_xor_b32 s2, exec_lo, s2
	s_cbranch_execz .LBB94_117
; %bb.116:
	s_waitcnt lgkmcnt(0)
	v_cmp_lt_i64_e32 vcc_lo, v[3:4], v[1:2]
                                        ; implicit-def: $vgpr17
                                        ; implicit-def: $vgpr7
	v_cndmask_b32_e32 v2, v2, v4, vcc_lo
	v_cndmask_b32_e32 v1, v1, v3, vcc_lo
                                        ; implicit-def: $vgpr3_vgpr4
.LBB94_117:
	s_or_saveexec_b32 s2, s2
	v_mov_b32_e32 v8, 1
	s_xor_b32 exec_lo, exec_lo, s2
	s_cbranch_execz .LBB94_119
; %bb.118:
	v_and_b32_e32 v8, 1, v17
	v_and_b32_e32 v7, 0xff, v7
	v_cmp_eq_u32_e32 vcc_lo, 1, v8
	s_waitcnt lgkmcnt(0)
	v_cndmask_b32_e32 v2, v4, v2, vcc_lo
	v_cndmask_b32_e32 v1, v3, v1, vcc_lo
	v_cndmask_b32_e64 v8, v7, 1, vcc_lo
.LBB94_119:
	s_or_b32 exec_lo, exec_lo, s2
	v_mov_b32_e32 v17, v8
.LBB94_120:
	s_or_b32 exec_lo, exec_lo, s1
	v_cmp_gt_u32_e32 vcc_lo, 30, v5
	v_add_nc_u32_e32 v8, 2, v5
	s_mov_b32 s1, exec_lo
	s_waitcnt lgkmcnt(1)
	v_cndmask_b32_e64 v3, 0, 2, vcc_lo
	s_waitcnt lgkmcnt(0)
	v_add_lshl_u32 v4, v3, v5, 2
	ds_bpermute_b32 v7, v4, v17
	ds_bpermute_b32 v3, v4, v1
	ds_bpermute_b32 v4, v4, v2
	v_cmpx_lt_u32_e64 v8, v6
	s_cbranch_execz .LBB94_126
; %bb.121:
	s_waitcnt lgkmcnt(2)
	v_and_b32_e32 v8, v17, v7
	s_mov_b32 s2, exec_lo
	v_and_b32_e32 v8, 1, v8
	v_cmpx_eq_u32_e32 1, v8
	s_xor_b32 s2, exec_lo, s2
	s_cbranch_execz .LBB94_123
; %bb.122:
	s_waitcnt lgkmcnt(0)
	v_cmp_lt_i64_e32 vcc_lo, v[3:4], v[1:2]
                                        ; implicit-def: $vgpr17
                                        ; implicit-def: $vgpr7
	v_cndmask_b32_e32 v2, v2, v4, vcc_lo
	v_cndmask_b32_e32 v1, v1, v3, vcc_lo
                                        ; implicit-def: $vgpr3_vgpr4
.LBB94_123:
	s_or_saveexec_b32 s2, s2
	v_mov_b32_e32 v8, 1
	s_xor_b32 exec_lo, exec_lo, s2
	s_cbranch_execz .LBB94_125
; %bb.124:
	v_and_b32_e32 v8, 1, v17
	v_and_b32_e32 v7, 0xff, v7
	v_cmp_eq_u32_e32 vcc_lo, 1, v8
	s_waitcnt lgkmcnt(0)
	v_cndmask_b32_e32 v2, v4, v2, vcc_lo
	v_cndmask_b32_e32 v1, v3, v1, vcc_lo
	v_cndmask_b32_e64 v8, v7, 1, vcc_lo
.LBB94_125:
	s_or_b32 exec_lo, exec_lo, s2
	v_mov_b32_e32 v17, v8
.LBB94_126:
	s_or_b32 exec_lo, exec_lo, s1
	v_cmp_gt_u32_e32 vcc_lo, 28, v5
	v_add_nc_u32_e32 v8, 4, v5
	s_mov_b32 s1, exec_lo
	s_waitcnt lgkmcnt(1)
	v_cndmask_b32_e64 v3, 0, 4, vcc_lo
	s_waitcnt lgkmcnt(0)
	v_add_lshl_u32 v4, v3, v5, 2
	ds_bpermute_b32 v7, v4, v17
	ds_bpermute_b32 v3, v4, v1
	ds_bpermute_b32 v4, v4, v2
	v_cmpx_lt_u32_e64 v8, v6
	s_cbranch_execz .LBB94_132
; %bb.127:
	s_waitcnt lgkmcnt(2)
	v_and_b32_e32 v8, v17, v7
	s_mov_b32 s2, exec_lo
	v_and_b32_e32 v8, 1, v8
	v_cmpx_eq_u32_e32 1, v8
	s_xor_b32 s2, exec_lo, s2
	s_cbranch_execz .LBB94_129
; %bb.128:
	s_waitcnt lgkmcnt(0)
	v_cmp_lt_i64_e32 vcc_lo, v[3:4], v[1:2]
                                        ; implicit-def: $vgpr17
                                        ; implicit-def: $vgpr7
	v_cndmask_b32_e32 v2, v2, v4, vcc_lo
	v_cndmask_b32_e32 v1, v1, v3, vcc_lo
                                        ; implicit-def: $vgpr3_vgpr4
.LBB94_129:
	s_or_saveexec_b32 s2, s2
	v_mov_b32_e32 v8, 1
	s_xor_b32 exec_lo, exec_lo, s2
	s_cbranch_execz .LBB94_131
; %bb.130:
	v_and_b32_e32 v8, 1, v17
	v_and_b32_e32 v7, 0xff, v7
	v_cmp_eq_u32_e32 vcc_lo, 1, v8
	s_waitcnt lgkmcnt(0)
	v_cndmask_b32_e32 v2, v4, v2, vcc_lo
	v_cndmask_b32_e32 v1, v3, v1, vcc_lo
	v_cndmask_b32_e64 v8, v7, 1, vcc_lo
.LBB94_131:
	s_or_b32 exec_lo, exec_lo, s2
	v_mov_b32_e32 v17, v8
.LBB94_132:
	;; [unrolled: 46-line block ×3, first 2 shown]
	s_or_b32 exec_lo, exec_lo, s1
	s_waitcnt lgkmcnt(2)
	v_lshlrev_b32_e32 v7, 2, v5
	v_add_nc_u32_e32 v9, 16, v5
	s_waitcnt lgkmcnt(0)
	v_or_b32_e32 v4, 64, v7
	v_cmp_lt_u32_e32 vcc_lo, v9, v6
	v_mov_b32_e32 v6, v17
	ds_bpermute_b32 v8, v4, v17
	ds_bpermute_b32 v3, v4, v1
	;; [unrolled: 1-line block ×3, first 2 shown]
	s_and_saveexec_b32 s1, vcc_lo
	s_cbranch_execz .LBB94_144
; %bb.139:
	s_waitcnt lgkmcnt(2)
	v_and_b32_e32 v6, v17, v8
	s_mov_b32 s2, exec_lo
	v_and_b32_e32 v6, 1, v6
	v_cmpx_eq_u32_e32 1, v6
	s_xor_b32 s2, exec_lo, s2
	s_cbranch_execz .LBB94_141
; %bb.140:
	s_waitcnt lgkmcnt(0)
	v_cmp_lt_i64_e32 vcc_lo, v[3:4], v[1:2]
                                        ; implicit-def: $vgpr17
                                        ; implicit-def: $vgpr8
	v_cndmask_b32_e32 v2, v2, v4, vcc_lo
	v_cndmask_b32_e32 v1, v1, v3, vcc_lo
                                        ; implicit-def: $vgpr3_vgpr4
.LBB94_141:
	s_or_saveexec_b32 s2, s2
	v_mov_b32_e32 v6, 1
	s_xor_b32 exec_lo, exec_lo, s2
	s_cbranch_execz .LBB94_143
; %bb.142:
	v_and_b32_e32 v6, 1, v17
	v_cmp_eq_u32_e32 vcc_lo, 1, v6
	v_cndmask_b32_e64 v6, v8, 1, vcc_lo
	s_waitcnt lgkmcnt(0)
	v_cndmask_b32_e32 v2, v4, v2, vcc_lo
	v_cndmask_b32_e32 v1, v3, v1, vcc_lo
.LBB94_143:
	s_or_b32 exec_lo, exec_lo, s2
	v_and_b32_e32 v17, 0xff, v6
.LBB94_144:
	s_or_b32 exec_lo, exec_lo, s1
	s_mov_b32 s1, exec_lo
	v_cmpx_eq_u32_e32 0, v5
	s_cbranch_execz .LBB94_146
; %bb.145:
	s_waitcnt lgkmcnt(1)
	v_lshrrev_b32_e32 v3, 1, v0
	v_and_b32_e32 v3, 0x70, v3
	ds_write_b8 v3, v6 offset:512
	ds_write_b64 v3, v[1:2] offset:520
.LBB94_146:
	s_or_b32 exec_lo, exec_lo, s1
	s_mov_b32 s1, exec_lo
	s_waitcnt lgkmcnt(0)
	s_barrier
	buffer_gl0_inv
	v_cmpx_gt_u32_e32 8, v0
	s_cbranch_execz .LBB94_166
; %bb.147:
	v_lshlrev_b32_e32 v1, 4, v5
	v_and_b32_e32 v6, 7, v5
	s_add_i32 s0, s0, 31
	s_mov_b32 s2, exec_lo
	s_lshr_b32 s0, s0, 5
	ds_read_u8 v8, v1 offset:512
	ds_read_b64 v[1:2], v1 offset:520
	v_cmp_ne_u32_e32 vcc_lo, 7, v6
	v_add_nc_u32_e32 v10, 1, v6
	v_add_co_ci_u32_e64 v3, null, 0, v5, vcc_lo
	v_lshlrev_b32_e32 v4, 2, v3
	s_waitcnt lgkmcnt(1)
	v_and_b32_e32 v17, 0xff, v8
	s_waitcnt lgkmcnt(0)
	ds_bpermute_b32 v3, v4, v1
	ds_bpermute_b32 v9, v4, v17
	;; [unrolled: 1-line block ×3, first 2 shown]
	v_cmpx_gt_u32_e64 s0, v10
	s_cbranch_execz .LBB94_153
; %bb.148:
	s_waitcnt lgkmcnt(1)
	v_and_b32_e32 v10, v17, v9
	s_mov_b32 s3, exec_lo
	v_and_b32_e32 v10, 1, v10
	v_cmpx_eq_u32_e32 1, v10
	s_xor_b32 s3, exec_lo, s3
	s_cbranch_execz .LBB94_150
; %bb.149:
	s_waitcnt lgkmcnt(0)
	v_cmp_lt_i64_e32 vcc_lo, v[3:4], v[1:2]
                                        ; implicit-def: $vgpr8
                                        ; implicit-def: $vgpr9
	v_cndmask_b32_e32 v2, v2, v4, vcc_lo
	v_cndmask_b32_e32 v1, v1, v3, vcc_lo
                                        ; implicit-def: $vgpr3_vgpr4
.LBB94_150:
	s_or_saveexec_b32 s3, s3
	v_mov_b32_e32 v17, 1
	s_xor_b32 exec_lo, exec_lo, s3
	s_cbranch_execz .LBB94_152
; %bb.151:
	v_and_b32_e32 v8, 1, v8
	v_cmp_eq_u32_e32 vcc_lo, 1, v8
	v_and_b32_e32 v8, 0xff, v9
	s_waitcnt lgkmcnt(0)
	v_cndmask_b32_e32 v2, v4, v2, vcc_lo
	v_cndmask_b32_e32 v1, v3, v1, vcc_lo
	v_cndmask_b32_e64 v17, v8, 1, vcc_lo
.LBB94_152:
	s_or_b32 exec_lo, exec_lo, s3
.LBB94_153:
	s_or_b32 exec_lo, exec_lo, s2
	v_cmp_gt_u32_e32 vcc_lo, 6, v6
	v_add_nc_u32_e32 v8, 2, v6
	s_mov_b32 s2, exec_lo
	s_waitcnt lgkmcnt(2)
	v_cndmask_b32_e64 v3, 0, 2, vcc_lo
	s_waitcnt lgkmcnt(0)
	v_add_lshl_u32 v4, v3, v5, 2
	ds_bpermute_b32 v5, v4, v17
	ds_bpermute_b32 v3, v4, v1
	;; [unrolled: 1-line block ×3, first 2 shown]
	v_cmpx_gt_u32_e64 s0, v8
	s_cbranch_execz .LBB94_159
; %bb.154:
	s_waitcnt lgkmcnt(2)
	v_and_b32_e32 v8, v17, v5
	s_mov_b32 s3, exec_lo
	v_and_b32_e32 v8, 1, v8
	v_cmpx_eq_u32_e32 1, v8
	s_xor_b32 s3, exec_lo, s3
	s_cbranch_execz .LBB94_156
; %bb.155:
	s_waitcnt lgkmcnt(0)
	v_cmp_lt_i64_e32 vcc_lo, v[3:4], v[1:2]
                                        ; implicit-def: $vgpr17
                                        ; implicit-def: $vgpr5
	v_cndmask_b32_e32 v2, v2, v4, vcc_lo
	v_cndmask_b32_e32 v1, v1, v3, vcc_lo
                                        ; implicit-def: $vgpr3_vgpr4
.LBB94_156:
	s_or_saveexec_b32 s3, s3
	v_mov_b32_e32 v8, 1
	s_xor_b32 exec_lo, exec_lo, s3
	s_cbranch_execz .LBB94_158
; %bb.157:
	v_and_b32_e32 v8, 1, v17
	v_and_b32_e32 v5, 0xff, v5
	v_cmp_eq_u32_e32 vcc_lo, 1, v8
	s_waitcnt lgkmcnt(0)
	v_cndmask_b32_e32 v2, v4, v2, vcc_lo
	v_cndmask_b32_e32 v1, v3, v1, vcc_lo
	v_cndmask_b32_e64 v8, v5, 1, vcc_lo
.LBB94_158:
	s_or_b32 exec_lo, exec_lo, s3
	v_mov_b32_e32 v17, v8
.LBB94_159:
	s_or_b32 exec_lo, exec_lo, s2
	s_waitcnt lgkmcnt(0)
	v_or_b32_e32 v4, 16, v7
	v_add_nc_u32_e32 v6, 4, v6
	ds_bpermute_b32 v5, v4, v17
	ds_bpermute_b32 v3, v4, v1
	;; [unrolled: 1-line block ×3, first 2 shown]
	v_cmp_gt_u32_e32 vcc_lo, s0, v6
	s_and_saveexec_b32 s0, vcc_lo
	s_cbranch_execz .LBB94_165
; %bb.160:
	s_waitcnt lgkmcnt(2)
	v_and_b32_e32 v6, v17, v5
	s_mov_b32 s2, exec_lo
	v_and_b32_e32 v6, 1, v6
	v_cmpx_eq_u32_e32 1, v6
	s_xor_b32 s2, exec_lo, s2
	s_cbranch_execz .LBB94_162
; %bb.161:
	s_waitcnt lgkmcnt(0)
	v_cmp_lt_i64_e32 vcc_lo, v[3:4], v[1:2]
                                        ; implicit-def: $vgpr17
                                        ; implicit-def: $vgpr5
	v_cndmask_b32_e32 v2, v2, v4, vcc_lo
	v_cndmask_b32_e32 v1, v1, v3, vcc_lo
                                        ; implicit-def: $vgpr3_vgpr4
.LBB94_162:
	s_or_saveexec_b32 s2, s2
	v_mov_b32_e32 v6, 1
	s_xor_b32 exec_lo, exec_lo, s2
	s_cbranch_execz .LBB94_164
; %bb.163:
	v_and_b32_e32 v6, 1, v17
	v_cmp_eq_u32_e32 vcc_lo, 1, v6
	s_waitcnt lgkmcnt(0)
	v_cndmask_b32_e32 v2, v4, v2, vcc_lo
	v_cndmask_b32_e32 v1, v3, v1, vcc_lo
	v_cndmask_b32_e64 v6, v5, 1, vcc_lo
.LBB94_164:
	s_or_b32 exec_lo, exec_lo, s2
	v_mov_b32_e32 v17, v6
.LBB94_165:
	s_or_b32 exec_lo, exec_lo, s0
.LBB94_166:
	s_or_b32 exec_lo, exec_lo, s1
.LBB94_167:
	s_mov_b32 s22, 0
                                        ; implicit-def: $vgpr3_vgpr4
                                        ; implicit-def: $vgpr5
	s_mov_b32 s0, exec_lo
	v_cmpx_eq_u32_e32 0, v0
	s_xor_b32 s2, exec_lo, s0
	s_cbranch_execz .LBB94_171
; %bb.168:
	s_waitcnt lgkmcnt(0)
	v_mov_b32_e32 v3, s20
	v_mov_b32_e32 v4, s21
	;; [unrolled: 1-line block ×3, first 2 shown]
	s_cmp_eq_u64 s[14:15], 0
	s_cbranch_scc1 .LBB94_170
; %bb.169:
	v_and_b32_e32 v3, 1, v17
	v_cmp_gt_i64_e32 vcc_lo, s[20:21], v[1:2]
	s_bitcmp1_b32 s24, 0
	s_cselect_b32 s1, -1, 0
	v_cmp_eq_u32_e64 s0, 1, v3
	v_cndmask_b32_e64 v5, v17, 1, s1
	s_and_b32 vcc_lo, s0, vcc_lo
	v_cndmask_b32_e32 v3, s20, v1, vcc_lo
	v_cndmask_b32_e32 v4, s21, v2, vcc_lo
	v_cndmask_b32_e64 v3, v1, v3, s1
	v_cndmask_b32_e64 v4, v2, v4, s1
.LBB94_170:
	s_mov_b32 s22, exec_lo
.LBB94_171:
	s_or_b32 exec_lo, exec_lo, s2
	v_mov_b32_e32 v1, s6
	v_mov_b32_e32 v2, s7
	s_and_b32 vcc_lo, exec_lo, s26
	s_cbranch_vccnz .LBB94_24
.LBB94_172:
	s_branch .LBB94_356
.LBB94_173:
	v_lshlrev_b32_e32 v3, 2, v13
	s_clause 0x1
	global_load_dword v10, v3, s[2:3]
	global_load_dword v14, v3, s[8:9]
	v_add_co_u32 v3, s2, s11, v13
	v_add_co_ci_u32_e64 v4, null, s23, 0, s2
	s_waitcnt vmcnt(0)
	v_cmp_neq_f32_e64 s2, v10, v14
	v_cndmask_b32_e64 v10, 0, 1, s2
	s_or_b32 exec_lo, exec_lo, s26
	s_and_saveexec_b32 s3, s1
	s_cbranch_execz .LBB94_76
.LBB94_174:
	v_and_b32_e32 v9, 1, v9
	v_and_b32_e32 v13, 1, v12
	v_cmp_eq_u32_e64 s1, 1, v9
	v_cmp_eq_u32_e64 s2, 1, v13
                                        ; implicit-def: $vgpr9
	s_and_b32 s2, s1, s2
	s_xor_b32 s2, s2, -1
	s_and_saveexec_b32 s8, s2
	s_xor_b32 s2, exec_lo, s8
; %bb.175:
	v_and_b32_e32 v9, 0xffff, v12
	v_cndmask_b32_e64 v2, v8, v2, s1
	v_cndmask_b32_e64 v1, v7, v1, s1
                                        ; implicit-def: $vgpr7_vgpr8
	v_cndmask_b32_e64 v9, v9, 1, s1
; %bb.176:
	s_andn2_saveexec_b32 s2, s2
; %bb.177:
	v_cmp_lt_i64_e64 s1, v[7:8], v[1:2]
	v_mov_b32_e32 v9, 1
	v_cndmask_b32_e64 v2, v2, v8, s1
	v_cndmask_b32_e64 v1, v1, v7, s1
; %bb.178:
	s_or_b32 exec_lo, exec_lo, s2
	s_or_b32 exec_lo, exec_lo, s3
	s_and_saveexec_b32 s2, s0
	s_cbranch_execz .LBB94_77
.LBB94_179:
	v_and_b32_e32 v7, 1, v9
	v_and_b32_e32 v8, 1, v11
                                        ; implicit-def: $vgpr9
	v_cmp_eq_u32_e64 s0, 1, v7
	v_cmp_eq_u32_e64 s1, 1, v8
	s_and_b32 s1, s0, s1
	s_xor_b32 s1, s1, -1
	s_and_saveexec_b32 s3, s1
	s_xor_b32 s1, exec_lo, s3
; %bb.180:
	v_and_b32_e32 v7, 0xffff, v11
	v_cndmask_b32_e64 v2, v6, v2, s0
	v_cndmask_b32_e64 v1, v5, v1, s0
                                        ; implicit-def: $vgpr5_vgpr6
	v_cndmask_b32_e64 v9, v7, 1, s0
; %bb.181:
	s_andn2_saveexec_b32 s1, s1
; %bb.182:
	v_cmp_lt_i64_e64 s0, v[5:6], v[1:2]
	v_mov_b32_e32 v9, 1
	v_cndmask_b32_e64 v2, v2, v6, s0
	v_cndmask_b32_e64 v1, v1, v5, s0
; %bb.183:
	s_or_b32 exec_lo, exec_lo, s1
	s_or_b32 exec_lo, exec_lo, s2
	s_and_saveexec_b32 s1, vcc_lo
	s_cbranch_execz .LBB94_189
.LBB94_184:
	v_and_b32_e32 v5, 1, v9
	v_and_b32_e32 v6, 1, v10
                                        ; implicit-def: $vgpr9
	v_cmp_eq_u32_e32 vcc_lo, 1, v5
	v_cmp_eq_u32_e64 s0, 1, v6
	s_and_b32 s0, vcc_lo, s0
	s_xor_b32 s0, s0, -1
	s_and_saveexec_b32 s2, s0
	s_xor_b32 s0, exec_lo, s2
; %bb.185:
	v_and_b32_e32 v5, 0xffff, v10
	v_cndmask_b32_e32 v2, v4, v2, vcc_lo
	v_cndmask_b32_e32 v1, v3, v1, vcc_lo
                                        ; implicit-def: $vgpr3_vgpr4
	v_cndmask_b32_e64 v9, v5, 1, vcc_lo
; %bb.186:
	s_andn2_saveexec_b32 s0, s0
; %bb.187:
	v_cmp_lt_i64_e32 vcc_lo, v[3:4], v[1:2]
	v_mov_b32_e32 v9, 1
	v_cndmask_b32_e32 v2, v2, v4, vcc_lo
	v_cndmask_b32_e32 v1, v1, v3, vcc_lo
; %bb.188:
	s_or_b32 exec_lo, exec_lo, s0
.LBB94_189:
	s_or_b32 exec_lo, exec_lo, s1
	v_mbcnt_lo_u32_b32 v5, -1, 0
	v_and_b32_e32 v6, 0xe0, v0
	s_min_u32 s0, s10, 0x100
	s_mov_b32 s1, exec_lo
	v_cmp_ne_u32_e32 vcc_lo, 31, v5
	v_sub_nc_u32_e64 v6, s0, v6 clamp
	v_add_nc_u32_e32 v8, 1, v5
	v_add_co_ci_u32_e64 v3, null, 0, v5, vcc_lo
	v_lshlrev_b32_e32 v4, 2, v3
	ds_bpermute_b32 v7, v4, v9
	ds_bpermute_b32 v3, v4, v1
	;; [unrolled: 1-line block ×3, first 2 shown]
	v_cmpx_lt_u32_e64 v8, v6
	s_xor_b32 s1, exec_lo, s1
	s_cbranch_execz .LBB94_195
; %bb.190:
	s_waitcnt lgkmcnt(2)
	v_and_b32_e32 v8, v7, v9
	s_mov_b32 s2, exec_lo
	v_cmpx_ne_u32_e32 0, v8
	s_xor_b32 s2, exec_lo, s2
	s_cbranch_execz .LBB94_192
; %bb.191:
	s_waitcnt lgkmcnt(0)
	v_cmp_lt_i64_e32 vcc_lo, v[3:4], v[1:2]
                                        ; implicit-def: $vgpr9
                                        ; implicit-def: $vgpr7
	v_cndmask_b32_e32 v2, v2, v4, vcc_lo
	v_cndmask_b32_e32 v1, v1, v3, vcc_lo
                                        ; implicit-def: $vgpr3_vgpr4
.LBB94_192:
	s_or_saveexec_b32 s2, s2
	v_mov_b32_e32 v8, 1
	s_xor_b32 exec_lo, exec_lo, s2
	s_cbranch_execz .LBB94_194
; %bb.193:
	v_and_b32_e32 v8, 1, v9
	v_and_b32_e32 v7, 0xff, v7
	v_cmp_eq_u32_e32 vcc_lo, 1, v8
	s_waitcnt lgkmcnt(0)
	v_cndmask_b32_e32 v2, v4, v2, vcc_lo
	v_cndmask_b32_e32 v1, v3, v1, vcc_lo
	v_cndmask_b32_e64 v8, v7, 1, vcc_lo
.LBB94_194:
	s_or_b32 exec_lo, exec_lo, s2
	v_mov_b32_e32 v9, v8
.LBB94_195:
	s_or_b32 exec_lo, exec_lo, s1
	v_cmp_gt_u32_e32 vcc_lo, 30, v5
	v_add_nc_u32_e32 v8, 2, v5
	s_mov_b32 s1, exec_lo
	s_waitcnt lgkmcnt(1)
	v_cndmask_b32_e64 v3, 0, 2, vcc_lo
	s_waitcnt lgkmcnt(0)
	v_add_lshl_u32 v4, v3, v5, 2
	ds_bpermute_b32 v7, v4, v9
	ds_bpermute_b32 v3, v4, v1
	ds_bpermute_b32 v4, v4, v2
	v_cmpx_lt_u32_e64 v8, v6
	s_cbranch_execz .LBB94_201
; %bb.196:
	s_waitcnt lgkmcnt(2)
	v_and_b32_e32 v8, v9, v7
	s_mov_b32 s2, exec_lo
	v_and_b32_e32 v8, 1, v8
	v_cmpx_eq_u32_e32 1, v8
	s_xor_b32 s2, exec_lo, s2
	s_cbranch_execz .LBB94_198
; %bb.197:
	s_waitcnt lgkmcnt(0)
	v_cmp_lt_i64_e32 vcc_lo, v[3:4], v[1:2]
                                        ; implicit-def: $vgpr9
                                        ; implicit-def: $vgpr7
	v_cndmask_b32_e32 v2, v2, v4, vcc_lo
	v_cndmask_b32_e32 v1, v1, v3, vcc_lo
                                        ; implicit-def: $vgpr3_vgpr4
.LBB94_198:
	s_or_saveexec_b32 s2, s2
	v_mov_b32_e32 v8, 1
	s_xor_b32 exec_lo, exec_lo, s2
	s_cbranch_execz .LBB94_200
; %bb.199:
	v_and_b32_e32 v8, 1, v9
	v_and_b32_e32 v7, 0xff, v7
	v_cmp_eq_u32_e32 vcc_lo, 1, v8
	s_waitcnt lgkmcnt(0)
	v_cndmask_b32_e32 v2, v4, v2, vcc_lo
	v_cndmask_b32_e32 v1, v3, v1, vcc_lo
	v_cndmask_b32_e64 v8, v7, 1, vcc_lo
.LBB94_200:
	s_or_b32 exec_lo, exec_lo, s2
	v_mov_b32_e32 v9, v8
.LBB94_201:
	s_or_b32 exec_lo, exec_lo, s1
	v_cmp_gt_u32_e32 vcc_lo, 28, v5
	v_add_nc_u32_e32 v8, 4, v5
	s_mov_b32 s1, exec_lo
	s_waitcnt lgkmcnt(1)
	v_cndmask_b32_e64 v3, 0, 4, vcc_lo
	s_waitcnt lgkmcnt(0)
	v_add_lshl_u32 v4, v3, v5, 2
	ds_bpermute_b32 v7, v4, v9
	ds_bpermute_b32 v3, v4, v1
	ds_bpermute_b32 v4, v4, v2
	v_cmpx_lt_u32_e64 v8, v6
	s_cbranch_execz .LBB94_207
; %bb.202:
	s_waitcnt lgkmcnt(2)
	v_and_b32_e32 v8, v9, v7
	s_mov_b32 s2, exec_lo
	v_and_b32_e32 v8, 1, v8
	v_cmpx_eq_u32_e32 1, v8
	s_xor_b32 s2, exec_lo, s2
	s_cbranch_execz .LBB94_204
; %bb.203:
	s_waitcnt lgkmcnt(0)
	v_cmp_lt_i64_e32 vcc_lo, v[3:4], v[1:2]
                                        ; implicit-def: $vgpr9
                                        ; implicit-def: $vgpr7
	v_cndmask_b32_e32 v2, v2, v4, vcc_lo
	v_cndmask_b32_e32 v1, v1, v3, vcc_lo
                                        ; implicit-def: $vgpr3_vgpr4
.LBB94_204:
	s_or_saveexec_b32 s2, s2
	v_mov_b32_e32 v8, 1
	s_xor_b32 exec_lo, exec_lo, s2
	s_cbranch_execz .LBB94_206
; %bb.205:
	v_and_b32_e32 v8, 1, v9
	v_and_b32_e32 v7, 0xff, v7
	v_cmp_eq_u32_e32 vcc_lo, 1, v8
	s_waitcnt lgkmcnt(0)
	v_cndmask_b32_e32 v2, v4, v2, vcc_lo
	v_cndmask_b32_e32 v1, v3, v1, vcc_lo
	v_cndmask_b32_e64 v8, v7, 1, vcc_lo
.LBB94_206:
	s_or_b32 exec_lo, exec_lo, s2
	v_mov_b32_e32 v9, v8
.LBB94_207:
	;; [unrolled: 46-line block ×3, first 2 shown]
	s_or_b32 exec_lo, exec_lo, s1
	s_waitcnt lgkmcnt(2)
	v_lshlrev_b32_e32 v7, 2, v5
	v_add_nc_u32_e32 v10, 16, v5
	s_waitcnt lgkmcnt(0)
	v_or_b32_e32 v4, 64, v7
	v_cmp_lt_u32_e32 vcc_lo, v10, v6
	v_mov_b32_e32 v6, v9
	ds_bpermute_b32 v8, v4, v9
	ds_bpermute_b32 v3, v4, v1
	;; [unrolled: 1-line block ×3, first 2 shown]
	s_and_saveexec_b32 s1, vcc_lo
	s_cbranch_execz .LBB94_219
; %bb.214:
	s_waitcnt lgkmcnt(2)
	v_and_b32_e32 v6, v9, v8
	s_mov_b32 s2, exec_lo
	v_and_b32_e32 v6, 1, v6
	v_cmpx_eq_u32_e32 1, v6
	s_xor_b32 s2, exec_lo, s2
	s_cbranch_execz .LBB94_216
; %bb.215:
	s_waitcnt lgkmcnt(0)
	v_cmp_lt_i64_e32 vcc_lo, v[3:4], v[1:2]
                                        ; implicit-def: $vgpr9
                                        ; implicit-def: $vgpr8
	v_cndmask_b32_e32 v2, v2, v4, vcc_lo
	v_cndmask_b32_e32 v1, v1, v3, vcc_lo
                                        ; implicit-def: $vgpr3_vgpr4
.LBB94_216:
	s_or_saveexec_b32 s2, s2
	v_mov_b32_e32 v6, 1
	s_xor_b32 exec_lo, exec_lo, s2
	s_cbranch_execz .LBB94_218
; %bb.217:
	v_and_b32_e32 v6, 1, v9
	v_cmp_eq_u32_e32 vcc_lo, 1, v6
	v_cndmask_b32_e64 v6, v8, 1, vcc_lo
	s_waitcnt lgkmcnt(0)
	v_cndmask_b32_e32 v2, v4, v2, vcc_lo
	v_cndmask_b32_e32 v1, v3, v1, vcc_lo
.LBB94_218:
	s_or_b32 exec_lo, exec_lo, s2
	v_and_b32_e32 v9, 0xff, v6
.LBB94_219:
	s_or_b32 exec_lo, exec_lo, s1
	s_mov_b32 s1, exec_lo
	v_cmpx_eq_u32_e32 0, v5
	s_cbranch_execz .LBB94_221
; %bb.220:
	s_waitcnt lgkmcnt(1)
	v_lshrrev_b32_e32 v3, 1, v0
	v_and_b32_e32 v3, 0x70, v3
	ds_write_b8 v3, v6 offset:512
	ds_write_b64 v3, v[1:2] offset:520
.LBB94_221:
	s_or_b32 exec_lo, exec_lo, s1
	s_mov_b32 s1, exec_lo
	s_waitcnt lgkmcnt(0)
	s_barrier
	buffer_gl0_inv
	v_cmpx_gt_u32_e32 8, v0
	s_cbranch_execz .LBB94_241
; %bb.222:
	v_lshlrev_b32_e32 v1, 4, v5
	v_and_b32_e32 v6, 7, v5
	s_add_i32 s0, s0, 31
	s_mov_b32 s2, exec_lo
	s_lshr_b32 s0, s0, 5
	ds_read_u8 v8, v1 offset:512
	ds_read_b64 v[1:2], v1 offset:520
	v_cmp_ne_u32_e32 vcc_lo, 7, v6
	v_add_nc_u32_e32 v11, 1, v6
	v_add_co_ci_u32_e64 v3, null, 0, v5, vcc_lo
	v_lshlrev_b32_e32 v4, 2, v3
	s_waitcnt lgkmcnt(1)
	v_and_b32_e32 v9, 0xff, v8
	s_waitcnt lgkmcnt(0)
	ds_bpermute_b32 v3, v4, v1
	ds_bpermute_b32 v10, v4, v9
	;; [unrolled: 1-line block ×3, first 2 shown]
	v_cmpx_gt_u32_e64 s0, v11
	s_cbranch_execz .LBB94_228
; %bb.223:
	s_waitcnt lgkmcnt(1)
	v_and_b32_e32 v9, v9, v10
	s_mov_b32 s3, exec_lo
	v_and_b32_e32 v9, 1, v9
	v_cmpx_eq_u32_e32 1, v9
	s_xor_b32 s3, exec_lo, s3
	s_cbranch_execz .LBB94_225
; %bb.224:
	s_waitcnt lgkmcnt(0)
	v_cmp_lt_i64_e32 vcc_lo, v[3:4], v[1:2]
                                        ; implicit-def: $vgpr8
                                        ; implicit-def: $vgpr10
	v_cndmask_b32_e32 v2, v2, v4, vcc_lo
	v_cndmask_b32_e32 v1, v1, v3, vcc_lo
                                        ; implicit-def: $vgpr3_vgpr4
.LBB94_225:
	s_or_saveexec_b32 s3, s3
	v_mov_b32_e32 v9, 1
	s_xor_b32 exec_lo, exec_lo, s3
	s_cbranch_execz .LBB94_227
; %bb.226:
	v_and_b32_e32 v8, 1, v8
	v_cmp_eq_u32_e32 vcc_lo, 1, v8
	v_and_b32_e32 v8, 0xff, v10
	s_waitcnt lgkmcnt(0)
	v_cndmask_b32_e32 v2, v4, v2, vcc_lo
	v_cndmask_b32_e32 v1, v3, v1, vcc_lo
	v_cndmask_b32_e64 v9, v8, 1, vcc_lo
.LBB94_227:
	s_or_b32 exec_lo, exec_lo, s3
.LBB94_228:
	s_or_b32 exec_lo, exec_lo, s2
	v_cmp_gt_u32_e32 vcc_lo, 6, v6
	v_add_nc_u32_e32 v8, 2, v6
	s_mov_b32 s2, exec_lo
	s_waitcnt lgkmcnt(2)
	v_cndmask_b32_e64 v3, 0, 2, vcc_lo
	s_waitcnt lgkmcnt(0)
	v_add_lshl_u32 v4, v3, v5, 2
	ds_bpermute_b32 v5, v4, v9
	ds_bpermute_b32 v3, v4, v1
	;; [unrolled: 1-line block ×3, first 2 shown]
	v_cmpx_gt_u32_e64 s0, v8
	s_cbranch_execz .LBB94_234
; %bb.229:
	s_waitcnt lgkmcnt(2)
	v_and_b32_e32 v8, v9, v5
	s_mov_b32 s3, exec_lo
	v_and_b32_e32 v8, 1, v8
	v_cmpx_eq_u32_e32 1, v8
	s_xor_b32 s3, exec_lo, s3
	s_cbranch_execz .LBB94_231
; %bb.230:
	s_waitcnt lgkmcnt(0)
	v_cmp_lt_i64_e32 vcc_lo, v[3:4], v[1:2]
                                        ; implicit-def: $vgpr9
                                        ; implicit-def: $vgpr5
	v_cndmask_b32_e32 v2, v2, v4, vcc_lo
	v_cndmask_b32_e32 v1, v1, v3, vcc_lo
                                        ; implicit-def: $vgpr3_vgpr4
.LBB94_231:
	s_or_saveexec_b32 s3, s3
	v_mov_b32_e32 v8, 1
	s_xor_b32 exec_lo, exec_lo, s3
	s_cbranch_execz .LBB94_233
; %bb.232:
	v_and_b32_e32 v8, 1, v9
	v_and_b32_e32 v5, 0xff, v5
	v_cmp_eq_u32_e32 vcc_lo, 1, v8
	s_waitcnt lgkmcnt(0)
	v_cndmask_b32_e32 v2, v4, v2, vcc_lo
	v_cndmask_b32_e32 v1, v3, v1, vcc_lo
	v_cndmask_b32_e64 v8, v5, 1, vcc_lo
.LBB94_233:
	s_or_b32 exec_lo, exec_lo, s3
	v_mov_b32_e32 v9, v8
.LBB94_234:
	s_or_b32 exec_lo, exec_lo, s2
	s_waitcnt lgkmcnt(0)
	v_or_b32_e32 v4, 16, v7
	v_add_nc_u32_e32 v6, 4, v6
	ds_bpermute_b32 v5, v4, v9
	ds_bpermute_b32 v3, v4, v1
	;; [unrolled: 1-line block ×3, first 2 shown]
	v_cmp_gt_u32_e32 vcc_lo, s0, v6
	s_and_saveexec_b32 s0, vcc_lo
	s_cbranch_execz .LBB94_240
; %bb.235:
	s_waitcnt lgkmcnt(2)
	v_and_b32_e32 v6, v9, v5
	s_mov_b32 s2, exec_lo
	v_and_b32_e32 v6, 1, v6
	v_cmpx_eq_u32_e32 1, v6
	s_xor_b32 s2, exec_lo, s2
	s_cbranch_execz .LBB94_237
; %bb.236:
	s_waitcnt lgkmcnt(0)
	v_cmp_lt_i64_e32 vcc_lo, v[3:4], v[1:2]
                                        ; implicit-def: $vgpr9
                                        ; implicit-def: $vgpr5
	v_cndmask_b32_e32 v2, v2, v4, vcc_lo
	v_cndmask_b32_e32 v1, v1, v3, vcc_lo
                                        ; implicit-def: $vgpr3_vgpr4
.LBB94_237:
	s_or_saveexec_b32 s2, s2
	v_mov_b32_e32 v6, 1
	s_xor_b32 exec_lo, exec_lo, s2
	s_cbranch_execz .LBB94_239
; %bb.238:
	v_and_b32_e32 v6, 1, v9
	v_cmp_eq_u32_e32 vcc_lo, 1, v6
	s_waitcnt lgkmcnt(0)
	v_cndmask_b32_e32 v2, v4, v2, vcc_lo
	v_cndmask_b32_e32 v1, v3, v1, vcc_lo
	v_cndmask_b32_e64 v6, v5, 1, vcc_lo
.LBB94_239:
	s_or_b32 exec_lo, exec_lo, s2
	v_mov_b32_e32 v9, v6
.LBB94_240:
	s_or_b32 exec_lo, exec_lo, s0
.LBB94_241:
	s_or_b32 exec_lo, exec_lo, s1
.LBB94_242:
                                        ; implicit-def: $vgpr3_vgpr4
                                        ; implicit-def: $vgpr5
	s_mov_b32 s0, exec_lo
	v_cmpx_eq_u32_e32 0, v0
	s_xor_b32 s2, exec_lo, s0
	s_cbranch_execz .LBB94_246
; %bb.243:
	s_waitcnt lgkmcnt(0)
	v_mov_b32_e32 v3, s20
	v_mov_b32_e32 v4, s21
	;; [unrolled: 1-line block ×3, first 2 shown]
	s_cmp_eq_u64 s[14:15], 0
	s_cbranch_scc1 .LBB94_245
; %bb.244:
	v_and_b32_e32 v3, 1, v9
	v_cmp_gt_i64_e32 vcc_lo, s[20:21], v[1:2]
	s_bitcmp1_b32 s24, 0
	s_cselect_b32 s1, -1, 0
	v_cmp_eq_u32_e64 s0, 1, v3
	v_cndmask_b32_e64 v5, v9, 1, s1
	s_and_b32 vcc_lo, s0, vcc_lo
	v_cndmask_b32_e32 v3, s20, v1, vcc_lo
	v_cndmask_b32_e32 v4, s21, v2, vcc_lo
	v_cndmask_b32_e64 v3, v1, v3, s1
	v_cndmask_b32_e64 v4, v2, v4, s1
.LBB94_245:
	s_or_b32 s22, s22, exec_lo
.LBB94_246:
	s_or_b32 exec_lo, exec_lo, s2
	v_mov_b32_e32 v1, s6
	v_mov_b32_e32 v2, s7
	s_branch .LBB94_356
.LBB94_247:
	s_cmp_gt_i32 s25, 1
	s_cbranch_scc0 .LBB94_267
; %bb.248:
	s_cmp_eq_u32 s25, 2
	s_cbranch_scc0 .LBB94_268
; %bb.249:
	s_mov_b32 s7, 0
	s_lshl_b32 s10, s6, 9
	s_mov_b32 s11, s7
	s_lshr_b64 s[26:27], s[14:15], 9
	s_lshl_b64 s[0:1], s[10:11], 2
	s_add_u32 s2, s16, s0
	s_addc_u32 s3, s17, s1
	s_add_u32 s8, s18, s0
	s_addc_u32 s9, s19, s1
	;; [unrolled: 2-line block ×3, first 2 shown]
	s_cmp_lg_u64 s[26:27], s[6:7]
	s_cbranch_scc0 .LBB94_269
; %bb.250:
	v_lshlrev_b32_e32 v1, 2, v0
	s_waitcnt lgkmcnt(1)
	v_add_co_u32 v5, s0, s11, v0
	s_waitcnt lgkmcnt(0)
	v_add_co_ci_u32_e64 v6, null, s23, 0, s0
	s_clause 0x3
	global_load_dword v2, v1, s[2:3]
	global_load_dword v3, v1, s[8:9]
	global_load_dword v4, v1, s[8:9] offset:1024
	global_load_dword v1, v1, s[2:3] offset:1024
	v_add_co_u32 v7, vcc_lo, 0x100, v5
	v_add_co_ci_u32_e64 v8, null, 0, v6, vcc_lo
	s_waitcnt vmcnt(2)
	v_cmp_neq_f32_e32 vcc_lo, v2, v3
	s_waitcnt vmcnt(0)
	v_cmp_neq_f32_e64 s0, v1, v4
	v_cndmask_b32_e32 v2, v8, v6, vcc_lo
	v_cndmask_b32_e32 v1, v7, v5, vcc_lo
	s_or_b32 s0, vcc_lo, s0
	v_mbcnt_lo_u32_b32 v8, -1, 0
	v_cndmask_b32_e64 v5, 0, 1, s0
	v_mov_b32_dpp v4, v2 quad_perm:[1,0,3,2] row_mask:0xf bank_mask:0xf
	v_mov_b32_dpp v3, v1 quad_perm:[1,0,3,2] row_mask:0xf bank_mask:0xf
	;; [unrolled: 1-line block ×3, first 2 shown]
	v_cmp_lt_i64_e32 vcc_lo, v[1:2], v[3:4]
	v_and_b32_e32 v6, 1, v6
	s_and_b32 vcc_lo, s0, vcc_lo
	v_cndmask_b32_e32 v3, v3, v1, vcc_lo
	v_cndmask_b32_e32 v4, v4, v2, vcc_lo
	v_cmp_eq_u32_e32 vcc_lo, 1, v6
	v_cndmask_b32_e32 v2, v2, v4, vcc_lo
	v_cndmask_b32_e32 v1, v1, v3, vcc_lo
	v_cndmask_b32_e64 v5, v5, 1, vcc_lo
	v_mov_b32_dpp v4, v2 quad_perm:[2,3,0,1] row_mask:0xf bank_mask:0xf
	v_mov_b32_dpp v3, v1 quad_perm:[2,3,0,1] row_mask:0xf bank_mask:0xf
	v_and_b32_e32 v7, 1, v5
	v_mov_b32_dpp v6, v5 quad_perm:[2,3,0,1] row_mask:0xf bank_mask:0xf
	v_cmp_lt_i64_e32 vcc_lo, v[1:2], v[3:4]
	v_cmp_eq_u32_e64 s0, 1, v7
	v_and_b32_e32 v6, 1, v6
	s_and_b32 vcc_lo, s0, vcc_lo
	v_cmp_eq_u32_e64 s1, 1, v6
	v_cndmask_b32_e32 v3, v3, v1, vcc_lo
	v_cndmask_b32_e32 v4, v4, v2, vcc_lo
	v_cndmask_b32_e64 v5, v5, 1, s1
	v_cndmask_b32_e64 v1, v1, v3, s1
	;; [unrolled: 1-line block ×3, first 2 shown]
	v_and_b32_e32 v7, 1, v5
	v_mov_b32_dpp v3, v1 row_ror:4 row_mask:0xf bank_mask:0xf
	v_mov_b32_dpp v4, v2 row_ror:4 row_mask:0xf bank_mask:0xf
	;; [unrolled: 1-line block ×3, first 2 shown]
	v_cmp_eq_u32_e64 s0, 1, v7
	v_cmp_lt_i64_e32 vcc_lo, v[1:2], v[3:4]
	v_and_b32_e32 v6, 1, v6
	s_and_b32 vcc_lo, s0, vcc_lo
	v_cmp_eq_u32_e64 s1, 1, v6
	v_cndmask_b32_e32 v3, v3, v1, vcc_lo
	v_cndmask_b32_e32 v4, v4, v2, vcc_lo
	v_cndmask_b32_e64 v5, v5, 1, s1
	v_cndmask_b32_e64 v1, v1, v3, s1
	;; [unrolled: 1-line block ×3, first 2 shown]
	v_and_b32_e32 v7, 1, v5
	v_mov_b32_dpp v3, v1 row_ror:8 row_mask:0xf bank_mask:0xf
	v_mov_b32_dpp v4, v2 row_ror:8 row_mask:0xf bank_mask:0xf
	;; [unrolled: 1-line block ×3, first 2 shown]
	v_cmp_eq_u32_e64 s0, 1, v7
	v_cmp_lt_i64_e32 vcc_lo, v[1:2], v[3:4]
	v_and_b32_e32 v6, 1, v6
	s_and_b32 vcc_lo, s0, vcc_lo
	v_cmp_eq_u32_e64 s1, 1, v6
	v_cndmask_b32_e32 v3, v3, v1, vcc_lo
	v_cndmask_b32_e32 v4, v4, v2, vcc_lo
	v_cndmask_b32_e64 v5, v5, 1, s1
	v_cndmask_b32_e64 v1, v1, v3, s1
	;; [unrolled: 1-line block ×3, first 2 shown]
	ds_swizzle_b32 v6, v5 offset:swizzle(BROADCAST,32,15)
	ds_swizzle_b32 v3, v1 offset:swizzle(BROADCAST,32,15)
	;; [unrolled: 1-line block ×3, first 2 shown]
	v_and_b32_e32 v7, 1, v5
	v_cmp_eq_u32_e64 s0, 1, v7
	s_waitcnt lgkmcnt(2)
	v_and_b32_e32 v6, 1, v6
	s_waitcnt lgkmcnt(0)
	v_cmp_lt_i64_e32 vcc_lo, v[1:2], v[3:4]
	v_cmp_eq_u32_e64 s1, 1, v6
	v_mov_b32_e32 v6, 0
	s_and_b32 vcc_lo, s0, vcc_lo
	s_mov_b32 s0, exec_lo
	v_cndmask_b32_e32 v3, v3, v1, vcc_lo
	v_cndmask_b32_e32 v4, v4, v2, vcc_lo
	v_cndmask_b32_e64 v5, v5, 1, s1
	v_cndmask_b32_e64 v1, v1, v3, s1
	v_cndmask_b32_e64 v2, v2, v4, s1
	ds_bpermute_b32 v7, v6, v5 offset:124
	ds_bpermute_b32 v1, v6, v1 offset:124
	;; [unrolled: 1-line block ×3, first 2 shown]
	v_cmpx_eq_u32_e32 0, v8
	s_cbranch_execz .LBB94_252
; %bb.251:
	v_lshrrev_b32_e32 v3, 1, v0
	v_and_b32_e32 v3, 0x70, v3
	s_waitcnt lgkmcnt(2)
	ds_write_b8 v3, v7 offset:128
	s_waitcnt lgkmcnt(1)
	ds_write_b64 v3, v[1:2] offset:136
.LBB94_252:
	s_or_b32 exec_lo, exec_lo, s0
	s_mov_b32 s0, exec_lo
	s_waitcnt lgkmcnt(0)
	s_barrier
	buffer_gl0_inv
	v_cmpx_gt_u32_e32 32, v0
	s_cbranch_execz .LBB94_266
; %bb.253:
	v_and_b32_e32 v7, 7, v8
	v_lshlrev_b32_e32 v1, 4, v7
	v_cmp_ne_u32_e32 vcc_lo, 7, v7
	ds_read_u8 v10, v1 offset:128
	ds_read_b64 v[3:4], v1 offset:136
	v_add_co_ci_u32_e64 v2, null, 0, v8, vcc_lo
	v_lshlrev_b32_e32 v2, 2, v2
	s_waitcnt lgkmcnt(1)
	v_and_b32_e32 v1, 0xff, v10
	s_waitcnt lgkmcnt(0)
	ds_bpermute_b32 v5, v2, v3
	ds_bpermute_b32 v6, v2, v4
	;; [unrolled: 1-line block ×3, first 2 shown]
	s_waitcnt lgkmcnt(0)
	v_and_b32_e32 v1, v10, v11
	v_and_b32_e32 v1, 1, v1
	v_cmp_eq_u32_e32 vcc_lo, 1, v1
                                        ; implicit-def: $vgpr1_vgpr2
	s_and_saveexec_b32 s1, vcc_lo
	s_xor_b32 s1, exec_lo, s1
; %bb.254:
	v_cmp_lt_i64_e32 vcc_lo, v[5:6], v[3:4]
                                        ; implicit-def: $vgpr10
                                        ; implicit-def: $vgpr11
	v_cndmask_b32_e32 v2, v4, v6, vcc_lo
	v_cndmask_b32_e32 v1, v3, v5, vcc_lo
                                        ; implicit-def: $vgpr5_vgpr6
                                        ; implicit-def: $vgpr3_vgpr4
; %bb.255:
	s_or_saveexec_b32 s1, s1
	v_mov_b32_e32 v9, 1
	s_xor_b32 exec_lo, exec_lo, s1
; %bb.256:
	v_and_b32_e32 v1, 1, v10
	v_and_b32_e32 v9, 0xff, v11
	v_cmp_eq_u32_e32 vcc_lo, 1, v1
	v_cndmask_b32_e32 v2, v6, v4, vcc_lo
	v_cndmask_b32_e32 v1, v5, v3, vcc_lo
	v_cndmask_b32_e64 v9, v9, 1, vcc_lo
; %bb.257:
	s_or_b32 exec_lo, exec_lo, s1
	v_cmp_gt_u32_e32 vcc_lo, 6, v7
	v_cndmask_b32_e64 v3, 0, 2, vcc_lo
	v_add_lshl_u32 v3, v3, v8, 2
	ds_bpermute_b32 v7, v3, v9
	ds_bpermute_b32 v5, v3, v1
	;; [unrolled: 1-line block ×3, first 2 shown]
	s_waitcnt lgkmcnt(2)
	v_and_b32_e32 v3, v9, v7
	v_and_b32_e32 v3, 1, v3
	v_cmp_eq_u32_e32 vcc_lo, 1, v3
                                        ; implicit-def: $vgpr3_vgpr4
	s_and_saveexec_b32 s1, vcc_lo
	s_xor_b32 s1, exec_lo, s1
	s_cbranch_execz .LBB94_259
; %bb.258:
	s_waitcnt lgkmcnt(0)
	v_cmp_lt_i64_e32 vcc_lo, v[5:6], v[1:2]
                                        ; implicit-def: $vgpr9
                                        ; implicit-def: $vgpr7
	v_cndmask_b32_e32 v4, v2, v6, vcc_lo
	v_cndmask_b32_e32 v3, v1, v5, vcc_lo
                                        ; implicit-def: $vgpr5_vgpr6
                                        ; implicit-def: $vgpr1_vgpr2
.LBB94_259:
	s_or_saveexec_b32 s1, s1
	v_lshlrev_b32_e32 v10, 2, v8
	v_mov_b32_e32 v8, 1
	s_xor_b32 exec_lo, exec_lo, s1
	s_cbranch_execz .LBB94_261
; %bb.260:
	v_and_b32_e32 v3, 1, v9
	v_and_b32_e32 v7, 0xff, v7
	v_cmp_eq_u32_e32 vcc_lo, 1, v3
	s_waitcnt lgkmcnt(0)
	v_cndmask_b32_e32 v4, v6, v2, vcc_lo
	v_cndmask_b32_e32 v3, v5, v1, vcc_lo
	v_cndmask_b32_e64 v8, v7, 1, vcc_lo
.LBB94_261:
	s_or_b32 exec_lo, exec_lo, s1
	v_or_b32_e32 v1, 16, v10
	ds_bpermute_b32 v9, v1, v8
	s_waitcnt lgkmcnt(2)
	ds_bpermute_b32 v5, v1, v3
	s_waitcnt lgkmcnt(2)
	;; [unrolled: 2-line block ×3, first 2 shown]
	v_and_b32_e32 v1, v8, v9
	v_and_b32_e32 v1, 1, v1
	v_cmp_eq_u32_e32 vcc_lo, 1, v1
                                        ; implicit-def: $vgpr1_vgpr2
	s_and_saveexec_b32 s1, vcc_lo
	s_xor_b32 s1, exec_lo, s1
	s_cbranch_execz .LBB94_263
; %bb.262:
	s_waitcnt lgkmcnt(0)
	v_cmp_lt_i64_e32 vcc_lo, v[5:6], v[3:4]
                                        ; implicit-def: $vgpr8
                                        ; implicit-def: $vgpr9
	v_cndmask_b32_e32 v2, v4, v6, vcc_lo
	v_cndmask_b32_e32 v1, v3, v5, vcc_lo
                                        ; implicit-def: $vgpr5_vgpr6
                                        ; implicit-def: $vgpr3_vgpr4
.LBB94_263:
	s_or_saveexec_b32 s1, s1
	v_mov_b32_e32 v7, 1
	s_xor_b32 exec_lo, exec_lo, s1
	s_cbranch_execz .LBB94_265
; %bb.264:
	v_and_b32_e32 v1, 1, v8
	v_cmp_eq_u32_e32 vcc_lo, 1, v1
	s_waitcnt lgkmcnt(0)
	v_cndmask_b32_e32 v2, v6, v4, vcc_lo
	v_cndmask_b32_e32 v1, v5, v3, vcc_lo
	v_cndmask_b32_e64 v7, v9, 1, vcc_lo
.LBB94_265:
	s_or_b32 exec_lo, exec_lo, s1
.LBB94_266:
	s_or_b32 exec_lo, exec_lo, s0
	s_branch .LBB94_327
.LBB94_267:
                                        ; implicit-def: $vgpr3_vgpr4
                                        ; implicit-def: $vgpr5
                                        ; implicit-def: $vgpr1_vgpr2
	s_cbranch_execnz .LBB94_332
	s_branch .LBB94_356
.LBB94_268:
                                        ; implicit-def: $vgpr3_vgpr4
                                        ; implicit-def: $vgpr5
                                        ; implicit-def: $vgpr1_vgpr2
	s_branch .LBB94_356
.LBB94_269:
                                        ; implicit-def: $vgpr1_vgpr2
                                        ; implicit-def: $vgpr7
	s_cbranch_execz .LBB94_327
; %bb.270:
	s_waitcnt lgkmcnt(0)
	v_mov_b32_e32 v3, 0
	v_mov_b32_e32 v1, 0
	;; [unrolled: 1-line block ×6, first 2 shown]
	s_sub_i32 s10, s14, s10
	s_mov_b32 s0, exec_lo
	v_cmpx_gt_u32_e64 s10, v0
	s_cbranch_execz .LBB94_272
; %bb.271:
	v_lshlrev_b32_e32 v1, 2, v0
	s_clause 0x1
	global_load_dword v6, v1, s[2:3]
	global_load_dword v7, v1, s[8:9]
	v_add_co_u32 v1, s1, s11, v0
	v_add_co_ci_u32_e64 v2, null, s23, 0, s1
	s_waitcnt vmcnt(0)
	v_cmp_neq_f32_e32 vcc_lo, v6, v7
	v_cndmask_b32_e64 v6, 0, 1, vcc_lo
.LBB94_272:
	s_or_b32 exec_lo, exec_lo, s0
	v_or_b32_e32 v7, 0x100, v0
	v_cmp_gt_u32_e32 vcc_lo, s10, v7
	s_and_saveexec_b32 s1, vcc_lo
	s_cbranch_execz .LBB94_274
; %bb.273:
	v_lshlrev_b32_e32 v3, 2, v0
	s_clause 0x1
	global_load_dword v5, v3, s[2:3] offset:1024
	global_load_dword v8, v3, s[8:9] offset:1024
	v_add_co_u32 v3, s0, s11, v7
	v_add_co_ci_u32_e64 v4, null, s23, 0, s0
	s_waitcnt vmcnt(0)
	v_cmp_neq_f32_e64 s0, v5, v8
	v_cndmask_b32_e64 v5, 0, 1, s0
.LBB94_274:
	s_or_b32 exec_lo, exec_lo, s1
	v_and_b32_e32 v7, 1, v5
	v_cmp_lt_i64_e64 s0, v[3:4], v[1:2]
	v_and_b32_e32 v8, 0xffff, v5
	v_mbcnt_lo_u32_b32 v5, -1, 0
	v_cmp_eq_u32_e64 s1, 1, v7
	v_and_b32_e32 v7, 0xffff, v6
	v_and_b32_e32 v6, 1, v6
	s_and_b32 s0, s1, s0
	v_cmp_ne_u32_e64 s1, 31, v5
	v_cndmask_b32_e64 v9, v2, v4, s0
	v_cndmask_b32_e64 v10, v1, v3, s0
	v_cmp_eq_u32_e64 s0, 1, v6
	v_cndmask_b32_e64 v6, v8, 1, s0
	v_add_co_ci_u32_e64 v8, null, 0, v5, s1
	v_cndmask_b32_e64 v3, v3, v10, s0
	v_cndmask_b32_e64 v4, v4, v9, s0
	v_cndmask_b32_e32 v7, v7, v6, vcc_lo
	v_lshlrev_b32_e32 v6, 2, v8
	s_min_u32 s0, s10, 0x100
	v_cndmask_b32_e32 v1, v1, v3, vcc_lo
	v_cndmask_b32_e32 v2, v2, v4, vcc_lo
	v_add_nc_u32_e32 v9, 1, v5
	ds_bpermute_b32 v8, v6, v7
	s_mov_b32 s1, exec_lo
	ds_bpermute_b32 v3, v6, v1
	ds_bpermute_b32 v4, v6, v2
	v_and_b32_e32 v6, 0xe0, v0
	v_sub_nc_u32_e64 v6, s0, v6 clamp
	v_cmpx_lt_u32_e64 v9, v6
	s_cbranch_execz .LBB94_280
; %bb.275:
	s_waitcnt lgkmcnt(2)
	v_and_b32_e32 v9, v7, v8
	s_mov_b32 s2, exec_lo
	v_cmpx_ne_u32_e32 0, v9
	s_xor_b32 s2, exec_lo, s2
	s_cbranch_execz .LBB94_277
; %bb.276:
	s_waitcnt lgkmcnt(0)
	v_cmp_lt_i64_e32 vcc_lo, v[3:4], v[1:2]
                                        ; implicit-def: $vgpr7
                                        ; implicit-def: $vgpr8
	v_cndmask_b32_e32 v2, v2, v4, vcc_lo
	v_cndmask_b32_e32 v1, v1, v3, vcc_lo
                                        ; implicit-def: $vgpr3_vgpr4
.LBB94_277:
	s_or_saveexec_b32 s2, s2
	v_mov_b32_e32 v9, 1
	s_xor_b32 exec_lo, exec_lo, s2
	s_cbranch_execz .LBB94_279
; %bb.278:
	v_and_b32_e32 v7, 1, v7
	v_cmp_eq_u32_e32 vcc_lo, 1, v7
	v_and_b32_e32 v7, 0xff, v8
	s_waitcnt lgkmcnt(0)
	v_cndmask_b32_e32 v2, v4, v2, vcc_lo
	v_cndmask_b32_e32 v1, v3, v1, vcc_lo
	v_cndmask_b32_e64 v9, v7, 1, vcc_lo
.LBB94_279:
	s_or_b32 exec_lo, exec_lo, s2
	v_mov_b32_e32 v7, v9
.LBB94_280:
	s_or_b32 exec_lo, exec_lo, s1
	v_cmp_gt_u32_e32 vcc_lo, 30, v5
	v_add_nc_u32_e32 v9, 2, v5
	s_mov_b32 s1, exec_lo
	s_waitcnt lgkmcnt(1)
	v_cndmask_b32_e64 v3, 0, 2, vcc_lo
	s_waitcnt lgkmcnt(0)
	v_add_lshl_u32 v4, v3, v5, 2
	ds_bpermute_b32 v8, v4, v7
	ds_bpermute_b32 v3, v4, v1
	ds_bpermute_b32 v4, v4, v2
	v_cmpx_lt_u32_e64 v9, v6
	s_cbranch_execz .LBB94_286
; %bb.281:
	s_waitcnt lgkmcnt(2)
	v_and_b32_e32 v9, v7, v8
	s_mov_b32 s2, exec_lo
	v_and_b32_e32 v9, 1, v9
	v_cmpx_eq_u32_e32 1, v9
	s_xor_b32 s2, exec_lo, s2
	s_cbranch_execz .LBB94_283
; %bb.282:
	s_waitcnt lgkmcnt(0)
	v_cmp_lt_i64_e32 vcc_lo, v[3:4], v[1:2]
                                        ; implicit-def: $vgpr7
                                        ; implicit-def: $vgpr8
	v_cndmask_b32_e32 v2, v2, v4, vcc_lo
	v_cndmask_b32_e32 v1, v1, v3, vcc_lo
                                        ; implicit-def: $vgpr3_vgpr4
.LBB94_283:
	s_or_saveexec_b32 s2, s2
	v_mov_b32_e32 v9, 1
	s_xor_b32 exec_lo, exec_lo, s2
	s_cbranch_execz .LBB94_285
; %bb.284:
	v_and_b32_e32 v7, 1, v7
	v_cmp_eq_u32_e32 vcc_lo, 1, v7
	v_and_b32_e32 v7, 0xff, v8
	s_waitcnt lgkmcnt(0)
	v_cndmask_b32_e32 v2, v4, v2, vcc_lo
	v_cndmask_b32_e32 v1, v3, v1, vcc_lo
	v_cndmask_b32_e64 v9, v7, 1, vcc_lo
.LBB94_285:
	s_or_b32 exec_lo, exec_lo, s2
	v_mov_b32_e32 v7, v9
.LBB94_286:
	s_or_b32 exec_lo, exec_lo, s1
	v_cmp_gt_u32_e32 vcc_lo, 28, v5
	v_add_nc_u32_e32 v9, 4, v5
	s_mov_b32 s1, exec_lo
	s_waitcnt lgkmcnt(1)
	v_cndmask_b32_e64 v3, 0, 4, vcc_lo
	s_waitcnt lgkmcnt(0)
	v_add_lshl_u32 v4, v3, v5, 2
	ds_bpermute_b32 v8, v4, v7
	ds_bpermute_b32 v3, v4, v1
	ds_bpermute_b32 v4, v4, v2
	v_cmpx_lt_u32_e64 v9, v6
	s_cbranch_execz .LBB94_292
; %bb.287:
	s_waitcnt lgkmcnt(2)
	v_and_b32_e32 v9, v7, v8
	s_mov_b32 s2, exec_lo
	v_and_b32_e32 v9, 1, v9
	v_cmpx_eq_u32_e32 1, v9
	s_xor_b32 s2, exec_lo, s2
	s_cbranch_execz .LBB94_289
; %bb.288:
	s_waitcnt lgkmcnt(0)
	v_cmp_lt_i64_e32 vcc_lo, v[3:4], v[1:2]
                                        ; implicit-def: $vgpr7
                                        ; implicit-def: $vgpr8
	v_cndmask_b32_e32 v2, v2, v4, vcc_lo
	v_cndmask_b32_e32 v1, v1, v3, vcc_lo
                                        ; implicit-def: $vgpr3_vgpr4
.LBB94_289:
	s_or_saveexec_b32 s2, s2
	v_mov_b32_e32 v9, 1
	s_xor_b32 exec_lo, exec_lo, s2
	s_cbranch_execz .LBB94_291
; %bb.290:
	v_and_b32_e32 v7, 1, v7
	v_cmp_eq_u32_e32 vcc_lo, 1, v7
	v_and_b32_e32 v7, 0xff, v8
	s_waitcnt lgkmcnt(0)
	v_cndmask_b32_e32 v2, v4, v2, vcc_lo
	v_cndmask_b32_e32 v1, v3, v1, vcc_lo
	v_cndmask_b32_e64 v9, v7, 1, vcc_lo
.LBB94_291:
	s_or_b32 exec_lo, exec_lo, s2
	v_mov_b32_e32 v7, v9
.LBB94_292:
	;; [unrolled: 46-line block ×3, first 2 shown]
	s_or_b32 exec_lo, exec_lo, s1
	s_waitcnt lgkmcnt(2)
	v_lshlrev_b32_e32 v8, 2, v5
	v_add_nc_u32_e32 v10, 16, v5
	s_waitcnt lgkmcnt(0)
	v_or_b32_e32 v4, 64, v8
	v_cmp_lt_u32_e32 vcc_lo, v10, v6
	v_mov_b32_e32 v6, v7
	ds_bpermute_b32 v9, v4, v7
	ds_bpermute_b32 v3, v4, v1
	;; [unrolled: 1-line block ×3, first 2 shown]
	s_and_saveexec_b32 s1, vcc_lo
	s_cbranch_execz .LBB94_304
; %bb.299:
	s_waitcnt lgkmcnt(2)
	v_and_b32_e32 v6, v7, v9
	s_mov_b32 s2, exec_lo
	v_and_b32_e32 v6, 1, v6
	v_cmpx_eq_u32_e32 1, v6
	s_xor_b32 s2, exec_lo, s2
	s_cbranch_execz .LBB94_301
; %bb.300:
	s_waitcnt lgkmcnt(0)
	v_cmp_lt_i64_e32 vcc_lo, v[3:4], v[1:2]
                                        ; implicit-def: $vgpr7
                                        ; implicit-def: $vgpr9
	v_cndmask_b32_e32 v2, v2, v4, vcc_lo
	v_cndmask_b32_e32 v1, v1, v3, vcc_lo
                                        ; implicit-def: $vgpr3_vgpr4
.LBB94_301:
	s_or_saveexec_b32 s2, s2
	v_mov_b32_e32 v6, 1
	s_xor_b32 exec_lo, exec_lo, s2
	s_cbranch_execz .LBB94_303
; %bb.302:
	v_and_b32_e32 v6, 1, v7
	v_cmp_eq_u32_e32 vcc_lo, 1, v6
	v_cndmask_b32_e64 v6, v9, 1, vcc_lo
	s_waitcnt lgkmcnt(0)
	v_cndmask_b32_e32 v2, v4, v2, vcc_lo
	v_cndmask_b32_e32 v1, v3, v1, vcc_lo
.LBB94_303:
	s_or_b32 exec_lo, exec_lo, s2
	v_and_b32_e32 v7, 0xff, v6
.LBB94_304:
	s_or_b32 exec_lo, exec_lo, s1
	s_mov_b32 s1, exec_lo
	v_cmpx_eq_u32_e32 0, v5
	s_cbranch_execz .LBB94_306
; %bb.305:
	s_waitcnt lgkmcnt(1)
	v_lshrrev_b32_e32 v3, 1, v0
	v_and_b32_e32 v3, 0x70, v3
	ds_write_b8 v3, v6 offset:512
	ds_write_b64 v3, v[1:2] offset:520
.LBB94_306:
	s_or_b32 exec_lo, exec_lo, s1
	s_mov_b32 s1, exec_lo
	s_waitcnt lgkmcnt(0)
	s_barrier
	buffer_gl0_inv
	v_cmpx_gt_u32_e32 8, v0
	s_cbranch_execz .LBB94_326
; %bb.307:
	v_lshlrev_b32_e32 v1, 4, v5
	v_and_b32_e32 v6, 7, v5
	s_add_i32 s0, s0, 31
	s_mov_b32 s2, exec_lo
	s_lshr_b32 s0, s0, 5
	ds_read_u8 v9, v1 offset:512
	ds_read_b64 v[1:2], v1 offset:520
	v_cmp_ne_u32_e32 vcc_lo, 7, v6
	v_add_nc_u32_e32 v11, 1, v6
	v_add_co_ci_u32_e64 v3, null, 0, v5, vcc_lo
	v_lshlrev_b32_e32 v4, 2, v3
	s_waitcnt lgkmcnt(1)
	v_and_b32_e32 v7, 0xff, v9
	s_waitcnt lgkmcnt(0)
	ds_bpermute_b32 v3, v4, v1
	ds_bpermute_b32 v10, v4, v7
	;; [unrolled: 1-line block ×3, first 2 shown]
	v_cmpx_gt_u32_e64 s0, v11
	s_cbranch_execz .LBB94_313
; %bb.308:
	s_waitcnt lgkmcnt(1)
	v_and_b32_e32 v7, v7, v10
	s_mov_b32 s3, exec_lo
	v_and_b32_e32 v7, 1, v7
	v_cmpx_eq_u32_e32 1, v7
	s_xor_b32 s3, exec_lo, s3
	s_cbranch_execz .LBB94_310
; %bb.309:
	s_waitcnt lgkmcnt(0)
	v_cmp_lt_i64_e32 vcc_lo, v[3:4], v[1:2]
                                        ; implicit-def: $vgpr9
                                        ; implicit-def: $vgpr10
	v_cndmask_b32_e32 v2, v2, v4, vcc_lo
	v_cndmask_b32_e32 v1, v1, v3, vcc_lo
                                        ; implicit-def: $vgpr3_vgpr4
.LBB94_310:
	s_or_saveexec_b32 s3, s3
	v_mov_b32_e32 v7, 1
	s_xor_b32 exec_lo, exec_lo, s3
	s_cbranch_execz .LBB94_312
; %bb.311:
	v_and_b32_e32 v7, 1, v9
	v_cmp_eq_u32_e32 vcc_lo, 1, v7
	v_and_b32_e32 v7, 0xff, v10
	s_waitcnt lgkmcnt(0)
	v_cndmask_b32_e32 v2, v4, v2, vcc_lo
	v_cndmask_b32_e32 v1, v3, v1, vcc_lo
	v_cndmask_b32_e64 v7, v7, 1, vcc_lo
.LBB94_312:
	s_or_b32 exec_lo, exec_lo, s3
.LBB94_313:
	s_or_b32 exec_lo, exec_lo, s2
	v_cmp_gt_u32_e32 vcc_lo, 6, v6
	v_add_nc_u32_e32 v9, 2, v6
	s_mov_b32 s2, exec_lo
	s_waitcnt lgkmcnt(2)
	v_cndmask_b32_e64 v3, 0, 2, vcc_lo
	s_waitcnt lgkmcnt(0)
	v_add_lshl_u32 v4, v3, v5, 2
	ds_bpermute_b32 v5, v4, v7
	ds_bpermute_b32 v3, v4, v1
	;; [unrolled: 1-line block ×3, first 2 shown]
	v_cmpx_gt_u32_e64 s0, v9
	s_cbranch_execz .LBB94_319
; %bb.314:
	s_waitcnt lgkmcnt(2)
	v_and_b32_e32 v9, v7, v5
	s_mov_b32 s3, exec_lo
	v_and_b32_e32 v9, 1, v9
	v_cmpx_eq_u32_e32 1, v9
	s_xor_b32 s3, exec_lo, s3
	s_cbranch_execz .LBB94_316
; %bb.315:
	s_waitcnt lgkmcnt(0)
	v_cmp_lt_i64_e32 vcc_lo, v[3:4], v[1:2]
                                        ; implicit-def: $vgpr7
                                        ; implicit-def: $vgpr5
	v_cndmask_b32_e32 v2, v2, v4, vcc_lo
	v_cndmask_b32_e32 v1, v1, v3, vcc_lo
                                        ; implicit-def: $vgpr3_vgpr4
.LBB94_316:
	s_or_saveexec_b32 s3, s3
	v_mov_b32_e32 v9, 1
	s_xor_b32 exec_lo, exec_lo, s3
	s_cbranch_execz .LBB94_318
; %bb.317:
	v_and_b32_e32 v7, 1, v7
	v_and_b32_e32 v5, 0xff, v5
	v_cmp_eq_u32_e32 vcc_lo, 1, v7
	s_waitcnt lgkmcnt(0)
	v_cndmask_b32_e32 v2, v4, v2, vcc_lo
	v_cndmask_b32_e32 v1, v3, v1, vcc_lo
	v_cndmask_b32_e64 v9, v5, 1, vcc_lo
.LBB94_318:
	s_or_b32 exec_lo, exec_lo, s3
	v_mov_b32_e32 v7, v9
.LBB94_319:
	s_or_b32 exec_lo, exec_lo, s2
	s_waitcnt lgkmcnt(0)
	v_or_b32_e32 v4, 16, v8
	v_add_nc_u32_e32 v6, 4, v6
	ds_bpermute_b32 v5, v4, v7
	ds_bpermute_b32 v3, v4, v1
	;; [unrolled: 1-line block ×3, first 2 shown]
	v_cmp_gt_u32_e32 vcc_lo, s0, v6
	s_and_saveexec_b32 s0, vcc_lo
	s_cbranch_execz .LBB94_325
; %bb.320:
	s_waitcnt lgkmcnt(2)
	v_and_b32_e32 v6, v7, v5
	s_mov_b32 s2, exec_lo
	v_and_b32_e32 v6, 1, v6
	v_cmpx_eq_u32_e32 1, v6
	s_xor_b32 s2, exec_lo, s2
	s_cbranch_execz .LBB94_322
; %bb.321:
	s_waitcnt lgkmcnt(0)
	v_cmp_lt_i64_e32 vcc_lo, v[3:4], v[1:2]
                                        ; implicit-def: $vgpr7
                                        ; implicit-def: $vgpr5
	v_cndmask_b32_e32 v2, v2, v4, vcc_lo
	v_cndmask_b32_e32 v1, v1, v3, vcc_lo
                                        ; implicit-def: $vgpr3_vgpr4
.LBB94_322:
	s_or_saveexec_b32 s2, s2
	v_mov_b32_e32 v6, 1
	s_xor_b32 exec_lo, exec_lo, s2
	s_cbranch_execz .LBB94_324
; %bb.323:
	v_and_b32_e32 v6, 1, v7
	v_cmp_eq_u32_e32 vcc_lo, 1, v6
	s_waitcnt lgkmcnt(0)
	v_cndmask_b32_e32 v2, v4, v2, vcc_lo
	v_cndmask_b32_e32 v1, v3, v1, vcc_lo
	v_cndmask_b32_e64 v6, v5, 1, vcc_lo
.LBB94_324:
	s_or_b32 exec_lo, exec_lo, s2
	v_mov_b32_e32 v7, v6
.LBB94_325:
	s_or_b32 exec_lo, exec_lo, s0
.LBB94_326:
	s_or_b32 exec_lo, exec_lo, s1
.LBB94_327:
                                        ; implicit-def: $vgpr3_vgpr4
                                        ; implicit-def: $vgpr5
	s_mov_b32 s0, exec_lo
	v_cmpx_eq_u32_e32 0, v0
	s_xor_b32 s2, exec_lo, s0
	s_cbranch_execz .LBB94_331
; %bb.328:
	s_waitcnt lgkmcnt(0)
	v_mov_b32_e32 v3, s20
	v_mov_b32_e32 v4, s21
	;; [unrolled: 1-line block ×3, first 2 shown]
	s_cmp_eq_u64 s[14:15], 0
	s_cbranch_scc1 .LBB94_330
; %bb.329:
	v_and_b32_e32 v3, 1, v7
	v_cmp_gt_i64_e32 vcc_lo, s[20:21], v[1:2]
	s_bitcmp1_b32 s24, 0
	s_cselect_b32 s1, -1, 0
	v_cmp_eq_u32_e64 s0, 1, v3
	v_cndmask_b32_e64 v5, v7, 1, s1
	s_and_b32 vcc_lo, s0, vcc_lo
	v_cndmask_b32_e32 v3, s20, v1, vcc_lo
	v_cndmask_b32_e32 v4, s21, v2, vcc_lo
	v_cndmask_b32_e64 v3, v1, v3, s1
	v_cndmask_b32_e64 v4, v2, v4, s1
.LBB94_330:
	s_or_b32 s22, s22, exec_lo
.LBB94_331:
	s_or_b32 exec_lo, exec_lo, s2
	v_mov_b32_e32 v1, s6
	v_mov_b32_e32 v2, s7
	s_branch .LBB94_356
.LBB94_332:
	s_cmp_eq_u32 s25, 1
	s_cbranch_scc0 .LBB94_355
; %bb.333:
	s_mov_b32 s3, 0
	s_lshr_b64 s[0:1], s[14:15], 8
	s_mov_b32 s7, s3
	s_lshl_b32 s2, s6, 8
	s_cmp_lg_u64 s[0:1], s[6:7]
	s_cbranch_scc0 .LBB94_359
; %bb.334:
	s_lshl_b64 s[0:1], s[2:3], 2
	v_lshlrev_b32_e32 v1, 2, v0
	s_add_u32 s8, s16, s0
	s_addc_u32 s9, s17, s1
	s_add_u32 s0, s18, s0
	s_addc_u32 s1, s19, s1
	s_waitcnt lgkmcnt(0)
	s_clause 0x1
	global_load_dword v4, v1, s[8:9]
	global_load_dword v5, v1, s[0:1]
	s_add_u32 s0, s12, s2
	s_addc_u32 s1, s13, 0
	v_add_co_u32 v1, s0, s0, v0
	v_add_co_ci_u32_e64 v2, null, s1, 0, s0
                                        ; implicit-def: $vgpr7
	v_mov_b32_dpp v3, v1 quad_perm:[1,0,3,2] row_mask:0xf bank_mask:0xf
	s_waitcnt vmcnt(0)
	v_cmp_neq_f32_e32 vcc_lo, v4, v5
	v_mov_b32_dpp v4, v2 quad_perm:[1,0,3,2] row_mask:0xf bank_mask:0xf
	v_cndmask_b32_e64 v5, 0, 1, vcc_lo
	v_cmp_lt_i64_e64 s0, v[1:2], v[3:4]
	v_mov_b32_dpp v5, v5 quad_perm:[1,0,3,2] row_mask:0xf bank_mask:0xf
	s_and_b32 s0, vcc_lo, s0
	v_cndmask_b32_e64 v3, v3, v1, s0
	v_and_b32_e32 v5, 1, v5
	v_cndmask_b32_e64 v4, v4, v2, s0
	v_cmp_eq_u32_e64 s0, 1, v5
	s_or_b32 s1, s0, vcc_lo
	v_cndmask_b32_e64 v4, v2, v4, s0
	v_cndmask_b32_e64 v2, 0, 1, s1
	;; [unrolled: 1-line block ×3, first 2 shown]
	v_mov_b32_dpp v6, v4 quad_perm:[2,3,0,1] row_mask:0xf bank_mask:0xf
	v_mov_b32_dpp v2, v2 quad_perm:[2,3,0,1] row_mask:0xf bank_mask:0xf
	;; [unrolled: 1-line block ×3, first 2 shown]
	v_and_b32_e32 v2, 1, v2
	v_cmp_eq_u32_e32 vcc_lo, 1, v2
                                        ; implicit-def: $vgpr1_vgpr2
	s_and_b32 s0, vcc_lo, s1
	s_xor_b32 s0, s0, -1
	s_and_saveexec_b32 s8, s0
	s_xor_b32 s0, exec_lo, s8
; %bb.335:
	s_or_b32 s1, vcc_lo, s1
	v_cndmask_b32_e32 v2, v4, v6, vcc_lo
	v_cndmask_b32_e32 v1, v3, v5, vcc_lo
	v_cndmask_b32_e64 v7, 0, 1, s1
                                        ; implicit-def: $vgpr3_vgpr4
                                        ; implicit-def: $vgpr5_vgpr6
; %bb.336:
	s_andn2_saveexec_b32 s0, s0
; %bb.337:
	v_cmp_lt_i64_e32 vcc_lo, v[3:4], v[5:6]
	v_mov_b32_e32 v7, 1
	v_cndmask_b32_e32 v2, v6, v4, vcc_lo
	v_cndmask_b32_e32 v1, v5, v3, vcc_lo
; %bb.338:
	s_or_b32 exec_lo, exec_lo, s0
	v_mov_b32_dpp v3, v1 row_ror:4 row_mask:0xf bank_mask:0xf
	v_mov_b32_dpp v4, v2 row_ror:4 row_mask:0xf bank_mask:0xf
	v_and_b32_e32 v6, 1, v7
	v_mov_b32_dpp v5, v7 row_ror:4 row_mask:0xf bank_mask:0xf
	v_mbcnt_lo_u32_b32 v8, -1, 0
	v_cmp_lt_i64_e32 vcc_lo, v[1:2], v[3:4]
	v_cmp_eq_u32_e64 s0, 1, v6
	v_and_b32_e32 v5, 1, v5
	s_and_b32 vcc_lo, s0, vcc_lo
	v_cmp_eq_u32_e64 s1, 1, v5
	v_cndmask_b32_e32 v3, v3, v1, vcc_lo
	v_cndmask_b32_e32 v4, v4, v2, vcc_lo
	v_cndmask_b32_e64 v5, v7, 1, s1
	v_cndmask_b32_e64 v1, v1, v3, s1
	;; [unrolled: 1-line block ×3, first 2 shown]
	v_and_b32_e32 v7, 1, v5
	v_mov_b32_dpp v3, v1 row_ror:8 row_mask:0xf bank_mask:0xf
	v_mov_b32_dpp v4, v2 row_ror:8 row_mask:0xf bank_mask:0xf
	;; [unrolled: 1-line block ×3, first 2 shown]
	v_cmp_eq_u32_e64 s0, 1, v7
	v_cmp_lt_i64_e32 vcc_lo, v[1:2], v[3:4]
	v_and_b32_e32 v6, 1, v6
	v_cmp_eq_u32_e64 s1, 1, v6
	s_and_b32 vcc_lo, s0, vcc_lo
	v_cndmask_b32_e32 v3, v3, v1, vcc_lo
	v_cndmask_b32_e32 v4, v4, v2, vcc_lo
	v_cndmask_b32_e64 v5, v5, 1, s1
	v_cndmask_b32_e64 v1, v1, v3, s1
	v_cndmask_b32_e64 v2, v2, v4, s1
	ds_swizzle_b32 v6, v5 offset:swizzle(BROADCAST,32,15)
	v_and_b32_e32 v7, 1, v5
	ds_swizzle_b32 v3, v1 offset:swizzle(BROADCAST,32,15)
	ds_swizzle_b32 v4, v2 offset:swizzle(BROADCAST,32,15)
	v_cmp_eq_u32_e64 s0, 1, v7
	s_waitcnt lgkmcnt(2)
	v_and_b32_e32 v6, 1, v6
	s_waitcnt lgkmcnt(0)
	v_cmp_lt_i64_e32 vcc_lo, v[1:2], v[3:4]
	v_cmp_eq_u32_e64 s1, 1, v6
	v_mov_b32_e32 v6, 0
	s_and_b32 vcc_lo, s0, vcc_lo
	v_cndmask_b32_e64 v5, v5, 1, s1
	v_cndmask_b32_e32 v3, v3, v1, vcc_lo
	v_cndmask_b32_e32 v4, v4, v2, vcc_lo
	s_mov_b32 s0, exec_lo
	ds_bpermute_b32 v7, v6, v5 offset:124
	v_cndmask_b32_e64 v1, v1, v3, s1
	v_cndmask_b32_e64 v2, v2, v4, s1
	ds_bpermute_b32 v1, v6, v1 offset:124
	ds_bpermute_b32 v2, v6, v2 offset:124
	v_cmpx_eq_u32_e32 0, v8
	s_cbranch_execz .LBB94_340
; %bb.339:
	v_lshrrev_b32_e32 v3, 1, v0
	v_and_b32_e32 v3, 0x70, v3
	s_waitcnt lgkmcnt(2)
	ds_write_b8 v3, v7
	s_waitcnt lgkmcnt(1)
	ds_write_b64 v3, v[1:2] offset:8
.LBB94_340:
	s_or_b32 exec_lo, exec_lo, s0
	s_mov_b32 s0, exec_lo
	s_waitcnt lgkmcnt(0)
	s_barrier
	buffer_gl0_inv
	v_cmpx_gt_u32_e32 32, v0
	s_cbranch_execz .LBB94_354
; %bb.341:
	v_and_b32_e32 v7, 7, v8
	v_lshlrev_b32_e32 v1, 4, v7
	v_cmp_ne_u32_e32 vcc_lo, 7, v7
	ds_read_u8 v10, v1
	ds_read_b64 v[3:4], v1 offset:8
	v_add_co_ci_u32_e64 v2, null, 0, v8, vcc_lo
	v_lshlrev_b32_e32 v2, 2, v2
	s_waitcnt lgkmcnt(1)
	v_and_b32_e32 v1, 0xff, v10
	s_waitcnt lgkmcnt(0)
	ds_bpermute_b32 v5, v2, v3
	ds_bpermute_b32 v6, v2, v4
	;; [unrolled: 1-line block ×3, first 2 shown]
	s_waitcnt lgkmcnt(0)
	v_and_b32_e32 v1, v10, v11
	v_and_b32_e32 v1, 1, v1
	v_cmp_eq_u32_e32 vcc_lo, 1, v1
                                        ; implicit-def: $vgpr1_vgpr2
	s_and_saveexec_b32 s1, vcc_lo
	s_xor_b32 s1, exec_lo, s1
; %bb.342:
	v_cmp_lt_i64_e32 vcc_lo, v[5:6], v[3:4]
                                        ; implicit-def: $vgpr10
                                        ; implicit-def: $vgpr11
	v_cndmask_b32_e32 v2, v4, v6, vcc_lo
	v_cndmask_b32_e32 v1, v3, v5, vcc_lo
                                        ; implicit-def: $vgpr5_vgpr6
                                        ; implicit-def: $vgpr3_vgpr4
; %bb.343:
	s_or_saveexec_b32 s1, s1
	v_mov_b32_e32 v9, 1
	s_xor_b32 exec_lo, exec_lo, s1
; %bb.344:
	v_and_b32_e32 v1, 1, v10
	v_and_b32_e32 v9, 0xff, v11
	v_cmp_eq_u32_e32 vcc_lo, 1, v1
	v_cndmask_b32_e32 v2, v6, v4, vcc_lo
	v_cndmask_b32_e32 v1, v5, v3, vcc_lo
	v_cndmask_b32_e64 v9, v9, 1, vcc_lo
; %bb.345:
	s_or_b32 exec_lo, exec_lo, s1
	v_cmp_gt_u32_e32 vcc_lo, 6, v7
	v_cndmask_b32_e64 v3, 0, 2, vcc_lo
	v_add_lshl_u32 v3, v3, v8, 2
	ds_bpermute_b32 v7, v3, v9
	ds_bpermute_b32 v5, v3, v1
	;; [unrolled: 1-line block ×3, first 2 shown]
	s_waitcnt lgkmcnt(2)
	v_and_b32_e32 v3, v9, v7
	v_and_b32_e32 v3, 1, v3
	v_cmp_eq_u32_e32 vcc_lo, 1, v3
                                        ; implicit-def: $vgpr3_vgpr4
	s_and_saveexec_b32 s1, vcc_lo
	s_xor_b32 s1, exec_lo, s1
	s_cbranch_execz .LBB94_347
; %bb.346:
	s_waitcnt lgkmcnt(0)
	v_cmp_lt_i64_e32 vcc_lo, v[5:6], v[1:2]
                                        ; implicit-def: $vgpr9
                                        ; implicit-def: $vgpr7
	v_cndmask_b32_e32 v4, v2, v6, vcc_lo
	v_cndmask_b32_e32 v3, v1, v5, vcc_lo
                                        ; implicit-def: $vgpr5_vgpr6
                                        ; implicit-def: $vgpr1_vgpr2
.LBB94_347:
	s_or_saveexec_b32 s1, s1
	v_lshlrev_b32_e32 v10, 2, v8
	v_mov_b32_e32 v8, 1
	s_xor_b32 exec_lo, exec_lo, s1
	s_cbranch_execz .LBB94_349
; %bb.348:
	v_and_b32_e32 v3, 1, v9
	v_and_b32_e32 v7, 0xff, v7
	v_cmp_eq_u32_e32 vcc_lo, 1, v3
	s_waitcnt lgkmcnt(0)
	v_cndmask_b32_e32 v4, v6, v2, vcc_lo
	v_cndmask_b32_e32 v3, v5, v1, vcc_lo
	v_cndmask_b32_e64 v8, v7, 1, vcc_lo
.LBB94_349:
	s_or_b32 exec_lo, exec_lo, s1
	v_or_b32_e32 v1, 16, v10
	ds_bpermute_b32 v9, v1, v8
	s_waitcnt lgkmcnt(2)
	ds_bpermute_b32 v5, v1, v3
	s_waitcnt lgkmcnt(2)
	;; [unrolled: 2-line block ×3, first 2 shown]
	v_and_b32_e32 v1, v8, v9
	v_and_b32_e32 v1, 1, v1
	v_cmp_eq_u32_e32 vcc_lo, 1, v1
                                        ; implicit-def: $vgpr1_vgpr2
	s_and_saveexec_b32 s1, vcc_lo
	s_xor_b32 s1, exec_lo, s1
	s_cbranch_execz .LBB94_351
; %bb.350:
	s_waitcnt lgkmcnt(0)
	v_cmp_lt_i64_e32 vcc_lo, v[5:6], v[3:4]
                                        ; implicit-def: $vgpr8
                                        ; implicit-def: $vgpr9
	v_cndmask_b32_e32 v2, v4, v6, vcc_lo
	v_cndmask_b32_e32 v1, v3, v5, vcc_lo
                                        ; implicit-def: $vgpr5_vgpr6
                                        ; implicit-def: $vgpr3_vgpr4
.LBB94_351:
	s_or_saveexec_b32 s1, s1
	v_mov_b32_e32 v7, 1
	s_xor_b32 exec_lo, exec_lo, s1
	s_cbranch_execz .LBB94_353
; %bb.352:
	v_and_b32_e32 v1, 1, v8
	v_cmp_eq_u32_e32 vcc_lo, 1, v1
	s_waitcnt lgkmcnt(0)
	v_cndmask_b32_e32 v2, v6, v4, vcc_lo
	v_cndmask_b32_e32 v1, v5, v3, vcc_lo
	v_cndmask_b32_e64 v7, v9, 1, vcc_lo
.LBB94_353:
	s_or_b32 exec_lo, exec_lo, s1
.LBB94_354:
	s_or_b32 exec_lo, exec_lo, s0
	s_branch .LBB94_415
.LBB94_355:
                                        ; implicit-def: $vgpr3_vgpr4
                                        ; implicit-def: $vgpr5
                                        ; implicit-def: $vgpr1_vgpr2
.LBB94_356:
	s_and_saveexec_b32 s0, s22
	s_cbranch_execz .LBB94_358
.LBB94_357:
	s_load_dwordx2 s[0:1], s[4:5], 0x38
	v_lshlrev_b64 v[0:1], 4, v[1:2]
	s_waitcnt lgkmcnt(0)
	v_add_co_u32 v0, vcc_lo, s0, v0
	v_add_co_ci_u32_e64 v1, null, s1, v1, vcc_lo
	global_store_byte v[0:1], v5, off
	global_store_dwordx2 v[0:1], v[3:4], off offset:8
.LBB94_358:
	s_endpgm
.LBB94_359:
                                        ; implicit-def: $vgpr1_vgpr2
                                        ; implicit-def: $vgpr7
	s_cbranch_execz .LBB94_415
; %bb.360:
	v_mov_b32_e32 v1, 0
	v_mov_b32_e32 v2, 0
	;; [unrolled: 1-line block ×3, first 2 shown]
	s_sub_i32 s0, s14, s2
	s_mov_b32 s1, exec_lo
	v_cmpx_gt_u32_e64 s0, v0
	s_cbranch_execz .LBB94_362
; %bb.361:
	s_lshl_b64 s[8:9], s[2:3], 2
	v_lshlrev_b32_e32 v1, 2, v0
	s_add_u32 s10, s18, s8
	s_addc_u32 s11, s19, s9
	s_add_u32 s8, s16, s8
	s_addc_u32 s9, s17, s9
	s_add_u32 s2, s12, s2
	s_waitcnt lgkmcnt(1)
	global_load_dword v3, v1, s[8:9]
	s_waitcnt lgkmcnt(0)
	global_load_dword v4, v1, s[10:11]
	s_addc_u32 s3, s13, 0
	v_add_co_u32 v1, s2, s2, v0
	v_add_co_ci_u32_e64 v2, null, s3, 0, s2
	s_waitcnt vmcnt(0)
	v_cmp_neq_f32_e32 vcc_lo, v3, v4
	v_cndmask_b32_e64 v8, 0, 1, vcc_lo
.LBB94_362:
	s_or_b32 exec_lo, exec_lo, s1
	s_waitcnt lgkmcnt(1)
	v_mbcnt_lo_u32_b32 v5, -1, 0
	v_and_b32_e32 v7, 0xffff, v8
	s_waitcnt lgkmcnt(0)
	v_and_b32_e32 v6, 0xe0, v0
	s_min_u32 s0, s0, 0x100
	s_mov_b32 s1, exec_lo
	v_cmp_ne_u32_e32 vcc_lo, 31, v5
	v_add_nc_u32_e32 v10, 1, v5
	v_sub_nc_u32_e64 v6, s0, v6 clamp
	v_add_co_ci_u32_e64 v3, null, 0, v5, vcc_lo
	v_lshlrev_b32_e32 v4, 2, v3
	ds_bpermute_b32 v9, v4, v7
	ds_bpermute_b32 v3, v4, v1
	;; [unrolled: 1-line block ×3, first 2 shown]
	v_cmpx_lt_u32_e64 v10, v6
	s_cbranch_execz .LBB94_368
; %bb.363:
	s_waitcnt lgkmcnt(2)
	v_and_b32_e32 v7, v9, v7
	s_mov_b32 s2, exec_lo
	v_and_b32_e32 v7, 1, v7
	v_cmpx_eq_u32_e32 1, v7
	s_xor_b32 s2, exec_lo, s2
	s_cbranch_execz .LBB94_365
; %bb.364:
	s_waitcnt lgkmcnt(0)
	v_cmp_lt_i64_e32 vcc_lo, v[3:4], v[1:2]
                                        ; implicit-def: $vgpr8
                                        ; implicit-def: $vgpr9
	v_cndmask_b32_e32 v2, v2, v4, vcc_lo
	v_cndmask_b32_e32 v1, v1, v3, vcc_lo
                                        ; implicit-def: $vgpr3_vgpr4
.LBB94_365:
	s_or_saveexec_b32 s2, s2
	v_mov_b32_e32 v7, 1
	s_xor_b32 exec_lo, exec_lo, s2
	s_cbranch_execz .LBB94_367
; %bb.366:
	v_and_b32_e32 v7, 1, v8
	v_cmp_eq_u32_e32 vcc_lo, 1, v7
	v_and_b32_e32 v7, 0xff, v9
	s_waitcnt lgkmcnt(0)
	v_cndmask_b32_e32 v2, v4, v2, vcc_lo
	v_cndmask_b32_e32 v1, v3, v1, vcc_lo
	v_cndmask_b32_e64 v7, v7, 1, vcc_lo
.LBB94_367:
	s_or_b32 exec_lo, exec_lo, s2
.LBB94_368:
	s_or_b32 exec_lo, exec_lo, s1
	v_cmp_gt_u32_e32 vcc_lo, 30, v5
	s_waitcnt lgkmcnt(2)
	v_add_nc_u32_e32 v9, 2, v5
	s_mov_b32 s1, exec_lo
	s_waitcnt lgkmcnt(1)
	v_cndmask_b32_e64 v3, 0, 2, vcc_lo
	s_waitcnt lgkmcnt(0)
	v_add_lshl_u32 v4, v3, v5, 2
	ds_bpermute_b32 v8, v4, v7
	ds_bpermute_b32 v3, v4, v1
	;; [unrolled: 1-line block ×3, first 2 shown]
	v_cmpx_lt_u32_e64 v9, v6
	s_cbranch_execz .LBB94_374
; %bb.369:
	s_waitcnt lgkmcnt(2)
	v_and_b32_e32 v9, v7, v8
	s_mov_b32 s2, exec_lo
	v_and_b32_e32 v9, 1, v9
	v_cmpx_eq_u32_e32 1, v9
	s_xor_b32 s2, exec_lo, s2
	s_cbranch_execz .LBB94_371
; %bb.370:
	s_waitcnt lgkmcnt(0)
	v_cmp_lt_i64_e32 vcc_lo, v[3:4], v[1:2]
                                        ; implicit-def: $vgpr7
                                        ; implicit-def: $vgpr8
	v_cndmask_b32_e32 v2, v2, v4, vcc_lo
	v_cndmask_b32_e32 v1, v1, v3, vcc_lo
                                        ; implicit-def: $vgpr3_vgpr4
.LBB94_371:
	s_or_saveexec_b32 s2, s2
	v_mov_b32_e32 v9, 1
	s_xor_b32 exec_lo, exec_lo, s2
	s_cbranch_execz .LBB94_373
; %bb.372:
	v_and_b32_e32 v7, 1, v7
	v_cmp_eq_u32_e32 vcc_lo, 1, v7
	v_and_b32_e32 v7, 0xff, v8
	s_waitcnt lgkmcnt(0)
	v_cndmask_b32_e32 v2, v4, v2, vcc_lo
	v_cndmask_b32_e32 v1, v3, v1, vcc_lo
	v_cndmask_b32_e64 v9, v7, 1, vcc_lo
.LBB94_373:
	s_or_b32 exec_lo, exec_lo, s2
	v_mov_b32_e32 v7, v9
.LBB94_374:
	s_or_b32 exec_lo, exec_lo, s1
	v_cmp_gt_u32_e32 vcc_lo, 28, v5
	v_add_nc_u32_e32 v9, 4, v5
	s_mov_b32 s1, exec_lo
	s_waitcnt lgkmcnt(1)
	v_cndmask_b32_e64 v3, 0, 4, vcc_lo
	s_waitcnt lgkmcnt(0)
	v_add_lshl_u32 v4, v3, v5, 2
	ds_bpermute_b32 v8, v4, v7
	ds_bpermute_b32 v3, v4, v1
	ds_bpermute_b32 v4, v4, v2
	v_cmpx_lt_u32_e64 v9, v6
	s_cbranch_execz .LBB94_380
; %bb.375:
	s_waitcnt lgkmcnt(2)
	v_and_b32_e32 v9, v7, v8
	s_mov_b32 s2, exec_lo
	v_and_b32_e32 v9, 1, v9
	v_cmpx_eq_u32_e32 1, v9
	s_xor_b32 s2, exec_lo, s2
	s_cbranch_execz .LBB94_377
; %bb.376:
	s_waitcnt lgkmcnt(0)
	v_cmp_lt_i64_e32 vcc_lo, v[3:4], v[1:2]
                                        ; implicit-def: $vgpr7
                                        ; implicit-def: $vgpr8
	v_cndmask_b32_e32 v2, v2, v4, vcc_lo
	v_cndmask_b32_e32 v1, v1, v3, vcc_lo
                                        ; implicit-def: $vgpr3_vgpr4
.LBB94_377:
	s_or_saveexec_b32 s2, s2
	v_mov_b32_e32 v9, 1
	s_xor_b32 exec_lo, exec_lo, s2
	s_cbranch_execz .LBB94_379
; %bb.378:
	v_and_b32_e32 v7, 1, v7
	v_cmp_eq_u32_e32 vcc_lo, 1, v7
	v_and_b32_e32 v7, 0xff, v8
	s_waitcnt lgkmcnt(0)
	v_cndmask_b32_e32 v2, v4, v2, vcc_lo
	v_cndmask_b32_e32 v1, v3, v1, vcc_lo
	v_cndmask_b32_e64 v9, v7, 1, vcc_lo
.LBB94_379:
	s_or_b32 exec_lo, exec_lo, s2
	v_mov_b32_e32 v7, v9
.LBB94_380:
	s_or_b32 exec_lo, exec_lo, s1
	v_cmp_gt_u32_e32 vcc_lo, 24, v5
	v_add_nc_u32_e32 v9, 8, v5
	s_mov_b32 s1, exec_lo
	s_waitcnt lgkmcnt(1)
	v_cndmask_b32_e64 v3, 0, 8, vcc_lo
	s_waitcnt lgkmcnt(0)
	v_add_lshl_u32 v4, v3, v5, 2
	ds_bpermute_b32 v8, v4, v7
	ds_bpermute_b32 v3, v4, v1
	;; [unrolled: 1-line block ×3, first 2 shown]
	v_cmpx_lt_u32_e64 v9, v6
	s_cbranch_execz .LBB94_386
; %bb.381:
	s_waitcnt lgkmcnt(2)
	v_and_b32_e32 v9, v7, v8
	s_mov_b32 s2, exec_lo
	v_and_b32_e32 v9, 1, v9
	v_cmpx_eq_u32_e32 1, v9
	s_xor_b32 s2, exec_lo, s2
	s_cbranch_execz .LBB94_383
; %bb.382:
	s_waitcnt lgkmcnt(0)
	v_cmp_lt_i64_e32 vcc_lo, v[3:4], v[1:2]
                                        ; implicit-def: $vgpr7
                                        ; implicit-def: $vgpr8
	v_cndmask_b32_e32 v2, v2, v4, vcc_lo
	v_cndmask_b32_e32 v1, v1, v3, vcc_lo
                                        ; implicit-def: $vgpr3_vgpr4
.LBB94_383:
	s_or_saveexec_b32 s2, s2
	v_mov_b32_e32 v9, 1
	s_xor_b32 exec_lo, exec_lo, s2
	s_cbranch_execz .LBB94_385
; %bb.384:
	v_and_b32_e32 v7, 1, v7
	v_cmp_eq_u32_e32 vcc_lo, 1, v7
	v_and_b32_e32 v7, 0xff, v8
	s_waitcnt lgkmcnt(0)
	v_cndmask_b32_e32 v2, v4, v2, vcc_lo
	v_cndmask_b32_e32 v1, v3, v1, vcc_lo
	v_cndmask_b32_e64 v9, v7, 1, vcc_lo
.LBB94_385:
	s_or_b32 exec_lo, exec_lo, s2
	v_mov_b32_e32 v7, v9
.LBB94_386:
	s_or_b32 exec_lo, exec_lo, s1
	s_waitcnt lgkmcnt(2)
	v_lshlrev_b32_e32 v8, 2, v5
	v_add_nc_u32_e32 v10, 16, v5
	s_waitcnt lgkmcnt(0)
	v_or_b32_e32 v4, 64, v8
	v_cmp_lt_u32_e32 vcc_lo, v10, v6
	v_mov_b32_e32 v6, v7
	ds_bpermute_b32 v9, v4, v7
	ds_bpermute_b32 v3, v4, v1
	;; [unrolled: 1-line block ×3, first 2 shown]
	s_and_saveexec_b32 s1, vcc_lo
	s_cbranch_execz .LBB94_392
; %bb.387:
	s_waitcnt lgkmcnt(2)
	v_and_b32_e32 v6, v7, v9
	s_mov_b32 s2, exec_lo
	v_and_b32_e32 v6, 1, v6
	v_cmpx_eq_u32_e32 1, v6
	s_xor_b32 s2, exec_lo, s2
	s_cbranch_execz .LBB94_389
; %bb.388:
	s_waitcnt lgkmcnt(0)
	v_cmp_lt_i64_e32 vcc_lo, v[3:4], v[1:2]
                                        ; implicit-def: $vgpr7
                                        ; implicit-def: $vgpr9
	v_cndmask_b32_e32 v2, v2, v4, vcc_lo
	v_cndmask_b32_e32 v1, v1, v3, vcc_lo
                                        ; implicit-def: $vgpr3_vgpr4
.LBB94_389:
	s_or_saveexec_b32 s2, s2
	v_mov_b32_e32 v6, 1
	s_xor_b32 exec_lo, exec_lo, s2
	s_cbranch_execz .LBB94_391
; %bb.390:
	v_and_b32_e32 v6, 1, v7
	v_cmp_eq_u32_e32 vcc_lo, 1, v6
	v_cndmask_b32_e64 v6, v9, 1, vcc_lo
	s_waitcnt lgkmcnt(0)
	v_cndmask_b32_e32 v2, v4, v2, vcc_lo
	v_cndmask_b32_e32 v1, v3, v1, vcc_lo
.LBB94_391:
	s_or_b32 exec_lo, exec_lo, s2
	v_and_b32_e32 v7, 0xff, v6
.LBB94_392:
	s_or_b32 exec_lo, exec_lo, s1
	s_mov_b32 s1, exec_lo
	v_cmpx_eq_u32_e32 0, v5
	s_cbranch_execz .LBB94_394
; %bb.393:
	s_waitcnt lgkmcnt(1)
	v_lshrrev_b32_e32 v3, 1, v0
	v_and_b32_e32 v3, 0x70, v3
	ds_write_b8 v3, v6 offset:512
	ds_write_b64 v3, v[1:2] offset:520
.LBB94_394:
	s_or_b32 exec_lo, exec_lo, s1
	s_mov_b32 s1, exec_lo
	s_waitcnt lgkmcnt(0)
	s_barrier
	buffer_gl0_inv
	v_cmpx_gt_u32_e32 8, v0
	s_cbranch_execz .LBB94_414
; %bb.395:
	v_lshlrev_b32_e32 v1, 4, v5
	v_and_b32_e32 v6, 7, v5
	s_add_i32 s0, s0, 31
	s_mov_b32 s2, exec_lo
	s_lshr_b32 s0, s0, 5
	ds_read_u8 v9, v1 offset:512
	ds_read_b64 v[1:2], v1 offset:520
	v_cmp_ne_u32_e32 vcc_lo, 7, v6
	v_add_nc_u32_e32 v11, 1, v6
	v_add_co_ci_u32_e64 v3, null, 0, v5, vcc_lo
	v_lshlrev_b32_e32 v4, 2, v3
	s_waitcnt lgkmcnt(1)
	v_and_b32_e32 v7, 0xff, v9
	s_waitcnt lgkmcnt(0)
	ds_bpermute_b32 v3, v4, v1
	ds_bpermute_b32 v10, v4, v7
	;; [unrolled: 1-line block ×3, first 2 shown]
	v_cmpx_gt_u32_e64 s0, v11
	s_cbranch_execz .LBB94_401
; %bb.396:
	s_waitcnt lgkmcnt(1)
	v_and_b32_e32 v7, v7, v10
	s_mov_b32 s3, exec_lo
	v_and_b32_e32 v7, 1, v7
	v_cmpx_eq_u32_e32 1, v7
	s_xor_b32 s3, exec_lo, s3
	s_cbranch_execz .LBB94_398
; %bb.397:
	s_waitcnt lgkmcnt(0)
	v_cmp_lt_i64_e32 vcc_lo, v[3:4], v[1:2]
                                        ; implicit-def: $vgpr9
                                        ; implicit-def: $vgpr10
	v_cndmask_b32_e32 v2, v2, v4, vcc_lo
	v_cndmask_b32_e32 v1, v1, v3, vcc_lo
                                        ; implicit-def: $vgpr3_vgpr4
.LBB94_398:
	s_or_saveexec_b32 s3, s3
	v_mov_b32_e32 v7, 1
	s_xor_b32 exec_lo, exec_lo, s3
	s_cbranch_execz .LBB94_400
; %bb.399:
	v_and_b32_e32 v7, 1, v9
	v_cmp_eq_u32_e32 vcc_lo, 1, v7
	v_and_b32_e32 v7, 0xff, v10
	s_waitcnt lgkmcnt(0)
	v_cndmask_b32_e32 v2, v4, v2, vcc_lo
	v_cndmask_b32_e32 v1, v3, v1, vcc_lo
	v_cndmask_b32_e64 v7, v7, 1, vcc_lo
.LBB94_400:
	s_or_b32 exec_lo, exec_lo, s3
.LBB94_401:
	s_or_b32 exec_lo, exec_lo, s2
	v_cmp_gt_u32_e32 vcc_lo, 6, v6
	v_add_nc_u32_e32 v9, 2, v6
	s_mov_b32 s2, exec_lo
	s_waitcnt lgkmcnt(2)
	v_cndmask_b32_e64 v3, 0, 2, vcc_lo
	s_waitcnt lgkmcnt(0)
	v_add_lshl_u32 v4, v3, v5, 2
	ds_bpermute_b32 v5, v4, v7
	ds_bpermute_b32 v3, v4, v1
	;; [unrolled: 1-line block ×3, first 2 shown]
	v_cmpx_gt_u32_e64 s0, v9
	s_cbranch_execz .LBB94_407
; %bb.402:
	s_waitcnt lgkmcnt(2)
	v_and_b32_e32 v9, v7, v5
	s_mov_b32 s3, exec_lo
	v_and_b32_e32 v9, 1, v9
	v_cmpx_eq_u32_e32 1, v9
	s_xor_b32 s3, exec_lo, s3
	s_cbranch_execz .LBB94_404
; %bb.403:
	s_waitcnt lgkmcnt(0)
	v_cmp_lt_i64_e32 vcc_lo, v[3:4], v[1:2]
                                        ; implicit-def: $vgpr7
                                        ; implicit-def: $vgpr5
	v_cndmask_b32_e32 v2, v2, v4, vcc_lo
	v_cndmask_b32_e32 v1, v1, v3, vcc_lo
                                        ; implicit-def: $vgpr3_vgpr4
.LBB94_404:
	s_or_saveexec_b32 s3, s3
	v_mov_b32_e32 v9, 1
	s_xor_b32 exec_lo, exec_lo, s3
	s_cbranch_execz .LBB94_406
; %bb.405:
	v_and_b32_e32 v7, 1, v7
	v_and_b32_e32 v5, 0xff, v5
	v_cmp_eq_u32_e32 vcc_lo, 1, v7
	s_waitcnt lgkmcnt(0)
	v_cndmask_b32_e32 v2, v4, v2, vcc_lo
	v_cndmask_b32_e32 v1, v3, v1, vcc_lo
	v_cndmask_b32_e64 v9, v5, 1, vcc_lo
.LBB94_406:
	s_or_b32 exec_lo, exec_lo, s3
	v_mov_b32_e32 v7, v9
.LBB94_407:
	s_or_b32 exec_lo, exec_lo, s2
	s_waitcnt lgkmcnt(0)
	v_or_b32_e32 v4, 16, v8
	v_add_nc_u32_e32 v6, 4, v6
	ds_bpermute_b32 v5, v4, v7
	ds_bpermute_b32 v3, v4, v1
	ds_bpermute_b32 v4, v4, v2
	v_cmp_gt_u32_e32 vcc_lo, s0, v6
	s_and_saveexec_b32 s0, vcc_lo
	s_cbranch_execz .LBB94_413
; %bb.408:
	s_waitcnt lgkmcnt(2)
	v_and_b32_e32 v6, v7, v5
	s_mov_b32 s2, exec_lo
	v_and_b32_e32 v6, 1, v6
	v_cmpx_eq_u32_e32 1, v6
	s_xor_b32 s2, exec_lo, s2
	s_cbranch_execz .LBB94_410
; %bb.409:
	s_waitcnt lgkmcnt(0)
	v_cmp_lt_i64_e32 vcc_lo, v[3:4], v[1:2]
                                        ; implicit-def: $vgpr7
                                        ; implicit-def: $vgpr5
	v_cndmask_b32_e32 v2, v2, v4, vcc_lo
	v_cndmask_b32_e32 v1, v1, v3, vcc_lo
                                        ; implicit-def: $vgpr3_vgpr4
.LBB94_410:
	s_or_saveexec_b32 s2, s2
	v_mov_b32_e32 v6, 1
	s_xor_b32 exec_lo, exec_lo, s2
	s_cbranch_execz .LBB94_412
; %bb.411:
	v_and_b32_e32 v6, 1, v7
	v_cmp_eq_u32_e32 vcc_lo, 1, v6
	s_waitcnt lgkmcnt(0)
	v_cndmask_b32_e32 v2, v4, v2, vcc_lo
	v_cndmask_b32_e32 v1, v3, v1, vcc_lo
	v_cndmask_b32_e64 v6, v5, 1, vcc_lo
.LBB94_412:
	s_or_b32 exec_lo, exec_lo, s2
	v_mov_b32_e32 v7, v6
.LBB94_413:
	s_or_b32 exec_lo, exec_lo, s0
.LBB94_414:
	s_or_b32 exec_lo, exec_lo, s1
.LBB94_415:
	s_mov_b32 s2, exec_lo
                                        ; implicit-def: $vgpr3_vgpr4
                                        ; implicit-def: $vgpr5
	v_cmpx_eq_u32_e32 0, v0
	s_cbranch_execz .LBB94_419
; %bb.416:
	s_waitcnt lgkmcnt(0)
	v_mov_b32_e32 v3, s20
	v_mov_b32_e32 v4, s21
	;; [unrolled: 1-line block ×3, first 2 shown]
	s_cmp_eq_u64 s[14:15], 0
	s_cbranch_scc1 .LBB94_418
; %bb.417:
	v_and_b32_e32 v0, 1, v7
	v_cmp_gt_i64_e32 vcc_lo, s[20:21], v[1:2]
	s_bitcmp1_b32 s24, 0
	s_cselect_b32 s1, -1, 0
	v_cmp_eq_u32_e64 s0, 1, v0
	v_cndmask_b32_e64 v5, v7, 1, s1
	s_and_b32 vcc_lo, s0, vcc_lo
	v_cndmask_b32_e32 v0, s20, v1, vcc_lo
	v_cndmask_b32_e32 v3, s21, v2, vcc_lo
	v_cndmask_b32_e64 v4, v2, v3, s1
	v_cndmask_b32_e64 v3, v1, v0, s1
.LBB94_418:
	s_or_b32 s22, s22, exec_lo
.LBB94_419:
	s_or_b32 exec_lo, exec_lo, s2
	v_mov_b32_e32 v1, s6
	v_mov_b32_e32 v2, s7
	s_and_saveexec_b32 s0, s22
	s_cbranch_execnz .LBB94_357
	s_branch .LBB94_358
	.section	.rodata,"a",@progbits
	.p2align	6, 0x0
	.amdhsa_kernel _ZN7rocprim17ROCPRIM_400000_NS6detail17trampoline_kernelINS0_14default_configENS1_22reduce_config_selectorIN6thrust23THRUST_200600_302600_NS5tupleIblNS6_9null_typeES8_S8_S8_S8_S8_S8_S8_EEEEZNS1_11reduce_implILb1ES3_NS6_12zip_iteratorINS7_INS6_11hip_rocprim26transform_input_iterator_tIbNSD_35transform_pair_of_input_iterators_tIbNS6_6detail15normal_iteratorINS6_10device_ptrIKfEEEESL_NS6_8equal_toIfEEEENSG_9not_fun_tINSD_8identityEEEEENSD_19counting_iterator_tIlEES8_S8_S8_S8_S8_S8_S8_S8_EEEEPS9_S9_NSD_9__find_if7functorIS9_EEEE10hipError_tPvRmT1_T2_T3_mT4_P12ihipStream_tbEUlT_E1_NS1_11comp_targetILNS1_3genE8ELNS1_11target_archE1030ELNS1_3gpuE2ELNS1_3repE0EEENS1_30default_config_static_selectorELNS0_4arch9wavefront6targetE0EEEvS14_
		.amdhsa_group_segment_fixed_size 640
		.amdhsa_private_segment_fixed_size 0
		.amdhsa_kernarg_size 88
		.amdhsa_user_sgpr_count 6
		.amdhsa_user_sgpr_private_segment_buffer 1
		.amdhsa_user_sgpr_dispatch_ptr 0
		.amdhsa_user_sgpr_queue_ptr 0
		.amdhsa_user_sgpr_kernarg_segment_ptr 1
		.amdhsa_user_sgpr_dispatch_id 0
		.amdhsa_user_sgpr_flat_scratch_init 0
		.amdhsa_user_sgpr_private_segment_size 0
		.amdhsa_wavefront_size32 1
		.amdhsa_uses_dynamic_stack 0
		.amdhsa_system_sgpr_private_segment_wavefront_offset 0
		.amdhsa_system_sgpr_workgroup_id_x 1
		.amdhsa_system_sgpr_workgroup_id_y 0
		.amdhsa_system_sgpr_workgroup_id_z 0
		.amdhsa_system_sgpr_workgroup_info 0
		.amdhsa_system_vgpr_workitem_id 0
		.amdhsa_next_free_vgpr 27
		.amdhsa_next_free_sgpr 32
		.amdhsa_reserve_vcc 1
		.amdhsa_reserve_flat_scratch 0
		.amdhsa_float_round_mode_32 0
		.amdhsa_float_round_mode_16_64 0
		.amdhsa_float_denorm_mode_32 3
		.amdhsa_float_denorm_mode_16_64 3
		.amdhsa_dx10_clamp 1
		.amdhsa_ieee_mode 1
		.amdhsa_fp16_overflow 0
		.amdhsa_workgroup_processor_mode 1
		.amdhsa_memory_ordered 1
		.amdhsa_forward_progress 1
		.amdhsa_shared_vgpr_count 0
		.amdhsa_exception_fp_ieee_invalid_op 0
		.amdhsa_exception_fp_denorm_src 0
		.amdhsa_exception_fp_ieee_div_zero 0
		.amdhsa_exception_fp_ieee_overflow 0
		.amdhsa_exception_fp_ieee_underflow 0
		.amdhsa_exception_fp_ieee_inexact 0
		.amdhsa_exception_int_div_zero 0
	.end_amdhsa_kernel
	.section	.text._ZN7rocprim17ROCPRIM_400000_NS6detail17trampoline_kernelINS0_14default_configENS1_22reduce_config_selectorIN6thrust23THRUST_200600_302600_NS5tupleIblNS6_9null_typeES8_S8_S8_S8_S8_S8_S8_EEEEZNS1_11reduce_implILb1ES3_NS6_12zip_iteratorINS7_INS6_11hip_rocprim26transform_input_iterator_tIbNSD_35transform_pair_of_input_iterators_tIbNS6_6detail15normal_iteratorINS6_10device_ptrIKfEEEESL_NS6_8equal_toIfEEEENSG_9not_fun_tINSD_8identityEEEEENSD_19counting_iterator_tIlEES8_S8_S8_S8_S8_S8_S8_S8_EEEEPS9_S9_NSD_9__find_if7functorIS9_EEEE10hipError_tPvRmT1_T2_T3_mT4_P12ihipStream_tbEUlT_E1_NS1_11comp_targetILNS1_3genE8ELNS1_11target_archE1030ELNS1_3gpuE2ELNS1_3repE0EEENS1_30default_config_static_selectorELNS0_4arch9wavefront6targetE0EEEvS14_,"axG",@progbits,_ZN7rocprim17ROCPRIM_400000_NS6detail17trampoline_kernelINS0_14default_configENS1_22reduce_config_selectorIN6thrust23THRUST_200600_302600_NS5tupleIblNS6_9null_typeES8_S8_S8_S8_S8_S8_S8_EEEEZNS1_11reduce_implILb1ES3_NS6_12zip_iteratorINS7_INS6_11hip_rocprim26transform_input_iterator_tIbNSD_35transform_pair_of_input_iterators_tIbNS6_6detail15normal_iteratorINS6_10device_ptrIKfEEEESL_NS6_8equal_toIfEEEENSG_9not_fun_tINSD_8identityEEEEENSD_19counting_iterator_tIlEES8_S8_S8_S8_S8_S8_S8_S8_EEEEPS9_S9_NSD_9__find_if7functorIS9_EEEE10hipError_tPvRmT1_T2_T3_mT4_P12ihipStream_tbEUlT_E1_NS1_11comp_targetILNS1_3genE8ELNS1_11target_archE1030ELNS1_3gpuE2ELNS1_3repE0EEENS1_30default_config_static_selectorELNS0_4arch9wavefront6targetE0EEEvS14_,comdat
.Lfunc_end94:
	.size	_ZN7rocprim17ROCPRIM_400000_NS6detail17trampoline_kernelINS0_14default_configENS1_22reduce_config_selectorIN6thrust23THRUST_200600_302600_NS5tupleIblNS6_9null_typeES8_S8_S8_S8_S8_S8_S8_EEEEZNS1_11reduce_implILb1ES3_NS6_12zip_iteratorINS7_INS6_11hip_rocprim26transform_input_iterator_tIbNSD_35transform_pair_of_input_iterators_tIbNS6_6detail15normal_iteratorINS6_10device_ptrIKfEEEESL_NS6_8equal_toIfEEEENSG_9not_fun_tINSD_8identityEEEEENSD_19counting_iterator_tIlEES8_S8_S8_S8_S8_S8_S8_S8_EEEEPS9_S9_NSD_9__find_if7functorIS9_EEEE10hipError_tPvRmT1_T2_T3_mT4_P12ihipStream_tbEUlT_E1_NS1_11comp_targetILNS1_3genE8ELNS1_11target_archE1030ELNS1_3gpuE2ELNS1_3repE0EEENS1_30default_config_static_selectorELNS0_4arch9wavefront6targetE0EEEvS14_, .Lfunc_end94-_ZN7rocprim17ROCPRIM_400000_NS6detail17trampoline_kernelINS0_14default_configENS1_22reduce_config_selectorIN6thrust23THRUST_200600_302600_NS5tupleIblNS6_9null_typeES8_S8_S8_S8_S8_S8_S8_EEEEZNS1_11reduce_implILb1ES3_NS6_12zip_iteratorINS7_INS6_11hip_rocprim26transform_input_iterator_tIbNSD_35transform_pair_of_input_iterators_tIbNS6_6detail15normal_iteratorINS6_10device_ptrIKfEEEESL_NS6_8equal_toIfEEEENSG_9not_fun_tINSD_8identityEEEEENSD_19counting_iterator_tIlEES8_S8_S8_S8_S8_S8_S8_S8_EEEEPS9_S9_NSD_9__find_if7functorIS9_EEEE10hipError_tPvRmT1_T2_T3_mT4_P12ihipStream_tbEUlT_E1_NS1_11comp_targetILNS1_3genE8ELNS1_11target_archE1030ELNS1_3gpuE2ELNS1_3repE0EEENS1_30default_config_static_selectorELNS0_4arch9wavefront6targetE0EEEvS14_
                                        ; -- End function
	.set _ZN7rocprim17ROCPRIM_400000_NS6detail17trampoline_kernelINS0_14default_configENS1_22reduce_config_selectorIN6thrust23THRUST_200600_302600_NS5tupleIblNS6_9null_typeES8_S8_S8_S8_S8_S8_S8_EEEEZNS1_11reduce_implILb1ES3_NS6_12zip_iteratorINS7_INS6_11hip_rocprim26transform_input_iterator_tIbNSD_35transform_pair_of_input_iterators_tIbNS6_6detail15normal_iteratorINS6_10device_ptrIKfEEEESL_NS6_8equal_toIfEEEENSG_9not_fun_tINSD_8identityEEEEENSD_19counting_iterator_tIlEES8_S8_S8_S8_S8_S8_S8_S8_EEEEPS9_S9_NSD_9__find_if7functorIS9_EEEE10hipError_tPvRmT1_T2_T3_mT4_P12ihipStream_tbEUlT_E1_NS1_11comp_targetILNS1_3genE8ELNS1_11target_archE1030ELNS1_3gpuE2ELNS1_3repE0EEENS1_30default_config_static_selectorELNS0_4arch9wavefront6targetE0EEEvS14_.num_vgpr, 27
	.set _ZN7rocprim17ROCPRIM_400000_NS6detail17trampoline_kernelINS0_14default_configENS1_22reduce_config_selectorIN6thrust23THRUST_200600_302600_NS5tupleIblNS6_9null_typeES8_S8_S8_S8_S8_S8_S8_EEEEZNS1_11reduce_implILb1ES3_NS6_12zip_iteratorINS7_INS6_11hip_rocprim26transform_input_iterator_tIbNSD_35transform_pair_of_input_iterators_tIbNS6_6detail15normal_iteratorINS6_10device_ptrIKfEEEESL_NS6_8equal_toIfEEEENSG_9not_fun_tINSD_8identityEEEEENSD_19counting_iterator_tIlEES8_S8_S8_S8_S8_S8_S8_S8_EEEEPS9_S9_NSD_9__find_if7functorIS9_EEEE10hipError_tPvRmT1_T2_T3_mT4_P12ihipStream_tbEUlT_E1_NS1_11comp_targetILNS1_3genE8ELNS1_11target_archE1030ELNS1_3gpuE2ELNS1_3repE0EEENS1_30default_config_static_selectorELNS0_4arch9wavefront6targetE0EEEvS14_.num_agpr, 0
	.set _ZN7rocprim17ROCPRIM_400000_NS6detail17trampoline_kernelINS0_14default_configENS1_22reduce_config_selectorIN6thrust23THRUST_200600_302600_NS5tupleIblNS6_9null_typeES8_S8_S8_S8_S8_S8_S8_EEEEZNS1_11reduce_implILb1ES3_NS6_12zip_iteratorINS7_INS6_11hip_rocprim26transform_input_iterator_tIbNSD_35transform_pair_of_input_iterators_tIbNS6_6detail15normal_iteratorINS6_10device_ptrIKfEEEESL_NS6_8equal_toIfEEEENSG_9not_fun_tINSD_8identityEEEEENSD_19counting_iterator_tIlEES8_S8_S8_S8_S8_S8_S8_S8_EEEEPS9_S9_NSD_9__find_if7functorIS9_EEEE10hipError_tPvRmT1_T2_T3_mT4_P12ihipStream_tbEUlT_E1_NS1_11comp_targetILNS1_3genE8ELNS1_11target_archE1030ELNS1_3gpuE2ELNS1_3repE0EEENS1_30default_config_static_selectorELNS0_4arch9wavefront6targetE0EEEvS14_.numbered_sgpr, 32
	.set _ZN7rocprim17ROCPRIM_400000_NS6detail17trampoline_kernelINS0_14default_configENS1_22reduce_config_selectorIN6thrust23THRUST_200600_302600_NS5tupleIblNS6_9null_typeES8_S8_S8_S8_S8_S8_S8_EEEEZNS1_11reduce_implILb1ES3_NS6_12zip_iteratorINS7_INS6_11hip_rocprim26transform_input_iterator_tIbNSD_35transform_pair_of_input_iterators_tIbNS6_6detail15normal_iteratorINS6_10device_ptrIKfEEEESL_NS6_8equal_toIfEEEENSG_9not_fun_tINSD_8identityEEEEENSD_19counting_iterator_tIlEES8_S8_S8_S8_S8_S8_S8_S8_EEEEPS9_S9_NSD_9__find_if7functorIS9_EEEE10hipError_tPvRmT1_T2_T3_mT4_P12ihipStream_tbEUlT_E1_NS1_11comp_targetILNS1_3genE8ELNS1_11target_archE1030ELNS1_3gpuE2ELNS1_3repE0EEENS1_30default_config_static_selectorELNS0_4arch9wavefront6targetE0EEEvS14_.num_named_barrier, 0
	.set _ZN7rocprim17ROCPRIM_400000_NS6detail17trampoline_kernelINS0_14default_configENS1_22reduce_config_selectorIN6thrust23THRUST_200600_302600_NS5tupleIblNS6_9null_typeES8_S8_S8_S8_S8_S8_S8_EEEEZNS1_11reduce_implILb1ES3_NS6_12zip_iteratorINS7_INS6_11hip_rocprim26transform_input_iterator_tIbNSD_35transform_pair_of_input_iterators_tIbNS6_6detail15normal_iteratorINS6_10device_ptrIKfEEEESL_NS6_8equal_toIfEEEENSG_9not_fun_tINSD_8identityEEEEENSD_19counting_iterator_tIlEES8_S8_S8_S8_S8_S8_S8_S8_EEEEPS9_S9_NSD_9__find_if7functorIS9_EEEE10hipError_tPvRmT1_T2_T3_mT4_P12ihipStream_tbEUlT_E1_NS1_11comp_targetILNS1_3genE8ELNS1_11target_archE1030ELNS1_3gpuE2ELNS1_3repE0EEENS1_30default_config_static_selectorELNS0_4arch9wavefront6targetE0EEEvS14_.private_seg_size, 0
	.set _ZN7rocprim17ROCPRIM_400000_NS6detail17trampoline_kernelINS0_14default_configENS1_22reduce_config_selectorIN6thrust23THRUST_200600_302600_NS5tupleIblNS6_9null_typeES8_S8_S8_S8_S8_S8_S8_EEEEZNS1_11reduce_implILb1ES3_NS6_12zip_iteratorINS7_INS6_11hip_rocprim26transform_input_iterator_tIbNSD_35transform_pair_of_input_iterators_tIbNS6_6detail15normal_iteratorINS6_10device_ptrIKfEEEESL_NS6_8equal_toIfEEEENSG_9not_fun_tINSD_8identityEEEEENSD_19counting_iterator_tIlEES8_S8_S8_S8_S8_S8_S8_S8_EEEEPS9_S9_NSD_9__find_if7functorIS9_EEEE10hipError_tPvRmT1_T2_T3_mT4_P12ihipStream_tbEUlT_E1_NS1_11comp_targetILNS1_3genE8ELNS1_11target_archE1030ELNS1_3gpuE2ELNS1_3repE0EEENS1_30default_config_static_selectorELNS0_4arch9wavefront6targetE0EEEvS14_.uses_vcc, 1
	.set _ZN7rocprim17ROCPRIM_400000_NS6detail17trampoline_kernelINS0_14default_configENS1_22reduce_config_selectorIN6thrust23THRUST_200600_302600_NS5tupleIblNS6_9null_typeES8_S8_S8_S8_S8_S8_S8_EEEEZNS1_11reduce_implILb1ES3_NS6_12zip_iteratorINS7_INS6_11hip_rocprim26transform_input_iterator_tIbNSD_35transform_pair_of_input_iterators_tIbNS6_6detail15normal_iteratorINS6_10device_ptrIKfEEEESL_NS6_8equal_toIfEEEENSG_9not_fun_tINSD_8identityEEEEENSD_19counting_iterator_tIlEES8_S8_S8_S8_S8_S8_S8_S8_EEEEPS9_S9_NSD_9__find_if7functorIS9_EEEE10hipError_tPvRmT1_T2_T3_mT4_P12ihipStream_tbEUlT_E1_NS1_11comp_targetILNS1_3genE8ELNS1_11target_archE1030ELNS1_3gpuE2ELNS1_3repE0EEENS1_30default_config_static_selectorELNS0_4arch9wavefront6targetE0EEEvS14_.uses_flat_scratch, 0
	.set _ZN7rocprim17ROCPRIM_400000_NS6detail17trampoline_kernelINS0_14default_configENS1_22reduce_config_selectorIN6thrust23THRUST_200600_302600_NS5tupleIblNS6_9null_typeES8_S8_S8_S8_S8_S8_S8_EEEEZNS1_11reduce_implILb1ES3_NS6_12zip_iteratorINS7_INS6_11hip_rocprim26transform_input_iterator_tIbNSD_35transform_pair_of_input_iterators_tIbNS6_6detail15normal_iteratorINS6_10device_ptrIKfEEEESL_NS6_8equal_toIfEEEENSG_9not_fun_tINSD_8identityEEEEENSD_19counting_iterator_tIlEES8_S8_S8_S8_S8_S8_S8_S8_EEEEPS9_S9_NSD_9__find_if7functorIS9_EEEE10hipError_tPvRmT1_T2_T3_mT4_P12ihipStream_tbEUlT_E1_NS1_11comp_targetILNS1_3genE8ELNS1_11target_archE1030ELNS1_3gpuE2ELNS1_3repE0EEENS1_30default_config_static_selectorELNS0_4arch9wavefront6targetE0EEEvS14_.has_dyn_sized_stack, 0
	.set _ZN7rocprim17ROCPRIM_400000_NS6detail17trampoline_kernelINS0_14default_configENS1_22reduce_config_selectorIN6thrust23THRUST_200600_302600_NS5tupleIblNS6_9null_typeES8_S8_S8_S8_S8_S8_S8_EEEEZNS1_11reduce_implILb1ES3_NS6_12zip_iteratorINS7_INS6_11hip_rocprim26transform_input_iterator_tIbNSD_35transform_pair_of_input_iterators_tIbNS6_6detail15normal_iteratorINS6_10device_ptrIKfEEEESL_NS6_8equal_toIfEEEENSG_9not_fun_tINSD_8identityEEEEENSD_19counting_iterator_tIlEES8_S8_S8_S8_S8_S8_S8_S8_EEEEPS9_S9_NSD_9__find_if7functorIS9_EEEE10hipError_tPvRmT1_T2_T3_mT4_P12ihipStream_tbEUlT_E1_NS1_11comp_targetILNS1_3genE8ELNS1_11target_archE1030ELNS1_3gpuE2ELNS1_3repE0EEENS1_30default_config_static_selectorELNS0_4arch9wavefront6targetE0EEEvS14_.has_recursion, 0
	.set _ZN7rocprim17ROCPRIM_400000_NS6detail17trampoline_kernelINS0_14default_configENS1_22reduce_config_selectorIN6thrust23THRUST_200600_302600_NS5tupleIblNS6_9null_typeES8_S8_S8_S8_S8_S8_S8_EEEEZNS1_11reduce_implILb1ES3_NS6_12zip_iteratorINS7_INS6_11hip_rocprim26transform_input_iterator_tIbNSD_35transform_pair_of_input_iterators_tIbNS6_6detail15normal_iteratorINS6_10device_ptrIKfEEEESL_NS6_8equal_toIfEEEENSG_9not_fun_tINSD_8identityEEEEENSD_19counting_iterator_tIlEES8_S8_S8_S8_S8_S8_S8_S8_EEEEPS9_S9_NSD_9__find_if7functorIS9_EEEE10hipError_tPvRmT1_T2_T3_mT4_P12ihipStream_tbEUlT_E1_NS1_11comp_targetILNS1_3genE8ELNS1_11target_archE1030ELNS1_3gpuE2ELNS1_3repE0EEENS1_30default_config_static_selectorELNS0_4arch9wavefront6targetE0EEEvS14_.has_indirect_call, 0
	.section	.AMDGPU.csdata,"",@progbits
; Kernel info:
; codeLenInByte = 14960
; TotalNumSgprs: 34
; NumVgprs: 27
; ScratchSize: 0
; MemoryBound: 0
; FloatMode: 240
; IeeeMode: 1
; LDSByteSize: 640 bytes/workgroup (compile time only)
; SGPRBlocks: 0
; VGPRBlocks: 3
; NumSGPRsForWavesPerEU: 34
; NumVGPRsForWavesPerEU: 27
; Occupancy: 16
; WaveLimiterHint : 0
; COMPUTE_PGM_RSRC2:SCRATCH_EN: 0
; COMPUTE_PGM_RSRC2:USER_SGPR: 6
; COMPUTE_PGM_RSRC2:TRAP_HANDLER: 0
; COMPUTE_PGM_RSRC2:TGID_X_EN: 1
; COMPUTE_PGM_RSRC2:TGID_Y_EN: 0
; COMPUTE_PGM_RSRC2:TGID_Z_EN: 0
; COMPUTE_PGM_RSRC2:TIDIG_COMP_CNT: 0
	.section	.text._ZN6thrust23THRUST_200600_302600_NS11hip_rocprim14__parallel_for6kernelILj256ENS1_20__uninitialized_fill7functorINS0_10device_ptrIyEEyEEmLj1EEEvT0_T1_SA_,"axG",@progbits,_ZN6thrust23THRUST_200600_302600_NS11hip_rocprim14__parallel_for6kernelILj256ENS1_20__uninitialized_fill7functorINS0_10device_ptrIyEEyEEmLj1EEEvT0_T1_SA_,comdat
	.protected	_ZN6thrust23THRUST_200600_302600_NS11hip_rocprim14__parallel_for6kernelILj256ENS1_20__uninitialized_fill7functorINS0_10device_ptrIyEEyEEmLj1EEEvT0_T1_SA_ ; -- Begin function _ZN6thrust23THRUST_200600_302600_NS11hip_rocprim14__parallel_for6kernelILj256ENS1_20__uninitialized_fill7functorINS0_10device_ptrIyEEyEEmLj1EEEvT0_T1_SA_
	.globl	_ZN6thrust23THRUST_200600_302600_NS11hip_rocprim14__parallel_for6kernelILj256ENS1_20__uninitialized_fill7functorINS0_10device_ptrIyEEyEEmLj1EEEvT0_T1_SA_
	.p2align	8
	.type	_ZN6thrust23THRUST_200600_302600_NS11hip_rocprim14__parallel_for6kernelILj256ENS1_20__uninitialized_fill7functorINS0_10device_ptrIyEEyEEmLj1EEEvT0_T1_SA_,@function
_ZN6thrust23THRUST_200600_302600_NS11hip_rocprim14__parallel_for6kernelILj256ENS1_20__uninitialized_fill7functorINS0_10device_ptrIyEEyEEmLj1EEEvT0_T1_SA_: ; @_ZN6thrust23THRUST_200600_302600_NS11hip_rocprim14__parallel_for6kernelILj256ENS1_20__uninitialized_fill7functorINS0_10device_ptrIyEEyEEmLj1EEEvT0_T1_SA_
; %bb.0:
	s_load_dwordx8 s[8:15], s[4:5], 0x0
	s_lshl_b32 s0, s6, 8
	s_waitcnt lgkmcnt(0)
	s_add_u32 s0, s14, s0
	s_addc_u32 s1, s15, 0
	s_sub_u32 s2, s12, s0
	s_subb_u32 s3, s13, s1
	v_cmp_lt_u64_e64 s3, 0xff, s[2:3]
	s_and_b32 vcc_lo, exec_lo, s3
	s_mov_b32 s3, -1
	s_cbranch_vccz .LBB95_3
; %bb.1:
	s_andn2_b32 vcc_lo, exec_lo, s3
	s_cbranch_vccz .LBB95_6
.LBB95_2:
	s_endpgm
.LBB95_3:
	v_cmp_gt_u32_e32 vcc_lo, s2, v0
	s_and_saveexec_b32 s2, vcc_lo
	s_cbranch_execz .LBB95_5
; %bb.4:
	v_lshlrev_b32_e32 v1, 3, v0
	s_lshl_b64 s[4:5], s[0:1], 3
	v_mov_b32_e32 v3, s10
	s_add_u32 s3, s8, s4
	s_addc_u32 s4, s9, s5
	v_add_co_u32 v1, s3, s3, v1
	v_add_co_ci_u32_e64 v2, null, s4, 0, s3
	v_mov_b32_e32 v4, s11
	flat_store_dwordx2 v[1:2], v[3:4]
.LBB95_5:
	s_or_b32 exec_lo, exec_lo, s2
	s_cbranch_execnz .LBB95_2
.LBB95_6:
	v_lshlrev_b32_e32 v0, 3, v0
	s_lshl_b64 s[0:1], s[0:1], 3
	v_mov_b32_e32 v2, s10
	s_add_u32 s0, s8, s0
	s_addc_u32 s1, s9, s1
	v_add_co_u32 v0, s0, s0, v0
	v_add_co_ci_u32_e64 v1, null, s1, 0, s0
	v_mov_b32_e32 v3, s11
	flat_store_dwordx2 v[0:1], v[2:3]
	s_endpgm
	.section	.rodata,"a",@progbits
	.p2align	6, 0x0
	.amdhsa_kernel _ZN6thrust23THRUST_200600_302600_NS11hip_rocprim14__parallel_for6kernelILj256ENS1_20__uninitialized_fill7functorINS0_10device_ptrIyEEyEEmLj1EEEvT0_T1_SA_
		.amdhsa_group_segment_fixed_size 0
		.amdhsa_private_segment_fixed_size 0
		.amdhsa_kernarg_size 32
		.amdhsa_user_sgpr_count 6
		.amdhsa_user_sgpr_private_segment_buffer 1
		.amdhsa_user_sgpr_dispatch_ptr 0
		.amdhsa_user_sgpr_queue_ptr 0
		.amdhsa_user_sgpr_kernarg_segment_ptr 1
		.amdhsa_user_sgpr_dispatch_id 0
		.amdhsa_user_sgpr_flat_scratch_init 0
		.amdhsa_user_sgpr_private_segment_size 0
		.amdhsa_wavefront_size32 1
		.amdhsa_uses_dynamic_stack 0
		.amdhsa_system_sgpr_private_segment_wavefront_offset 0
		.amdhsa_system_sgpr_workgroup_id_x 1
		.amdhsa_system_sgpr_workgroup_id_y 0
		.amdhsa_system_sgpr_workgroup_id_z 0
		.amdhsa_system_sgpr_workgroup_info 0
		.amdhsa_system_vgpr_workitem_id 0
		.amdhsa_next_free_vgpr 5
		.amdhsa_next_free_sgpr 16
		.amdhsa_reserve_vcc 1
		.amdhsa_reserve_flat_scratch 0
		.amdhsa_float_round_mode_32 0
		.amdhsa_float_round_mode_16_64 0
		.amdhsa_float_denorm_mode_32 3
		.amdhsa_float_denorm_mode_16_64 3
		.amdhsa_dx10_clamp 1
		.amdhsa_ieee_mode 1
		.amdhsa_fp16_overflow 0
		.amdhsa_workgroup_processor_mode 1
		.amdhsa_memory_ordered 1
		.amdhsa_forward_progress 1
		.amdhsa_shared_vgpr_count 0
		.amdhsa_exception_fp_ieee_invalid_op 0
		.amdhsa_exception_fp_denorm_src 0
		.amdhsa_exception_fp_ieee_div_zero 0
		.amdhsa_exception_fp_ieee_overflow 0
		.amdhsa_exception_fp_ieee_underflow 0
		.amdhsa_exception_fp_ieee_inexact 0
		.amdhsa_exception_int_div_zero 0
	.end_amdhsa_kernel
	.section	.text._ZN6thrust23THRUST_200600_302600_NS11hip_rocprim14__parallel_for6kernelILj256ENS1_20__uninitialized_fill7functorINS0_10device_ptrIyEEyEEmLj1EEEvT0_T1_SA_,"axG",@progbits,_ZN6thrust23THRUST_200600_302600_NS11hip_rocprim14__parallel_for6kernelILj256ENS1_20__uninitialized_fill7functorINS0_10device_ptrIyEEyEEmLj1EEEvT0_T1_SA_,comdat
.Lfunc_end95:
	.size	_ZN6thrust23THRUST_200600_302600_NS11hip_rocprim14__parallel_for6kernelILj256ENS1_20__uninitialized_fill7functorINS0_10device_ptrIyEEyEEmLj1EEEvT0_T1_SA_, .Lfunc_end95-_ZN6thrust23THRUST_200600_302600_NS11hip_rocprim14__parallel_for6kernelILj256ENS1_20__uninitialized_fill7functorINS0_10device_ptrIyEEyEEmLj1EEEvT0_T1_SA_
                                        ; -- End function
	.set _ZN6thrust23THRUST_200600_302600_NS11hip_rocprim14__parallel_for6kernelILj256ENS1_20__uninitialized_fill7functorINS0_10device_ptrIyEEyEEmLj1EEEvT0_T1_SA_.num_vgpr, 5
	.set _ZN6thrust23THRUST_200600_302600_NS11hip_rocprim14__parallel_for6kernelILj256ENS1_20__uninitialized_fill7functorINS0_10device_ptrIyEEyEEmLj1EEEvT0_T1_SA_.num_agpr, 0
	.set _ZN6thrust23THRUST_200600_302600_NS11hip_rocprim14__parallel_for6kernelILj256ENS1_20__uninitialized_fill7functorINS0_10device_ptrIyEEyEEmLj1EEEvT0_T1_SA_.numbered_sgpr, 16
	.set _ZN6thrust23THRUST_200600_302600_NS11hip_rocprim14__parallel_for6kernelILj256ENS1_20__uninitialized_fill7functorINS0_10device_ptrIyEEyEEmLj1EEEvT0_T1_SA_.num_named_barrier, 0
	.set _ZN6thrust23THRUST_200600_302600_NS11hip_rocprim14__parallel_for6kernelILj256ENS1_20__uninitialized_fill7functorINS0_10device_ptrIyEEyEEmLj1EEEvT0_T1_SA_.private_seg_size, 0
	.set _ZN6thrust23THRUST_200600_302600_NS11hip_rocprim14__parallel_for6kernelILj256ENS1_20__uninitialized_fill7functorINS0_10device_ptrIyEEyEEmLj1EEEvT0_T1_SA_.uses_vcc, 1
	.set _ZN6thrust23THRUST_200600_302600_NS11hip_rocprim14__parallel_for6kernelILj256ENS1_20__uninitialized_fill7functorINS0_10device_ptrIyEEyEEmLj1EEEvT0_T1_SA_.uses_flat_scratch, 0
	.set _ZN6thrust23THRUST_200600_302600_NS11hip_rocprim14__parallel_for6kernelILj256ENS1_20__uninitialized_fill7functorINS0_10device_ptrIyEEyEEmLj1EEEvT0_T1_SA_.has_dyn_sized_stack, 0
	.set _ZN6thrust23THRUST_200600_302600_NS11hip_rocprim14__parallel_for6kernelILj256ENS1_20__uninitialized_fill7functorINS0_10device_ptrIyEEyEEmLj1EEEvT0_T1_SA_.has_recursion, 0
	.set _ZN6thrust23THRUST_200600_302600_NS11hip_rocprim14__parallel_for6kernelILj256ENS1_20__uninitialized_fill7functorINS0_10device_ptrIyEEyEEmLj1EEEvT0_T1_SA_.has_indirect_call, 0
	.section	.AMDGPU.csdata,"",@progbits
; Kernel info:
; codeLenInByte = 188
; TotalNumSgprs: 18
; NumVgprs: 5
; ScratchSize: 0
; MemoryBound: 0
; FloatMode: 240
; IeeeMode: 1
; LDSByteSize: 0 bytes/workgroup (compile time only)
; SGPRBlocks: 0
; VGPRBlocks: 0
; NumSGPRsForWavesPerEU: 18
; NumVGPRsForWavesPerEU: 5
; Occupancy: 16
; WaveLimiterHint : 0
; COMPUTE_PGM_RSRC2:SCRATCH_EN: 0
; COMPUTE_PGM_RSRC2:USER_SGPR: 6
; COMPUTE_PGM_RSRC2:TRAP_HANDLER: 0
; COMPUTE_PGM_RSRC2:TGID_X_EN: 1
; COMPUTE_PGM_RSRC2:TGID_Y_EN: 0
; COMPUTE_PGM_RSRC2:TGID_Z_EN: 0
; COMPUTE_PGM_RSRC2:TIDIG_COMP_CNT: 0
	.section	.text._ZN7rocprim17ROCPRIM_400000_NS6detail17trampoline_kernelINS0_14default_configENS1_21merge_config_selectorINS0_5tupleIJyyEEENS0_10empty_typeEEEZNS1_10merge_implIS3_NS0_12zip_iteratorINS5_IJN6thrust23THRUST_200600_302600_NS6detail15normal_iteratorINSC_10device_ptrIKyEEEESI_EEEEESK_NSA_INS5_IJNSE_INSF_IyEEEESM_EEEEEPS7_SP_SP_NSC_11hip_rocprim7__merge17predicate_wrapperIyyNSC_4lessIyEEEEEE10hipError_tPvRmT0_T1_T2_T3_T4_T5_mmT6_P12ihipStream_tbEUlT_E_NS1_11comp_targetILNS1_3genE0ELNS1_11target_archE4294967295ELNS1_3gpuE0ELNS1_3repE0EEENS1_30default_config_static_selectorELNS0_4arch9wavefront6targetE0EEEvS10_,"axG",@progbits,_ZN7rocprim17ROCPRIM_400000_NS6detail17trampoline_kernelINS0_14default_configENS1_21merge_config_selectorINS0_5tupleIJyyEEENS0_10empty_typeEEEZNS1_10merge_implIS3_NS0_12zip_iteratorINS5_IJN6thrust23THRUST_200600_302600_NS6detail15normal_iteratorINSC_10device_ptrIKyEEEESI_EEEEESK_NSA_INS5_IJNSE_INSF_IyEEEESM_EEEEEPS7_SP_SP_NSC_11hip_rocprim7__merge17predicate_wrapperIyyNSC_4lessIyEEEEEE10hipError_tPvRmT0_T1_T2_T3_T4_T5_mmT6_P12ihipStream_tbEUlT_E_NS1_11comp_targetILNS1_3genE0ELNS1_11target_archE4294967295ELNS1_3gpuE0ELNS1_3repE0EEENS1_30default_config_static_selectorELNS0_4arch9wavefront6targetE0EEEvS10_,comdat
	.protected	_ZN7rocprim17ROCPRIM_400000_NS6detail17trampoline_kernelINS0_14default_configENS1_21merge_config_selectorINS0_5tupleIJyyEEENS0_10empty_typeEEEZNS1_10merge_implIS3_NS0_12zip_iteratorINS5_IJN6thrust23THRUST_200600_302600_NS6detail15normal_iteratorINSC_10device_ptrIKyEEEESI_EEEEESK_NSA_INS5_IJNSE_INSF_IyEEEESM_EEEEEPS7_SP_SP_NSC_11hip_rocprim7__merge17predicate_wrapperIyyNSC_4lessIyEEEEEE10hipError_tPvRmT0_T1_T2_T3_T4_T5_mmT6_P12ihipStream_tbEUlT_E_NS1_11comp_targetILNS1_3genE0ELNS1_11target_archE4294967295ELNS1_3gpuE0ELNS1_3repE0EEENS1_30default_config_static_selectorELNS0_4arch9wavefront6targetE0EEEvS10_ ; -- Begin function _ZN7rocprim17ROCPRIM_400000_NS6detail17trampoline_kernelINS0_14default_configENS1_21merge_config_selectorINS0_5tupleIJyyEEENS0_10empty_typeEEEZNS1_10merge_implIS3_NS0_12zip_iteratorINS5_IJN6thrust23THRUST_200600_302600_NS6detail15normal_iteratorINSC_10device_ptrIKyEEEESI_EEEEESK_NSA_INS5_IJNSE_INSF_IyEEEESM_EEEEEPS7_SP_SP_NSC_11hip_rocprim7__merge17predicate_wrapperIyyNSC_4lessIyEEEEEE10hipError_tPvRmT0_T1_T2_T3_T4_T5_mmT6_P12ihipStream_tbEUlT_E_NS1_11comp_targetILNS1_3genE0ELNS1_11target_archE4294967295ELNS1_3gpuE0ELNS1_3repE0EEENS1_30default_config_static_selectorELNS0_4arch9wavefront6targetE0EEEvS10_
	.globl	_ZN7rocprim17ROCPRIM_400000_NS6detail17trampoline_kernelINS0_14default_configENS1_21merge_config_selectorINS0_5tupleIJyyEEENS0_10empty_typeEEEZNS1_10merge_implIS3_NS0_12zip_iteratorINS5_IJN6thrust23THRUST_200600_302600_NS6detail15normal_iteratorINSC_10device_ptrIKyEEEESI_EEEEESK_NSA_INS5_IJNSE_INSF_IyEEEESM_EEEEEPS7_SP_SP_NSC_11hip_rocprim7__merge17predicate_wrapperIyyNSC_4lessIyEEEEEE10hipError_tPvRmT0_T1_T2_T3_T4_T5_mmT6_P12ihipStream_tbEUlT_E_NS1_11comp_targetILNS1_3genE0ELNS1_11target_archE4294967295ELNS1_3gpuE0ELNS1_3repE0EEENS1_30default_config_static_selectorELNS0_4arch9wavefront6targetE0EEEvS10_
	.p2align	8
	.type	_ZN7rocprim17ROCPRIM_400000_NS6detail17trampoline_kernelINS0_14default_configENS1_21merge_config_selectorINS0_5tupleIJyyEEENS0_10empty_typeEEEZNS1_10merge_implIS3_NS0_12zip_iteratorINS5_IJN6thrust23THRUST_200600_302600_NS6detail15normal_iteratorINSC_10device_ptrIKyEEEESI_EEEEESK_NSA_INS5_IJNSE_INSF_IyEEEESM_EEEEEPS7_SP_SP_NSC_11hip_rocprim7__merge17predicate_wrapperIyyNSC_4lessIyEEEEEE10hipError_tPvRmT0_T1_T2_T3_T4_T5_mmT6_P12ihipStream_tbEUlT_E_NS1_11comp_targetILNS1_3genE0ELNS1_11target_archE4294967295ELNS1_3gpuE0ELNS1_3repE0EEENS1_30default_config_static_selectorELNS0_4arch9wavefront6targetE0EEEvS10_,@function
_ZN7rocprim17ROCPRIM_400000_NS6detail17trampoline_kernelINS0_14default_configENS1_21merge_config_selectorINS0_5tupleIJyyEEENS0_10empty_typeEEEZNS1_10merge_implIS3_NS0_12zip_iteratorINS5_IJN6thrust23THRUST_200600_302600_NS6detail15normal_iteratorINSC_10device_ptrIKyEEEESI_EEEEESK_NSA_INS5_IJNSE_INSF_IyEEEESM_EEEEEPS7_SP_SP_NSC_11hip_rocprim7__merge17predicate_wrapperIyyNSC_4lessIyEEEEEE10hipError_tPvRmT0_T1_T2_T3_T4_T5_mmT6_P12ihipStream_tbEUlT_E_NS1_11comp_targetILNS1_3genE0ELNS1_11target_archE4294967295ELNS1_3gpuE0ELNS1_3repE0EEENS1_30default_config_static_selectorELNS0_4arch9wavefront6targetE0EEEvS10_: ; @_ZN7rocprim17ROCPRIM_400000_NS6detail17trampoline_kernelINS0_14default_configENS1_21merge_config_selectorINS0_5tupleIJyyEEENS0_10empty_typeEEEZNS1_10merge_implIS3_NS0_12zip_iteratorINS5_IJN6thrust23THRUST_200600_302600_NS6detail15normal_iteratorINSC_10device_ptrIKyEEEESI_EEEEESK_NSA_INS5_IJNSE_INSF_IyEEEESM_EEEEEPS7_SP_SP_NSC_11hip_rocprim7__merge17predicate_wrapperIyyNSC_4lessIyEEEEEE10hipError_tPvRmT0_T1_T2_T3_T4_T5_mmT6_P12ihipStream_tbEUlT_E_NS1_11comp_targetILNS1_3genE0ELNS1_11target_archE4294967295ELNS1_3gpuE0ELNS1_3repE0EEENS1_30default_config_static_selectorELNS0_4arch9wavefront6targetE0EEEvS10_
; %bb.0:
	.section	.rodata,"a",@progbits
	.p2align	6, 0x0
	.amdhsa_kernel _ZN7rocprim17ROCPRIM_400000_NS6detail17trampoline_kernelINS0_14default_configENS1_21merge_config_selectorINS0_5tupleIJyyEEENS0_10empty_typeEEEZNS1_10merge_implIS3_NS0_12zip_iteratorINS5_IJN6thrust23THRUST_200600_302600_NS6detail15normal_iteratorINSC_10device_ptrIKyEEEESI_EEEEESK_NSA_INS5_IJNSE_INSF_IyEEEESM_EEEEEPS7_SP_SP_NSC_11hip_rocprim7__merge17predicate_wrapperIyyNSC_4lessIyEEEEEE10hipError_tPvRmT0_T1_T2_T3_T4_T5_mmT6_P12ihipStream_tbEUlT_E_NS1_11comp_targetILNS1_3genE0ELNS1_11target_archE4294967295ELNS1_3gpuE0ELNS1_3repE0EEENS1_30default_config_static_selectorELNS0_4arch9wavefront6targetE0EEEvS10_
		.amdhsa_group_segment_fixed_size 0
		.amdhsa_private_segment_fixed_size 0
		.amdhsa_kernarg_size 64
		.amdhsa_user_sgpr_count 6
		.amdhsa_user_sgpr_private_segment_buffer 1
		.amdhsa_user_sgpr_dispatch_ptr 0
		.amdhsa_user_sgpr_queue_ptr 0
		.amdhsa_user_sgpr_kernarg_segment_ptr 1
		.amdhsa_user_sgpr_dispatch_id 0
		.amdhsa_user_sgpr_flat_scratch_init 0
		.amdhsa_user_sgpr_private_segment_size 0
		.amdhsa_wavefront_size32 1
		.amdhsa_uses_dynamic_stack 0
		.amdhsa_system_sgpr_private_segment_wavefront_offset 0
		.amdhsa_system_sgpr_workgroup_id_x 1
		.amdhsa_system_sgpr_workgroup_id_y 0
		.amdhsa_system_sgpr_workgroup_id_z 0
		.amdhsa_system_sgpr_workgroup_info 0
		.amdhsa_system_vgpr_workitem_id 0
		.amdhsa_next_free_vgpr 1
		.amdhsa_next_free_sgpr 1
		.amdhsa_reserve_vcc 0
		.amdhsa_reserve_flat_scratch 0
		.amdhsa_float_round_mode_32 0
		.amdhsa_float_round_mode_16_64 0
		.amdhsa_float_denorm_mode_32 3
		.amdhsa_float_denorm_mode_16_64 3
		.amdhsa_dx10_clamp 1
		.amdhsa_ieee_mode 1
		.amdhsa_fp16_overflow 0
		.amdhsa_workgroup_processor_mode 1
		.amdhsa_memory_ordered 1
		.amdhsa_forward_progress 1
		.amdhsa_shared_vgpr_count 0
		.amdhsa_exception_fp_ieee_invalid_op 0
		.amdhsa_exception_fp_denorm_src 0
		.amdhsa_exception_fp_ieee_div_zero 0
		.amdhsa_exception_fp_ieee_overflow 0
		.amdhsa_exception_fp_ieee_underflow 0
		.amdhsa_exception_fp_ieee_inexact 0
		.amdhsa_exception_int_div_zero 0
	.end_amdhsa_kernel
	.section	.text._ZN7rocprim17ROCPRIM_400000_NS6detail17trampoline_kernelINS0_14default_configENS1_21merge_config_selectorINS0_5tupleIJyyEEENS0_10empty_typeEEEZNS1_10merge_implIS3_NS0_12zip_iteratorINS5_IJN6thrust23THRUST_200600_302600_NS6detail15normal_iteratorINSC_10device_ptrIKyEEEESI_EEEEESK_NSA_INS5_IJNSE_INSF_IyEEEESM_EEEEEPS7_SP_SP_NSC_11hip_rocprim7__merge17predicate_wrapperIyyNSC_4lessIyEEEEEE10hipError_tPvRmT0_T1_T2_T3_T4_T5_mmT6_P12ihipStream_tbEUlT_E_NS1_11comp_targetILNS1_3genE0ELNS1_11target_archE4294967295ELNS1_3gpuE0ELNS1_3repE0EEENS1_30default_config_static_selectorELNS0_4arch9wavefront6targetE0EEEvS10_,"axG",@progbits,_ZN7rocprim17ROCPRIM_400000_NS6detail17trampoline_kernelINS0_14default_configENS1_21merge_config_selectorINS0_5tupleIJyyEEENS0_10empty_typeEEEZNS1_10merge_implIS3_NS0_12zip_iteratorINS5_IJN6thrust23THRUST_200600_302600_NS6detail15normal_iteratorINSC_10device_ptrIKyEEEESI_EEEEESK_NSA_INS5_IJNSE_INSF_IyEEEESM_EEEEEPS7_SP_SP_NSC_11hip_rocprim7__merge17predicate_wrapperIyyNSC_4lessIyEEEEEE10hipError_tPvRmT0_T1_T2_T3_T4_T5_mmT6_P12ihipStream_tbEUlT_E_NS1_11comp_targetILNS1_3genE0ELNS1_11target_archE4294967295ELNS1_3gpuE0ELNS1_3repE0EEENS1_30default_config_static_selectorELNS0_4arch9wavefront6targetE0EEEvS10_,comdat
.Lfunc_end96:
	.size	_ZN7rocprim17ROCPRIM_400000_NS6detail17trampoline_kernelINS0_14default_configENS1_21merge_config_selectorINS0_5tupleIJyyEEENS0_10empty_typeEEEZNS1_10merge_implIS3_NS0_12zip_iteratorINS5_IJN6thrust23THRUST_200600_302600_NS6detail15normal_iteratorINSC_10device_ptrIKyEEEESI_EEEEESK_NSA_INS5_IJNSE_INSF_IyEEEESM_EEEEEPS7_SP_SP_NSC_11hip_rocprim7__merge17predicate_wrapperIyyNSC_4lessIyEEEEEE10hipError_tPvRmT0_T1_T2_T3_T4_T5_mmT6_P12ihipStream_tbEUlT_E_NS1_11comp_targetILNS1_3genE0ELNS1_11target_archE4294967295ELNS1_3gpuE0ELNS1_3repE0EEENS1_30default_config_static_selectorELNS0_4arch9wavefront6targetE0EEEvS10_, .Lfunc_end96-_ZN7rocprim17ROCPRIM_400000_NS6detail17trampoline_kernelINS0_14default_configENS1_21merge_config_selectorINS0_5tupleIJyyEEENS0_10empty_typeEEEZNS1_10merge_implIS3_NS0_12zip_iteratorINS5_IJN6thrust23THRUST_200600_302600_NS6detail15normal_iteratorINSC_10device_ptrIKyEEEESI_EEEEESK_NSA_INS5_IJNSE_INSF_IyEEEESM_EEEEEPS7_SP_SP_NSC_11hip_rocprim7__merge17predicate_wrapperIyyNSC_4lessIyEEEEEE10hipError_tPvRmT0_T1_T2_T3_T4_T5_mmT6_P12ihipStream_tbEUlT_E_NS1_11comp_targetILNS1_3genE0ELNS1_11target_archE4294967295ELNS1_3gpuE0ELNS1_3repE0EEENS1_30default_config_static_selectorELNS0_4arch9wavefront6targetE0EEEvS10_
                                        ; -- End function
	.set _ZN7rocprim17ROCPRIM_400000_NS6detail17trampoline_kernelINS0_14default_configENS1_21merge_config_selectorINS0_5tupleIJyyEEENS0_10empty_typeEEEZNS1_10merge_implIS3_NS0_12zip_iteratorINS5_IJN6thrust23THRUST_200600_302600_NS6detail15normal_iteratorINSC_10device_ptrIKyEEEESI_EEEEESK_NSA_INS5_IJNSE_INSF_IyEEEESM_EEEEEPS7_SP_SP_NSC_11hip_rocprim7__merge17predicate_wrapperIyyNSC_4lessIyEEEEEE10hipError_tPvRmT0_T1_T2_T3_T4_T5_mmT6_P12ihipStream_tbEUlT_E_NS1_11comp_targetILNS1_3genE0ELNS1_11target_archE4294967295ELNS1_3gpuE0ELNS1_3repE0EEENS1_30default_config_static_selectorELNS0_4arch9wavefront6targetE0EEEvS10_.num_vgpr, 0
	.set _ZN7rocprim17ROCPRIM_400000_NS6detail17trampoline_kernelINS0_14default_configENS1_21merge_config_selectorINS0_5tupleIJyyEEENS0_10empty_typeEEEZNS1_10merge_implIS3_NS0_12zip_iteratorINS5_IJN6thrust23THRUST_200600_302600_NS6detail15normal_iteratorINSC_10device_ptrIKyEEEESI_EEEEESK_NSA_INS5_IJNSE_INSF_IyEEEESM_EEEEEPS7_SP_SP_NSC_11hip_rocprim7__merge17predicate_wrapperIyyNSC_4lessIyEEEEEE10hipError_tPvRmT0_T1_T2_T3_T4_T5_mmT6_P12ihipStream_tbEUlT_E_NS1_11comp_targetILNS1_3genE0ELNS1_11target_archE4294967295ELNS1_3gpuE0ELNS1_3repE0EEENS1_30default_config_static_selectorELNS0_4arch9wavefront6targetE0EEEvS10_.num_agpr, 0
	.set _ZN7rocprim17ROCPRIM_400000_NS6detail17trampoline_kernelINS0_14default_configENS1_21merge_config_selectorINS0_5tupleIJyyEEENS0_10empty_typeEEEZNS1_10merge_implIS3_NS0_12zip_iteratorINS5_IJN6thrust23THRUST_200600_302600_NS6detail15normal_iteratorINSC_10device_ptrIKyEEEESI_EEEEESK_NSA_INS5_IJNSE_INSF_IyEEEESM_EEEEEPS7_SP_SP_NSC_11hip_rocprim7__merge17predicate_wrapperIyyNSC_4lessIyEEEEEE10hipError_tPvRmT0_T1_T2_T3_T4_T5_mmT6_P12ihipStream_tbEUlT_E_NS1_11comp_targetILNS1_3genE0ELNS1_11target_archE4294967295ELNS1_3gpuE0ELNS1_3repE0EEENS1_30default_config_static_selectorELNS0_4arch9wavefront6targetE0EEEvS10_.numbered_sgpr, 0
	.set _ZN7rocprim17ROCPRIM_400000_NS6detail17trampoline_kernelINS0_14default_configENS1_21merge_config_selectorINS0_5tupleIJyyEEENS0_10empty_typeEEEZNS1_10merge_implIS3_NS0_12zip_iteratorINS5_IJN6thrust23THRUST_200600_302600_NS6detail15normal_iteratorINSC_10device_ptrIKyEEEESI_EEEEESK_NSA_INS5_IJNSE_INSF_IyEEEESM_EEEEEPS7_SP_SP_NSC_11hip_rocprim7__merge17predicate_wrapperIyyNSC_4lessIyEEEEEE10hipError_tPvRmT0_T1_T2_T3_T4_T5_mmT6_P12ihipStream_tbEUlT_E_NS1_11comp_targetILNS1_3genE0ELNS1_11target_archE4294967295ELNS1_3gpuE0ELNS1_3repE0EEENS1_30default_config_static_selectorELNS0_4arch9wavefront6targetE0EEEvS10_.num_named_barrier, 0
	.set _ZN7rocprim17ROCPRIM_400000_NS6detail17trampoline_kernelINS0_14default_configENS1_21merge_config_selectorINS0_5tupleIJyyEEENS0_10empty_typeEEEZNS1_10merge_implIS3_NS0_12zip_iteratorINS5_IJN6thrust23THRUST_200600_302600_NS6detail15normal_iteratorINSC_10device_ptrIKyEEEESI_EEEEESK_NSA_INS5_IJNSE_INSF_IyEEEESM_EEEEEPS7_SP_SP_NSC_11hip_rocprim7__merge17predicate_wrapperIyyNSC_4lessIyEEEEEE10hipError_tPvRmT0_T1_T2_T3_T4_T5_mmT6_P12ihipStream_tbEUlT_E_NS1_11comp_targetILNS1_3genE0ELNS1_11target_archE4294967295ELNS1_3gpuE0ELNS1_3repE0EEENS1_30default_config_static_selectorELNS0_4arch9wavefront6targetE0EEEvS10_.private_seg_size, 0
	.set _ZN7rocprim17ROCPRIM_400000_NS6detail17trampoline_kernelINS0_14default_configENS1_21merge_config_selectorINS0_5tupleIJyyEEENS0_10empty_typeEEEZNS1_10merge_implIS3_NS0_12zip_iteratorINS5_IJN6thrust23THRUST_200600_302600_NS6detail15normal_iteratorINSC_10device_ptrIKyEEEESI_EEEEESK_NSA_INS5_IJNSE_INSF_IyEEEESM_EEEEEPS7_SP_SP_NSC_11hip_rocprim7__merge17predicate_wrapperIyyNSC_4lessIyEEEEEE10hipError_tPvRmT0_T1_T2_T3_T4_T5_mmT6_P12ihipStream_tbEUlT_E_NS1_11comp_targetILNS1_3genE0ELNS1_11target_archE4294967295ELNS1_3gpuE0ELNS1_3repE0EEENS1_30default_config_static_selectorELNS0_4arch9wavefront6targetE0EEEvS10_.uses_vcc, 0
	.set _ZN7rocprim17ROCPRIM_400000_NS6detail17trampoline_kernelINS0_14default_configENS1_21merge_config_selectorINS0_5tupleIJyyEEENS0_10empty_typeEEEZNS1_10merge_implIS3_NS0_12zip_iteratorINS5_IJN6thrust23THRUST_200600_302600_NS6detail15normal_iteratorINSC_10device_ptrIKyEEEESI_EEEEESK_NSA_INS5_IJNSE_INSF_IyEEEESM_EEEEEPS7_SP_SP_NSC_11hip_rocprim7__merge17predicate_wrapperIyyNSC_4lessIyEEEEEE10hipError_tPvRmT0_T1_T2_T3_T4_T5_mmT6_P12ihipStream_tbEUlT_E_NS1_11comp_targetILNS1_3genE0ELNS1_11target_archE4294967295ELNS1_3gpuE0ELNS1_3repE0EEENS1_30default_config_static_selectorELNS0_4arch9wavefront6targetE0EEEvS10_.uses_flat_scratch, 0
	.set _ZN7rocprim17ROCPRIM_400000_NS6detail17trampoline_kernelINS0_14default_configENS1_21merge_config_selectorINS0_5tupleIJyyEEENS0_10empty_typeEEEZNS1_10merge_implIS3_NS0_12zip_iteratorINS5_IJN6thrust23THRUST_200600_302600_NS6detail15normal_iteratorINSC_10device_ptrIKyEEEESI_EEEEESK_NSA_INS5_IJNSE_INSF_IyEEEESM_EEEEEPS7_SP_SP_NSC_11hip_rocprim7__merge17predicate_wrapperIyyNSC_4lessIyEEEEEE10hipError_tPvRmT0_T1_T2_T3_T4_T5_mmT6_P12ihipStream_tbEUlT_E_NS1_11comp_targetILNS1_3genE0ELNS1_11target_archE4294967295ELNS1_3gpuE0ELNS1_3repE0EEENS1_30default_config_static_selectorELNS0_4arch9wavefront6targetE0EEEvS10_.has_dyn_sized_stack, 0
	.set _ZN7rocprim17ROCPRIM_400000_NS6detail17trampoline_kernelINS0_14default_configENS1_21merge_config_selectorINS0_5tupleIJyyEEENS0_10empty_typeEEEZNS1_10merge_implIS3_NS0_12zip_iteratorINS5_IJN6thrust23THRUST_200600_302600_NS6detail15normal_iteratorINSC_10device_ptrIKyEEEESI_EEEEESK_NSA_INS5_IJNSE_INSF_IyEEEESM_EEEEEPS7_SP_SP_NSC_11hip_rocprim7__merge17predicate_wrapperIyyNSC_4lessIyEEEEEE10hipError_tPvRmT0_T1_T2_T3_T4_T5_mmT6_P12ihipStream_tbEUlT_E_NS1_11comp_targetILNS1_3genE0ELNS1_11target_archE4294967295ELNS1_3gpuE0ELNS1_3repE0EEENS1_30default_config_static_selectorELNS0_4arch9wavefront6targetE0EEEvS10_.has_recursion, 0
	.set _ZN7rocprim17ROCPRIM_400000_NS6detail17trampoline_kernelINS0_14default_configENS1_21merge_config_selectorINS0_5tupleIJyyEEENS0_10empty_typeEEEZNS1_10merge_implIS3_NS0_12zip_iteratorINS5_IJN6thrust23THRUST_200600_302600_NS6detail15normal_iteratorINSC_10device_ptrIKyEEEESI_EEEEESK_NSA_INS5_IJNSE_INSF_IyEEEESM_EEEEEPS7_SP_SP_NSC_11hip_rocprim7__merge17predicate_wrapperIyyNSC_4lessIyEEEEEE10hipError_tPvRmT0_T1_T2_T3_T4_T5_mmT6_P12ihipStream_tbEUlT_E_NS1_11comp_targetILNS1_3genE0ELNS1_11target_archE4294967295ELNS1_3gpuE0ELNS1_3repE0EEENS1_30default_config_static_selectorELNS0_4arch9wavefront6targetE0EEEvS10_.has_indirect_call, 0
	.section	.AMDGPU.csdata,"",@progbits
; Kernel info:
; codeLenInByte = 0
; TotalNumSgprs: 0
; NumVgprs: 0
; ScratchSize: 0
; MemoryBound: 0
; FloatMode: 240
; IeeeMode: 1
; LDSByteSize: 0 bytes/workgroup (compile time only)
; SGPRBlocks: 0
; VGPRBlocks: 0
; NumSGPRsForWavesPerEU: 1
; NumVGPRsForWavesPerEU: 1
; Occupancy: 16
; WaveLimiterHint : 0
; COMPUTE_PGM_RSRC2:SCRATCH_EN: 0
; COMPUTE_PGM_RSRC2:USER_SGPR: 6
; COMPUTE_PGM_RSRC2:TRAP_HANDLER: 0
; COMPUTE_PGM_RSRC2:TGID_X_EN: 1
; COMPUTE_PGM_RSRC2:TGID_Y_EN: 0
; COMPUTE_PGM_RSRC2:TGID_Z_EN: 0
; COMPUTE_PGM_RSRC2:TIDIG_COMP_CNT: 0
	.section	.text._ZN7rocprim17ROCPRIM_400000_NS6detail17trampoline_kernelINS0_14default_configENS1_21merge_config_selectorINS0_5tupleIJyyEEENS0_10empty_typeEEEZNS1_10merge_implIS3_NS0_12zip_iteratorINS5_IJN6thrust23THRUST_200600_302600_NS6detail15normal_iteratorINSC_10device_ptrIKyEEEESI_EEEEESK_NSA_INS5_IJNSE_INSF_IyEEEESM_EEEEEPS7_SP_SP_NSC_11hip_rocprim7__merge17predicate_wrapperIyyNSC_4lessIyEEEEEE10hipError_tPvRmT0_T1_T2_T3_T4_T5_mmT6_P12ihipStream_tbEUlT_E_NS1_11comp_targetILNS1_3genE5ELNS1_11target_archE942ELNS1_3gpuE9ELNS1_3repE0EEENS1_30default_config_static_selectorELNS0_4arch9wavefront6targetE0EEEvS10_,"axG",@progbits,_ZN7rocprim17ROCPRIM_400000_NS6detail17trampoline_kernelINS0_14default_configENS1_21merge_config_selectorINS0_5tupleIJyyEEENS0_10empty_typeEEEZNS1_10merge_implIS3_NS0_12zip_iteratorINS5_IJN6thrust23THRUST_200600_302600_NS6detail15normal_iteratorINSC_10device_ptrIKyEEEESI_EEEEESK_NSA_INS5_IJNSE_INSF_IyEEEESM_EEEEEPS7_SP_SP_NSC_11hip_rocprim7__merge17predicate_wrapperIyyNSC_4lessIyEEEEEE10hipError_tPvRmT0_T1_T2_T3_T4_T5_mmT6_P12ihipStream_tbEUlT_E_NS1_11comp_targetILNS1_3genE5ELNS1_11target_archE942ELNS1_3gpuE9ELNS1_3repE0EEENS1_30default_config_static_selectorELNS0_4arch9wavefront6targetE0EEEvS10_,comdat
	.protected	_ZN7rocprim17ROCPRIM_400000_NS6detail17trampoline_kernelINS0_14default_configENS1_21merge_config_selectorINS0_5tupleIJyyEEENS0_10empty_typeEEEZNS1_10merge_implIS3_NS0_12zip_iteratorINS5_IJN6thrust23THRUST_200600_302600_NS6detail15normal_iteratorINSC_10device_ptrIKyEEEESI_EEEEESK_NSA_INS5_IJNSE_INSF_IyEEEESM_EEEEEPS7_SP_SP_NSC_11hip_rocprim7__merge17predicate_wrapperIyyNSC_4lessIyEEEEEE10hipError_tPvRmT0_T1_T2_T3_T4_T5_mmT6_P12ihipStream_tbEUlT_E_NS1_11comp_targetILNS1_3genE5ELNS1_11target_archE942ELNS1_3gpuE9ELNS1_3repE0EEENS1_30default_config_static_selectorELNS0_4arch9wavefront6targetE0EEEvS10_ ; -- Begin function _ZN7rocprim17ROCPRIM_400000_NS6detail17trampoline_kernelINS0_14default_configENS1_21merge_config_selectorINS0_5tupleIJyyEEENS0_10empty_typeEEEZNS1_10merge_implIS3_NS0_12zip_iteratorINS5_IJN6thrust23THRUST_200600_302600_NS6detail15normal_iteratorINSC_10device_ptrIKyEEEESI_EEEEESK_NSA_INS5_IJNSE_INSF_IyEEEESM_EEEEEPS7_SP_SP_NSC_11hip_rocprim7__merge17predicate_wrapperIyyNSC_4lessIyEEEEEE10hipError_tPvRmT0_T1_T2_T3_T4_T5_mmT6_P12ihipStream_tbEUlT_E_NS1_11comp_targetILNS1_3genE5ELNS1_11target_archE942ELNS1_3gpuE9ELNS1_3repE0EEENS1_30default_config_static_selectorELNS0_4arch9wavefront6targetE0EEEvS10_
	.globl	_ZN7rocprim17ROCPRIM_400000_NS6detail17trampoline_kernelINS0_14default_configENS1_21merge_config_selectorINS0_5tupleIJyyEEENS0_10empty_typeEEEZNS1_10merge_implIS3_NS0_12zip_iteratorINS5_IJN6thrust23THRUST_200600_302600_NS6detail15normal_iteratorINSC_10device_ptrIKyEEEESI_EEEEESK_NSA_INS5_IJNSE_INSF_IyEEEESM_EEEEEPS7_SP_SP_NSC_11hip_rocprim7__merge17predicate_wrapperIyyNSC_4lessIyEEEEEE10hipError_tPvRmT0_T1_T2_T3_T4_T5_mmT6_P12ihipStream_tbEUlT_E_NS1_11comp_targetILNS1_3genE5ELNS1_11target_archE942ELNS1_3gpuE9ELNS1_3repE0EEENS1_30default_config_static_selectorELNS0_4arch9wavefront6targetE0EEEvS10_
	.p2align	8
	.type	_ZN7rocprim17ROCPRIM_400000_NS6detail17trampoline_kernelINS0_14default_configENS1_21merge_config_selectorINS0_5tupleIJyyEEENS0_10empty_typeEEEZNS1_10merge_implIS3_NS0_12zip_iteratorINS5_IJN6thrust23THRUST_200600_302600_NS6detail15normal_iteratorINSC_10device_ptrIKyEEEESI_EEEEESK_NSA_INS5_IJNSE_INSF_IyEEEESM_EEEEEPS7_SP_SP_NSC_11hip_rocprim7__merge17predicate_wrapperIyyNSC_4lessIyEEEEEE10hipError_tPvRmT0_T1_T2_T3_T4_T5_mmT6_P12ihipStream_tbEUlT_E_NS1_11comp_targetILNS1_3genE5ELNS1_11target_archE942ELNS1_3gpuE9ELNS1_3repE0EEENS1_30default_config_static_selectorELNS0_4arch9wavefront6targetE0EEEvS10_,@function
_ZN7rocprim17ROCPRIM_400000_NS6detail17trampoline_kernelINS0_14default_configENS1_21merge_config_selectorINS0_5tupleIJyyEEENS0_10empty_typeEEEZNS1_10merge_implIS3_NS0_12zip_iteratorINS5_IJN6thrust23THRUST_200600_302600_NS6detail15normal_iteratorINSC_10device_ptrIKyEEEESI_EEEEESK_NSA_INS5_IJNSE_INSF_IyEEEESM_EEEEEPS7_SP_SP_NSC_11hip_rocprim7__merge17predicate_wrapperIyyNSC_4lessIyEEEEEE10hipError_tPvRmT0_T1_T2_T3_T4_T5_mmT6_P12ihipStream_tbEUlT_E_NS1_11comp_targetILNS1_3genE5ELNS1_11target_archE942ELNS1_3gpuE9ELNS1_3repE0EEENS1_30default_config_static_selectorELNS0_4arch9wavefront6targetE0EEEvS10_: ; @_ZN7rocprim17ROCPRIM_400000_NS6detail17trampoline_kernelINS0_14default_configENS1_21merge_config_selectorINS0_5tupleIJyyEEENS0_10empty_typeEEEZNS1_10merge_implIS3_NS0_12zip_iteratorINS5_IJN6thrust23THRUST_200600_302600_NS6detail15normal_iteratorINSC_10device_ptrIKyEEEESI_EEEEESK_NSA_INS5_IJNSE_INSF_IyEEEESM_EEEEEPS7_SP_SP_NSC_11hip_rocprim7__merge17predicate_wrapperIyyNSC_4lessIyEEEEEE10hipError_tPvRmT0_T1_T2_T3_T4_T5_mmT6_P12ihipStream_tbEUlT_E_NS1_11comp_targetILNS1_3genE5ELNS1_11target_archE942ELNS1_3gpuE9ELNS1_3repE0EEENS1_30default_config_static_selectorELNS0_4arch9wavefront6targetE0EEEvS10_
; %bb.0:
	.section	.rodata,"a",@progbits
	.p2align	6, 0x0
	.amdhsa_kernel _ZN7rocprim17ROCPRIM_400000_NS6detail17trampoline_kernelINS0_14default_configENS1_21merge_config_selectorINS0_5tupleIJyyEEENS0_10empty_typeEEEZNS1_10merge_implIS3_NS0_12zip_iteratorINS5_IJN6thrust23THRUST_200600_302600_NS6detail15normal_iteratorINSC_10device_ptrIKyEEEESI_EEEEESK_NSA_INS5_IJNSE_INSF_IyEEEESM_EEEEEPS7_SP_SP_NSC_11hip_rocprim7__merge17predicate_wrapperIyyNSC_4lessIyEEEEEE10hipError_tPvRmT0_T1_T2_T3_T4_T5_mmT6_P12ihipStream_tbEUlT_E_NS1_11comp_targetILNS1_3genE5ELNS1_11target_archE942ELNS1_3gpuE9ELNS1_3repE0EEENS1_30default_config_static_selectorELNS0_4arch9wavefront6targetE0EEEvS10_
		.amdhsa_group_segment_fixed_size 0
		.amdhsa_private_segment_fixed_size 0
		.amdhsa_kernarg_size 64
		.amdhsa_user_sgpr_count 6
		.amdhsa_user_sgpr_private_segment_buffer 1
		.amdhsa_user_sgpr_dispatch_ptr 0
		.amdhsa_user_sgpr_queue_ptr 0
		.amdhsa_user_sgpr_kernarg_segment_ptr 1
		.amdhsa_user_sgpr_dispatch_id 0
		.amdhsa_user_sgpr_flat_scratch_init 0
		.amdhsa_user_sgpr_private_segment_size 0
		.amdhsa_wavefront_size32 1
		.amdhsa_uses_dynamic_stack 0
		.amdhsa_system_sgpr_private_segment_wavefront_offset 0
		.amdhsa_system_sgpr_workgroup_id_x 1
		.amdhsa_system_sgpr_workgroup_id_y 0
		.amdhsa_system_sgpr_workgroup_id_z 0
		.amdhsa_system_sgpr_workgroup_info 0
		.amdhsa_system_vgpr_workitem_id 0
		.amdhsa_next_free_vgpr 1
		.amdhsa_next_free_sgpr 1
		.amdhsa_reserve_vcc 0
		.amdhsa_reserve_flat_scratch 0
		.amdhsa_float_round_mode_32 0
		.amdhsa_float_round_mode_16_64 0
		.amdhsa_float_denorm_mode_32 3
		.amdhsa_float_denorm_mode_16_64 3
		.amdhsa_dx10_clamp 1
		.amdhsa_ieee_mode 1
		.amdhsa_fp16_overflow 0
		.amdhsa_workgroup_processor_mode 1
		.amdhsa_memory_ordered 1
		.amdhsa_forward_progress 1
		.amdhsa_shared_vgpr_count 0
		.amdhsa_exception_fp_ieee_invalid_op 0
		.amdhsa_exception_fp_denorm_src 0
		.amdhsa_exception_fp_ieee_div_zero 0
		.amdhsa_exception_fp_ieee_overflow 0
		.amdhsa_exception_fp_ieee_underflow 0
		.amdhsa_exception_fp_ieee_inexact 0
		.amdhsa_exception_int_div_zero 0
	.end_amdhsa_kernel
	.section	.text._ZN7rocprim17ROCPRIM_400000_NS6detail17trampoline_kernelINS0_14default_configENS1_21merge_config_selectorINS0_5tupleIJyyEEENS0_10empty_typeEEEZNS1_10merge_implIS3_NS0_12zip_iteratorINS5_IJN6thrust23THRUST_200600_302600_NS6detail15normal_iteratorINSC_10device_ptrIKyEEEESI_EEEEESK_NSA_INS5_IJNSE_INSF_IyEEEESM_EEEEEPS7_SP_SP_NSC_11hip_rocprim7__merge17predicate_wrapperIyyNSC_4lessIyEEEEEE10hipError_tPvRmT0_T1_T2_T3_T4_T5_mmT6_P12ihipStream_tbEUlT_E_NS1_11comp_targetILNS1_3genE5ELNS1_11target_archE942ELNS1_3gpuE9ELNS1_3repE0EEENS1_30default_config_static_selectorELNS0_4arch9wavefront6targetE0EEEvS10_,"axG",@progbits,_ZN7rocprim17ROCPRIM_400000_NS6detail17trampoline_kernelINS0_14default_configENS1_21merge_config_selectorINS0_5tupleIJyyEEENS0_10empty_typeEEEZNS1_10merge_implIS3_NS0_12zip_iteratorINS5_IJN6thrust23THRUST_200600_302600_NS6detail15normal_iteratorINSC_10device_ptrIKyEEEESI_EEEEESK_NSA_INS5_IJNSE_INSF_IyEEEESM_EEEEEPS7_SP_SP_NSC_11hip_rocprim7__merge17predicate_wrapperIyyNSC_4lessIyEEEEEE10hipError_tPvRmT0_T1_T2_T3_T4_T5_mmT6_P12ihipStream_tbEUlT_E_NS1_11comp_targetILNS1_3genE5ELNS1_11target_archE942ELNS1_3gpuE9ELNS1_3repE0EEENS1_30default_config_static_selectorELNS0_4arch9wavefront6targetE0EEEvS10_,comdat
.Lfunc_end97:
	.size	_ZN7rocprim17ROCPRIM_400000_NS6detail17trampoline_kernelINS0_14default_configENS1_21merge_config_selectorINS0_5tupleIJyyEEENS0_10empty_typeEEEZNS1_10merge_implIS3_NS0_12zip_iteratorINS5_IJN6thrust23THRUST_200600_302600_NS6detail15normal_iteratorINSC_10device_ptrIKyEEEESI_EEEEESK_NSA_INS5_IJNSE_INSF_IyEEEESM_EEEEEPS7_SP_SP_NSC_11hip_rocprim7__merge17predicate_wrapperIyyNSC_4lessIyEEEEEE10hipError_tPvRmT0_T1_T2_T3_T4_T5_mmT6_P12ihipStream_tbEUlT_E_NS1_11comp_targetILNS1_3genE5ELNS1_11target_archE942ELNS1_3gpuE9ELNS1_3repE0EEENS1_30default_config_static_selectorELNS0_4arch9wavefront6targetE0EEEvS10_, .Lfunc_end97-_ZN7rocprim17ROCPRIM_400000_NS6detail17trampoline_kernelINS0_14default_configENS1_21merge_config_selectorINS0_5tupleIJyyEEENS0_10empty_typeEEEZNS1_10merge_implIS3_NS0_12zip_iteratorINS5_IJN6thrust23THRUST_200600_302600_NS6detail15normal_iteratorINSC_10device_ptrIKyEEEESI_EEEEESK_NSA_INS5_IJNSE_INSF_IyEEEESM_EEEEEPS7_SP_SP_NSC_11hip_rocprim7__merge17predicate_wrapperIyyNSC_4lessIyEEEEEE10hipError_tPvRmT0_T1_T2_T3_T4_T5_mmT6_P12ihipStream_tbEUlT_E_NS1_11comp_targetILNS1_3genE5ELNS1_11target_archE942ELNS1_3gpuE9ELNS1_3repE0EEENS1_30default_config_static_selectorELNS0_4arch9wavefront6targetE0EEEvS10_
                                        ; -- End function
	.set _ZN7rocprim17ROCPRIM_400000_NS6detail17trampoline_kernelINS0_14default_configENS1_21merge_config_selectorINS0_5tupleIJyyEEENS0_10empty_typeEEEZNS1_10merge_implIS3_NS0_12zip_iteratorINS5_IJN6thrust23THRUST_200600_302600_NS6detail15normal_iteratorINSC_10device_ptrIKyEEEESI_EEEEESK_NSA_INS5_IJNSE_INSF_IyEEEESM_EEEEEPS7_SP_SP_NSC_11hip_rocprim7__merge17predicate_wrapperIyyNSC_4lessIyEEEEEE10hipError_tPvRmT0_T1_T2_T3_T4_T5_mmT6_P12ihipStream_tbEUlT_E_NS1_11comp_targetILNS1_3genE5ELNS1_11target_archE942ELNS1_3gpuE9ELNS1_3repE0EEENS1_30default_config_static_selectorELNS0_4arch9wavefront6targetE0EEEvS10_.num_vgpr, 0
	.set _ZN7rocprim17ROCPRIM_400000_NS6detail17trampoline_kernelINS0_14default_configENS1_21merge_config_selectorINS0_5tupleIJyyEEENS0_10empty_typeEEEZNS1_10merge_implIS3_NS0_12zip_iteratorINS5_IJN6thrust23THRUST_200600_302600_NS6detail15normal_iteratorINSC_10device_ptrIKyEEEESI_EEEEESK_NSA_INS5_IJNSE_INSF_IyEEEESM_EEEEEPS7_SP_SP_NSC_11hip_rocprim7__merge17predicate_wrapperIyyNSC_4lessIyEEEEEE10hipError_tPvRmT0_T1_T2_T3_T4_T5_mmT6_P12ihipStream_tbEUlT_E_NS1_11comp_targetILNS1_3genE5ELNS1_11target_archE942ELNS1_3gpuE9ELNS1_3repE0EEENS1_30default_config_static_selectorELNS0_4arch9wavefront6targetE0EEEvS10_.num_agpr, 0
	.set _ZN7rocprim17ROCPRIM_400000_NS6detail17trampoline_kernelINS0_14default_configENS1_21merge_config_selectorINS0_5tupleIJyyEEENS0_10empty_typeEEEZNS1_10merge_implIS3_NS0_12zip_iteratorINS5_IJN6thrust23THRUST_200600_302600_NS6detail15normal_iteratorINSC_10device_ptrIKyEEEESI_EEEEESK_NSA_INS5_IJNSE_INSF_IyEEEESM_EEEEEPS7_SP_SP_NSC_11hip_rocprim7__merge17predicate_wrapperIyyNSC_4lessIyEEEEEE10hipError_tPvRmT0_T1_T2_T3_T4_T5_mmT6_P12ihipStream_tbEUlT_E_NS1_11comp_targetILNS1_3genE5ELNS1_11target_archE942ELNS1_3gpuE9ELNS1_3repE0EEENS1_30default_config_static_selectorELNS0_4arch9wavefront6targetE0EEEvS10_.numbered_sgpr, 0
	.set _ZN7rocprim17ROCPRIM_400000_NS6detail17trampoline_kernelINS0_14default_configENS1_21merge_config_selectorINS0_5tupleIJyyEEENS0_10empty_typeEEEZNS1_10merge_implIS3_NS0_12zip_iteratorINS5_IJN6thrust23THRUST_200600_302600_NS6detail15normal_iteratorINSC_10device_ptrIKyEEEESI_EEEEESK_NSA_INS5_IJNSE_INSF_IyEEEESM_EEEEEPS7_SP_SP_NSC_11hip_rocprim7__merge17predicate_wrapperIyyNSC_4lessIyEEEEEE10hipError_tPvRmT0_T1_T2_T3_T4_T5_mmT6_P12ihipStream_tbEUlT_E_NS1_11comp_targetILNS1_3genE5ELNS1_11target_archE942ELNS1_3gpuE9ELNS1_3repE0EEENS1_30default_config_static_selectorELNS0_4arch9wavefront6targetE0EEEvS10_.num_named_barrier, 0
	.set _ZN7rocprim17ROCPRIM_400000_NS6detail17trampoline_kernelINS0_14default_configENS1_21merge_config_selectorINS0_5tupleIJyyEEENS0_10empty_typeEEEZNS1_10merge_implIS3_NS0_12zip_iteratorINS5_IJN6thrust23THRUST_200600_302600_NS6detail15normal_iteratorINSC_10device_ptrIKyEEEESI_EEEEESK_NSA_INS5_IJNSE_INSF_IyEEEESM_EEEEEPS7_SP_SP_NSC_11hip_rocprim7__merge17predicate_wrapperIyyNSC_4lessIyEEEEEE10hipError_tPvRmT0_T1_T2_T3_T4_T5_mmT6_P12ihipStream_tbEUlT_E_NS1_11comp_targetILNS1_3genE5ELNS1_11target_archE942ELNS1_3gpuE9ELNS1_3repE0EEENS1_30default_config_static_selectorELNS0_4arch9wavefront6targetE0EEEvS10_.private_seg_size, 0
	.set _ZN7rocprim17ROCPRIM_400000_NS6detail17trampoline_kernelINS0_14default_configENS1_21merge_config_selectorINS0_5tupleIJyyEEENS0_10empty_typeEEEZNS1_10merge_implIS3_NS0_12zip_iteratorINS5_IJN6thrust23THRUST_200600_302600_NS6detail15normal_iteratorINSC_10device_ptrIKyEEEESI_EEEEESK_NSA_INS5_IJNSE_INSF_IyEEEESM_EEEEEPS7_SP_SP_NSC_11hip_rocprim7__merge17predicate_wrapperIyyNSC_4lessIyEEEEEE10hipError_tPvRmT0_T1_T2_T3_T4_T5_mmT6_P12ihipStream_tbEUlT_E_NS1_11comp_targetILNS1_3genE5ELNS1_11target_archE942ELNS1_3gpuE9ELNS1_3repE0EEENS1_30default_config_static_selectorELNS0_4arch9wavefront6targetE0EEEvS10_.uses_vcc, 0
	.set _ZN7rocprim17ROCPRIM_400000_NS6detail17trampoline_kernelINS0_14default_configENS1_21merge_config_selectorINS0_5tupleIJyyEEENS0_10empty_typeEEEZNS1_10merge_implIS3_NS0_12zip_iteratorINS5_IJN6thrust23THRUST_200600_302600_NS6detail15normal_iteratorINSC_10device_ptrIKyEEEESI_EEEEESK_NSA_INS5_IJNSE_INSF_IyEEEESM_EEEEEPS7_SP_SP_NSC_11hip_rocprim7__merge17predicate_wrapperIyyNSC_4lessIyEEEEEE10hipError_tPvRmT0_T1_T2_T3_T4_T5_mmT6_P12ihipStream_tbEUlT_E_NS1_11comp_targetILNS1_3genE5ELNS1_11target_archE942ELNS1_3gpuE9ELNS1_3repE0EEENS1_30default_config_static_selectorELNS0_4arch9wavefront6targetE0EEEvS10_.uses_flat_scratch, 0
	.set _ZN7rocprim17ROCPRIM_400000_NS6detail17trampoline_kernelINS0_14default_configENS1_21merge_config_selectorINS0_5tupleIJyyEEENS0_10empty_typeEEEZNS1_10merge_implIS3_NS0_12zip_iteratorINS5_IJN6thrust23THRUST_200600_302600_NS6detail15normal_iteratorINSC_10device_ptrIKyEEEESI_EEEEESK_NSA_INS5_IJNSE_INSF_IyEEEESM_EEEEEPS7_SP_SP_NSC_11hip_rocprim7__merge17predicate_wrapperIyyNSC_4lessIyEEEEEE10hipError_tPvRmT0_T1_T2_T3_T4_T5_mmT6_P12ihipStream_tbEUlT_E_NS1_11comp_targetILNS1_3genE5ELNS1_11target_archE942ELNS1_3gpuE9ELNS1_3repE0EEENS1_30default_config_static_selectorELNS0_4arch9wavefront6targetE0EEEvS10_.has_dyn_sized_stack, 0
	.set _ZN7rocprim17ROCPRIM_400000_NS6detail17trampoline_kernelINS0_14default_configENS1_21merge_config_selectorINS0_5tupleIJyyEEENS0_10empty_typeEEEZNS1_10merge_implIS3_NS0_12zip_iteratorINS5_IJN6thrust23THRUST_200600_302600_NS6detail15normal_iteratorINSC_10device_ptrIKyEEEESI_EEEEESK_NSA_INS5_IJNSE_INSF_IyEEEESM_EEEEEPS7_SP_SP_NSC_11hip_rocprim7__merge17predicate_wrapperIyyNSC_4lessIyEEEEEE10hipError_tPvRmT0_T1_T2_T3_T4_T5_mmT6_P12ihipStream_tbEUlT_E_NS1_11comp_targetILNS1_3genE5ELNS1_11target_archE942ELNS1_3gpuE9ELNS1_3repE0EEENS1_30default_config_static_selectorELNS0_4arch9wavefront6targetE0EEEvS10_.has_recursion, 0
	.set _ZN7rocprim17ROCPRIM_400000_NS6detail17trampoline_kernelINS0_14default_configENS1_21merge_config_selectorINS0_5tupleIJyyEEENS0_10empty_typeEEEZNS1_10merge_implIS3_NS0_12zip_iteratorINS5_IJN6thrust23THRUST_200600_302600_NS6detail15normal_iteratorINSC_10device_ptrIKyEEEESI_EEEEESK_NSA_INS5_IJNSE_INSF_IyEEEESM_EEEEEPS7_SP_SP_NSC_11hip_rocprim7__merge17predicate_wrapperIyyNSC_4lessIyEEEEEE10hipError_tPvRmT0_T1_T2_T3_T4_T5_mmT6_P12ihipStream_tbEUlT_E_NS1_11comp_targetILNS1_3genE5ELNS1_11target_archE942ELNS1_3gpuE9ELNS1_3repE0EEENS1_30default_config_static_selectorELNS0_4arch9wavefront6targetE0EEEvS10_.has_indirect_call, 0
	.section	.AMDGPU.csdata,"",@progbits
; Kernel info:
; codeLenInByte = 0
; TotalNumSgprs: 0
; NumVgprs: 0
; ScratchSize: 0
; MemoryBound: 0
; FloatMode: 240
; IeeeMode: 1
; LDSByteSize: 0 bytes/workgroup (compile time only)
; SGPRBlocks: 0
; VGPRBlocks: 0
; NumSGPRsForWavesPerEU: 1
; NumVGPRsForWavesPerEU: 1
; Occupancy: 16
; WaveLimiterHint : 0
; COMPUTE_PGM_RSRC2:SCRATCH_EN: 0
; COMPUTE_PGM_RSRC2:USER_SGPR: 6
; COMPUTE_PGM_RSRC2:TRAP_HANDLER: 0
; COMPUTE_PGM_RSRC2:TGID_X_EN: 1
; COMPUTE_PGM_RSRC2:TGID_Y_EN: 0
; COMPUTE_PGM_RSRC2:TGID_Z_EN: 0
; COMPUTE_PGM_RSRC2:TIDIG_COMP_CNT: 0
	.section	.text._ZN7rocprim17ROCPRIM_400000_NS6detail17trampoline_kernelINS0_14default_configENS1_21merge_config_selectorINS0_5tupleIJyyEEENS0_10empty_typeEEEZNS1_10merge_implIS3_NS0_12zip_iteratorINS5_IJN6thrust23THRUST_200600_302600_NS6detail15normal_iteratorINSC_10device_ptrIKyEEEESI_EEEEESK_NSA_INS5_IJNSE_INSF_IyEEEESM_EEEEEPS7_SP_SP_NSC_11hip_rocprim7__merge17predicate_wrapperIyyNSC_4lessIyEEEEEE10hipError_tPvRmT0_T1_T2_T3_T4_T5_mmT6_P12ihipStream_tbEUlT_E_NS1_11comp_targetILNS1_3genE4ELNS1_11target_archE910ELNS1_3gpuE8ELNS1_3repE0EEENS1_30default_config_static_selectorELNS0_4arch9wavefront6targetE0EEEvS10_,"axG",@progbits,_ZN7rocprim17ROCPRIM_400000_NS6detail17trampoline_kernelINS0_14default_configENS1_21merge_config_selectorINS0_5tupleIJyyEEENS0_10empty_typeEEEZNS1_10merge_implIS3_NS0_12zip_iteratorINS5_IJN6thrust23THRUST_200600_302600_NS6detail15normal_iteratorINSC_10device_ptrIKyEEEESI_EEEEESK_NSA_INS5_IJNSE_INSF_IyEEEESM_EEEEEPS7_SP_SP_NSC_11hip_rocprim7__merge17predicate_wrapperIyyNSC_4lessIyEEEEEE10hipError_tPvRmT0_T1_T2_T3_T4_T5_mmT6_P12ihipStream_tbEUlT_E_NS1_11comp_targetILNS1_3genE4ELNS1_11target_archE910ELNS1_3gpuE8ELNS1_3repE0EEENS1_30default_config_static_selectorELNS0_4arch9wavefront6targetE0EEEvS10_,comdat
	.protected	_ZN7rocprim17ROCPRIM_400000_NS6detail17trampoline_kernelINS0_14default_configENS1_21merge_config_selectorINS0_5tupleIJyyEEENS0_10empty_typeEEEZNS1_10merge_implIS3_NS0_12zip_iteratorINS5_IJN6thrust23THRUST_200600_302600_NS6detail15normal_iteratorINSC_10device_ptrIKyEEEESI_EEEEESK_NSA_INS5_IJNSE_INSF_IyEEEESM_EEEEEPS7_SP_SP_NSC_11hip_rocprim7__merge17predicate_wrapperIyyNSC_4lessIyEEEEEE10hipError_tPvRmT0_T1_T2_T3_T4_T5_mmT6_P12ihipStream_tbEUlT_E_NS1_11comp_targetILNS1_3genE4ELNS1_11target_archE910ELNS1_3gpuE8ELNS1_3repE0EEENS1_30default_config_static_selectorELNS0_4arch9wavefront6targetE0EEEvS10_ ; -- Begin function _ZN7rocprim17ROCPRIM_400000_NS6detail17trampoline_kernelINS0_14default_configENS1_21merge_config_selectorINS0_5tupleIJyyEEENS0_10empty_typeEEEZNS1_10merge_implIS3_NS0_12zip_iteratorINS5_IJN6thrust23THRUST_200600_302600_NS6detail15normal_iteratorINSC_10device_ptrIKyEEEESI_EEEEESK_NSA_INS5_IJNSE_INSF_IyEEEESM_EEEEEPS7_SP_SP_NSC_11hip_rocprim7__merge17predicate_wrapperIyyNSC_4lessIyEEEEEE10hipError_tPvRmT0_T1_T2_T3_T4_T5_mmT6_P12ihipStream_tbEUlT_E_NS1_11comp_targetILNS1_3genE4ELNS1_11target_archE910ELNS1_3gpuE8ELNS1_3repE0EEENS1_30default_config_static_selectorELNS0_4arch9wavefront6targetE0EEEvS10_
	.globl	_ZN7rocprim17ROCPRIM_400000_NS6detail17trampoline_kernelINS0_14default_configENS1_21merge_config_selectorINS0_5tupleIJyyEEENS0_10empty_typeEEEZNS1_10merge_implIS3_NS0_12zip_iteratorINS5_IJN6thrust23THRUST_200600_302600_NS6detail15normal_iteratorINSC_10device_ptrIKyEEEESI_EEEEESK_NSA_INS5_IJNSE_INSF_IyEEEESM_EEEEEPS7_SP_SP_NSC_11hip_rocprim7__merge17predicate_wrapperIyyNSC_4lessIyEEEEEE10hipError_tPvRmT0_T1_T2_T3_T4_T5_mmT6_P12ihipStream_tbEUlT_E_NS1_11comp_targetILNS1_3genE4ELNS1_11target_archE910ELNS1_3gpuE8ELNS1_3repE0EEENS1_30default_config_static_selectorELNS0_4arch9wavefront6targetE0EEEvS10_
	.p2align	8
	.type	_ZN7rocprim17ROCPRIM_400000_NS6detail17trampoline_kernelINS0_14default_configENS1_21merge_config_selectorINS0_5tupleIJyyEEENS0_10empty_typeEEEZNS1_10merge_implIS3_NS0_12zip_iteratorINS5_IJN6thrust23THRUST_200600_302600_NS6detail15normal_iteratorINSC_10device_ptrIKyEEEESI_EEEEESK_NSA_INS5_IJNSE_INSF_IyEEEESM_EEEEEPS7_SP_SP_NSC_11hip_rocprim7__merge17predicate_wrapperIyyNSC_4lessIyEEEEEE10hipError_tPvRmT0_T1_T2_T3_T4_T5_mmT6_P12ihipStream_tbEUlT_E_NS1_11comp_targetILNS1_3genE4ELNS1_11target_archE910ELNS1_3gpuE8ELNS1_3repE0EEENS1_30default_config_static_selectorELNS0_4arch9wavefront6targetE0EEEvS10_,@function
_ZN7rocprim17ROCPRIM_400000_NS6detail17trampoline_kernelINS0_14default_configENS1_21merge_config_selectorINS0_5tupleIJyyEEENS0_10empty_typeEEEZNS1_10merge_implIS3_NS0_12zip_iteratorINS5_IJN6thrust23THRUST_200600_302600_NS6detail15normal_iteratorINSC_10device_ptrIKyEEEESI_EEEEESK_NSA_INS5_IJNSE_INSF_IyEEEESM_EEEEEPS7_SP_SP_NSC_11hip_rocprim7__merge17predicate_wrapperIyyNSC_4lessIyEEEEEE10hipError_tPvRmT0_T1_T2_T3_T4_T5_mmT6_P12ihipStream_tbEUlT_E_NS1_11comp_targetILNS1_3genE4ELNS1_11target_archE910ELNS1_3gpuE8ELNS1_3repE0EEENS1_30default_config_static_selectorELNS0_4arch9wavefront6targetE0EEEvS10_: ; @_ZN7rocprim17ROCPRIM_400000_NS6detail17trampoline_kernelINS0_14default_configENS1_21merge_config_selectorINS0_5tupleIJyyEEENS0_10empty_typeEEEZNS1_10merge_implIS3_NS0_12zip_iteratorINS5_IJN6thrust23THRUST_200600_302600_NS6detail15normal_iteratorINSC_10device_ptrIKyEEEESI_EEEEESK_NSA_INS5_IJNSE_INSF_IyEEEESM_EEEEEPS7_SP_SP_NSC_11hip_rocprim7__merge17predicate_wrapperIyyNSC_4lessIyEEEEEE10hipError_tPvRmT0_T1_T2_T3_T4_T5_mmT6_P12ihipStream_tbEUlT_E_NS1_11comp_targetILNS1_3genE4ELNS1_11target_archE910ELNS1_3gpuE8ELNS1_3repE0EEENS1_30default_config_static_selectorELNS0_4arch9wavefront6targetE0EEEvS10_
; %bb.0:
	.section	.rodata,"a",@progbits
	.p2align	6, 0x0
	.amdhsa_kernel _ZN7rocprim17ROCPRIM_400000_NS6detail17trampoline_kernelINS0_14default_configENS1_21merge_config_selectorINS0_5tupleIJyyEEENS0_10empty_typeEEEZNS1_10merge_implIS3_NS0_12zip_iteratorINS5_IJN6thrust23THRUST_200600_302600_NS6detail15normal_iteratorINSC_10device_ptrIKyEEEESI_EEEEESK_NSA_INS5_IJNSE_INSF_IyEEEESM_EEEEEPS7_SP_SP_NSC_11hip_rocprim7__merge17predicate_wrapperIyyNSC_4lessIyEEEEEE10hipError_tPvRmT0_T1_T2_T3_T4_T5_mmT6_P12ihipStream_tbEUlT_E_NS1_11comp_targetILNS1_3genE4ELNS1_11target_archE910ELNS1_3gpuE8ELNS1_3repE0EEENS1_30default_config_static_selectorELNS0_4arch9wavefront6targetE0EEEvS10_
		.amdhsa_group_segment_fixed_size 0
		.amdhsa_private_segment_fixed_size 0
		.amdhsa_kernarg_size 64
		.amdhsa_user_sgpr_count 6
		.amdhsa_user_sgpr_private_segment_buffer 1
		.amdhsa_user_sgpr_dispatch_ptr 0
		.amdhsa_user_sgpr_queue_ptr 0
		.amdhsa_user_sgpr_kernarg_segment_ptr 1
		.amdhsa_user_sgpr_dispatch_id 0
		.amdhsa_user_sgpr_flat_scratch_init 0
		.amdhsa_user_sgpr_private_segment_size 0
		.amdhsa_wavefront_size32 1
		.amdhsa_uses_dynamic_stack 0
		.amdhsa_system_sgpr_private_segment_wavefront_offset 0
		.amdhsa_system_sgpr_workgroup_id_x 1
		.amdhsa_system_sgpr_workgroup_id_y 0
		.amdhsa_system_sgpr_workgroup_id_z 0
		.amdhsa_system_sgpr_workgroup_info 0
		.amdhsa_system_vgpr_workitem_id 0
		.amdhsa_next_free_vgpr 1
		.amdhsa_next_free_sgpr 1
		.amdhsa_reserve_vcc 0
		.amdhsa_reserve_flat_scratch 0
		.amdhsa_float_round_mode_32 0
		.amdhsa_float_round_mode_16_64 0
		.amdhsa_float_denorm_mode_32 3
		.amdhsa_float_denorm_mode_16_64 3
		.amdhsa_dx10_clamp 1
		.amdhsa_ieee_mode 1
		.amdhsa_fp16_overflow 0
		.amdhsa_workgroup_processor_mode 1
		.amdhsa_memory_ordered 1
		.amdhsa_forward_progress 1
		.amdhsa_shared_vgpr_count 0
		.amdhsa_exception_fp_ieee_invalid_op 0
		.amdhsa_exception_fp_denorm_src 0
		.amdhsa_exception_fp_ieee_div_zero 0
		.amdhsa_exception_fp_ieee_overflow 0
		.amdhsa_exception_fp_ieee_underflow 0
		.amdhsa_exception_fp_ieee_inexact 0
		.amdhsa_exception_int_div_zero 0
	.end_amdhsa_kernel
	.section	.text._ZN7rocprim17ROCPRIM_400000_NS6detail17trampoline_kernelINS0_14default_configENS1_21merge_config_selectorINS0_5tupleIJyyEEENS0_10empty_typeEEEZNS1_10merge_implIS3_NS0_12zip_iteratorINS5_IJN6thrust23THRUST_200600_302600_NS6detail15normal_iteratorINSC_10device_ptrIKyEEEESI_EEEEESK_NSA_INS5_IJNSE_INSF_IyEEEESM_EEEEEPS7_SP_SP_NSC_11hip_rocprim7__merge17predicate_wrapperIyyNSC_4lessIyEEEEEE10hipError_tPvRmT0_T1_T2_T3_T4_T5_mmT6_P12ihipStream_tbEUlT_E_NS1_11comp_targetILNS1_3genE4ELNS1_11target_archE910ELNS1_3gpuE8ELNS1_3repE0EEENS1_30default_config_static_selectorELNS0_4arch9wavefront6targetE0EEEvS10_,"axG",@progbits,_ZN7rocprim17ROCPRIM_400000_NS6detail17trampoline_kernelINS0_14default_configENS1_21merge_config_selectorINS0_5tupleIJyyEEENS0_10empty_typeEEEZNS1_10merge_implIS3_NS0_12zip_iteratorINS5_IJN6thrust23THRUST_200600_302600_NS6detail15normal_iteratorINSC_10device_ptrIKyEEEESI_EEEEESK_NSA_INS5_IJNSE_INSF_IyEEEESM_EEEEEPS7_SP_SP_NSC_11hip_rocprim7__merge17predicate_wrapperIyyNSC_4lessIyEEEEEE10hipError_tPvRmT0_T1_T2_T3_T4_T5_mmT6_P12ihipStream_tbEUlT_E_NS1_11comp_targetILNS1_3genE4ELNS1_11target_archE910ELNS1_3gpuE8ELNS1_3repE0EEENS1_30default_config_static_selectorELNS0_4arch9wavefront6targetE0EEEvS10_,comdat
.Lfunc_end98:
	.size	_ZN7rocprim17ROCPRIM_400000_NS6detail17trampoline_kernelINS0_14default_configENS1_21merge_config_selectorINS0_5tupleIJyyEEENS0_10empty_typeEEEZNS1_10merge_implIS3_NS0_12zip_iteratorINS5_IJN6thrust23THRUST_200600_302600_NS6detail15normal_iteratorINSC_10device_ptrIKyEEEESI_EEEEESK_NSA_INS5_IJNSE_INSF_IyEEEESM_EEEEEPS7_SP_SP_NSC_11hip_rocprim7__merge17predicate_wrapperIyyNSC_4lessIyEEEEEE10hipError_tPvRmT0_T1_T2_T3_T4_T5_mmT6_P12ihipStream_tbEUlT_E_NS1_11comp_targetILNS1_3genE4ELNS1_11target_archE910ELNS1_3gpuE8ELNS1_3repE0EEENS1_30default_config_static_selectorELNS0_4arch9wavefront6targetE0EEEvS10_, .Lfunc_end98-_ZN7rocprim17ROCPRIM_400000_NS6detail17trampoline_kernelINS0_14default_configENS1_21merge_config_selectorINS0_5tupleIJyyEEENS0_10empty_typeEEEZNS1_10merge_implIS3_NS0_12zip_iteratorINS5_IJN6thrust23THRUST_200600_302600_NS6detail15normal_iteratorINSC_10device_ptrIKyEEEESI_EEEEESK_NSA_INS5_IJNSE_INSF_IyEEEESM_EEEEEPS7_SP_SP_NSC_11hip_rocprim7__merge17predicate_wrapperIyyNSC_4lessIyEEEEEE10hipError_tPvRmT0_T1_T2_T3_T4_T5_mmT6_P12ihipStream_tbEUlT_E_NS1_11comp_targetILNS1_3genE4ELNS1_11target_archE910ELNS1_3gpuE8ELNS1_3repE0EEENS1_30default_config_static_selectorELNS0_4arch9wavefront6targetE0EEEvS10_
                                        ; -- End function
	.set _ZN7rocprim17ROCPRIM_400000_NS6detail17trampoline_kernelINS0_14default_configENS1_21merge_config_selectorINS0_5tupleIJyyEEENS0_10empty_typeEEEZNS1_10merge_implIS3_NS0_12zip_iteratorINS5_IJN6thrust23THRUST_200600_302600_NS6detail15normal_iteratorINSC_10device_ptrIKyEEEESI_EEEEESK_NSA_INS5_IJNSE_INSF_IyEEEESM_EEEEEPS7_SP_SP_NSC_11hip_rocprim7__merge17predicate_wrapperIyyNSC_4lessIyEEEEEE10hipError_tPvRmT0_T1_T2_T3_T4_T5_mmT6_P12ihipStream_tbEUlT_E_NS1_11comp_targetILNS1_3genE4ELNS1_11target_archE910ELNS1_3gpuE8ELNS1_3repE0EEENS1_30default_config_static_selectorELNS0_4arch9wavefront6targetE0EEEvS10_.num_vgpr, 0
	.set _ZN7rocprim17ROCPRIM_400000_NS6detail17trampoline_kernelINS0_14default_configENS1_21merge_config_selectorINS0_5tupleIJyyEEENS0_10empty_typeEEEZNS1_10merge_implIS3_NS0_12zip_iteratorINS5_IJN6thrust23THRUST_200600_302600_NS6detail15normal_iteratorINSC_10device_ptrIKyEEEESI_EEEEESK_NSA_INS5_IJNSE_INSF_IyEEEESM_EEEEEPS7_SP_SP_NSC_11hip_rocprim7__merge17predicate_wrapperIyyNSC_4lessIyEEEEEE10hipError_tPvRmT0_T1_T2_T3_T4_T5_mmT6_P12ihipStream_tbEUlT_E_NS1_11comp_targetILNS1_3genE4ELNS1_11target_archE910ELNS1_3gpuE8ELNS1_3repE0EEENS1_30default_config_static_selectorELNS0_4arch9wavefront6targetE0EEEvS10_.num_agpr, 0
	.set _ZN7rocprim17ROCPRIM_400000_NS6detail17trampoline_kernelINS0_14default_configENS1_21merge_config_selectorINS0_5tupleIJyyEEENS0_10empty_typeEEEZNS1_10merge_implIS3_NS0_12zip_iteratorINS5_IJN6thrust23THRUST_200600_302600_NS6detail15normal_iteratorINSC_10device_ptrIKyEEEESI_EEEEESK_NSA_INS5_IJNSE_INSF_IyEEEESM_EEEEEPS7_SP_SP_NSC_11hip_rocprim7__merge17predicate_wrapperIyyNSC_4lessIyEEEEEE10hipError_tPvRmT0_T1_T2_T3_T4_T5_mmT6_P12ihipStream_tbEUlT_E_NS1_11comp_targetILNS1_3genE4ELNS1_11target_archE910ELNS1_3gpuE8ELNS1_3repE0EEENS1_30default_config_static_selectorELNS0_4arch9wavefront6targetE0EEEvS10_.numbered_sgpr, 0
	.set _ZN7rocprim17ROCPRIM_400000_NS6detail17trampoline_kernelINS0_14default_configENS1_21merge_config_selectorINS0_5tupleIJyyEEENS0_10empty_typeEEEZNS1_10merge_implIS3_NS0_12zip_iteratorINS5_IJN6thrust23THRUST_200600_302600_NS6detail15normal_iteratorINSC_10device_ptrIKyEEEESI_EEEEESK_NSA_INS5_IJNSE_INSF_IyEEEESM_EEEEEPS7_SP_SP_NSC_11hip_rocprim7__merge17predicate_wrapperIyyNSC_4lessIyEEEEEE10hipError_tPvRmT0_T1_T2_T3_T4_T5_mmT6_P12ihipStream_tbEUlT_E_NS1_11comp_targetILNS1_3genE4ELNS1_11target_archE910ELNS1_3gpuE8ELNS1_3repE0EEENS1_30default_config_static_selectorELNS0_4arch9wavefront6targetE0EEEvS10_.num_named_barrier, 0
	.set _ZN7rocprim17ROCPRIM_400000_NS6detail17trampoline_kernelINS0_14default_configENS1_21merge_config_selectorINS0_5tupleIJyyEEENS0_10empty_typeEEEZNS1_10merge_implIS3_NS0_12zip_iteratorINS5_IJN6thrust23THRUST_200600_302600_NS6detail15normal_iteratorINSC_10device_ptrIKyEEEESI_EEEEESK_NSA_INS5_IJNSE_INSF_IyEEEESM_EEEEEPS7_SP_SP_NSC_11hip_rocprim7__merge17predicate_wrapperIyyNSC_4lessIyEEEEEE10hipError_tPvRmT0_T1_T2_T3_T4_T5_mmT6_P12ihipStream_tbEUlT_E_NS1_11comp_targetILNS1_3genE4ELNS1_11target_archE910ELNS1_3gpuE8ELNS1_3repE0EEENS1_30default_config_static_selectorELNS0_4arch9wavefront6targetE0EEEvS10_.private_seg_size, 0
	.set _ZN7rocprim17ROCPRIM_400000_NS6detail17trampoline_kernelINS0_14default_configENS1_21merge_config_selectorINS0_5tupleIJyyEEENS0_10empty_typeEEEZNS1_10merge_implIS3_NS0_12zip_iteratorINS5_IJN6thrust23THRUST_200600_302600_NS6detail15normal_iteratorINSC_10device_ptrIKyEEEESI_EEEEESK_NSA_INS5_IJNSE_INSF_IyEEEESM_EEEEEPS7_SP_SP_NSC_11hip_rocprim7__merge17predicate_wrapperIyyNSC_4lessIyEEEEEE10hipError_tPvRmT0_T1_T2_T3_T4_T5_mmT6_P12ihipStream_tbEUlT_E_NS1_11comp_targetILNS1_3genE4ELNS1_11target_archE910ELNS1_3gpuE8ELNS1_3repE0EEENS1_30default_config_static_selectorELNS0_4arch9wavefront6targetE0EEEvS10_.uses_vcc, 0
	.set _ZN7rocprim17ROCPRIM_400000_NS6detail17trampoline_kernelINS0_14default_configENS1_21merge_config_selectorINS0_5tupleIJyyEEENS0_10empty_typeEEEZNS1_10merge_implIS3_NS0_12zip_iteratorINS5_IJN6thrust23THRUST_200600_302600_NS6detail15normal_iteratorINSC_10device_ptrIKyEEEESI_EEEEESK_NSA_INS5_IJNSE_INSF_IyEEEESM_EEEEEPS7_SP_SP_NSC_11hip_rocprim7__merge17predicate_wrapperIyyNSC_4lessIyEEEEEE10hipError_tPvRmT0_T1_T2_T3_T4_T5_mmT6_P12ihipStream_tbEUlT_E_NS1_11comp_targetILNS1_3genE4ELNS1_11target_archE910ELNS1_3gpuE8ELNS1_3repE0EEENS1_30default_config_static_selectorELNS0_4arch9wavefront6targetE0EEEvS10_.uses_flat_scratch, 0
	.set _ZN7rocprim17ROCPRIM_400000_NS6detail17trampoline_kernelINS0_14default_configENS1_21merge_config_selectorINS0_5tupleIJyyEEENS0_10empty_typeEEEZNS1_10merge_implIS3_NS0_12zip_iteratorINS5_IJN6thrust23THRUST_200600_302600_NS6detail15normal_iteratorINSC_10device_ptrIKyEEEESI_EEEEESK_NSA_INS5_IJNSE_INSF_IyEEEESM_EEEEEPS7_SP_SP_NSC_11hip_rocprim7__merge17predicate_wrapperIyyNSC_4lessIyEEEEEE10hipError_tPvRmT0_T1_T2_T3_T4_T5_mmT6_P12ihipStream_tbEUlT_E_NS1_11comp_targetILNS1_3genE4ELNS1_11target_archE910ELNS1_3gpuE8ELNS1_3repE0EEENS1_30default_config_static_selectorELNS0_4arch9wavefront6targetE0EEEvS10_.has_dyn_sized_stack, 0
	.set _ZN7rocprim17ROCPRIM_400000_NS6detail17trampoline_kernelINS0_14default_configENS1_21merge_config_selectorINS0_5tupleIJyyEEENS0_10empty_typeEEEZNS1_10merge_implIS3_NS0_12zip_iteratorINS5_IJN6thrust23THRUST_200600_302600_NS6detail15normal_iteratorINSC_10device_ptrIKyEEEESI_EEEEESK_NSA_INS5_IJNSE_INSF_IyEEEESM_EEEEEPS7_SP_SP_NSC_11hip_rocprim7__merge17predicate_wrapperIyyNSC_4lessIyEEEEEE10hipError_tPvRmT0_T1_T2_T3_T4_T5_mmT6_P12ihipStream_tbEUlT_E_NS1_11comp_targetILNS1_3genE4ELNS1_11target_archE910ELNS1_3gpuE8ELNS1_3repE0EEENS1_30default_config_static_selectorELNS0_4arch9wavefront6targetE0EEEvS10_.has_recursion, 0
	.set _ZN7rocprim17ROCPRIM_400000_NS6detail17trampoline_kernelINS0_14default_configENS1_21merge_config_selectorINS0_5tupleIJyyEEENS0_10empty_typeEEEZNS1_10merge_implIS3_NS0_12zip_iteratorINS5_IJN6thrust23THRUST_200600_302600_NS6detail15normal_iteratorINSC_10device_ptrIKyEEEESI_EEEEESK_NSA_INS5_IJNSE_INSF_IyEEEESM_EEEEEPS7_SP_SP_NSC_11hip_rocprim7__merge17predicate_wrapperIyyNSC_4lessIyEEEEEE10hipError_tPvRmT0_T1_T2_T3_T4_T5_mmT6_P12ihipStream_tbEUlT_E_NS1_11comp_targetILNS1_3genE4ELNS1_11target_archE910ELNS1_3gpuE8ELNS1_3repE0EEENS1_30default_config_static_selectorELNS0_4arch9wavefront6targetE0EEEvS10_.has_indirect_call, 0
	.section	.AMDGPU.csdata,"",@progbits
; Kernel info:
; codeLenInByte = 0
; TotalNumSgprs: 0
; NumVgprs: 0
; ScratchSize: 0
; MemoryBound: 0
; FloatMode: 240
; IeeeMode: 1
; LDSByteSize: 0 bytes/workgroup (compile time only)
; SGPRBlocks: 0
; VGPRBlocks: 0
; NumSGPRsForWavesPerEU: 1
; NumVGPRsForWavesPerEU: 1
; Occupancy: 16
; WaveLimiterHint : 0
; COMPUTE_PGM_RSRC2:SCRATCH_EN: 0
; COMPUTE_PGM_RSRC2:USER_SGPR: 6
; COMPUTE_PGM_RSRC2:TRAP_HANDLER: 0
; COMPUTE_PGM_RSRC2:TGID_X_EN: 1
; COMPUTE_PGM_RSRC2:TGID_Y_EN: 0
; COMPUTE_PGM_RSRC2:TGID_Z_EN: 0
; COMPUTE_PGM_RSRC2:TIDIG_COMP_CNT: 0
	.section	.text._ZN7rocprim17ROCPRIM_400000_NS6detail17trampoline_kernelINS0_14default_configENS1_21merge_config_selectorINS0_5tupleIJyyEEENS0_10empty_typeEEEZNS1_10merge_implIS3_NS0_12zip_iteratorINS5_IJN6thrust23THRUST_200600_302600_NS6detail15normal_iteratorINSC_10device_ptrIKyEEEESI_EEEEESK_NSA_INS5_IJNSE_INSF_IyEEEESM_EEEEEPS7_SP_SP_NSC_11hip_rocprim7__merge17predicate_wrapperIyyNSC_4lessIyEEEEEE10hipError_tPvRmT0_T1_T2_T3_T4_T5_mmT6_P12ihipStream_tbEUlT_E_NS1_11comp_targetILNS1_3genE3ELNS1_11target_archE908ELNS1_3gpuE7ELNS1_3repE0EEENS1_30default_config_static_selectorELNS0_4arch9wavefront6targetE0EEEvS10_,"axG",@progbits,_ZN7rocprim17ROCPRIM_400000_NS6detail17trampoline_kernelINS0_14default_configENS1_21merge_config_selectorINS0_5tupleIJyyEEENS0_10empty_typeEEEZNS1_10merge_implIS3_NS0_12zip_iteratorINS5_IJN6thrust23THRUST_200600_302600_NS6detail15normal_iteratorINSC_10device_ptrIKyEEEESI_EEEEESK_NSA_INS5_IJNSE_INSF_IyEEEESM_EEEEEPS7_SP_SP_NSC_11hip_rocprim7__merge17predicate_wrapperIyyNSC_4lessIyEEEEEE10hipError_tPvRmT0_T1_T2_T3_T4_T5_mmT6_P12ihipStream_tbEUlT_E_NS1_11comp_targetILNS1_3genE3ELNS1_11target_archE908ELNS1_3gpuE7ELNS1_3repE0EEENS1_30default_config_static_selectorELNS0_4arch9wavefront6targetE0EEEvS10_,comdat
	.protected	_ZN7rocprim17ROCPRIM_400000_NS6detail17trampoline_kernelINS0_14default_configENS1_21merge_config_selectorINS0_5tupleIJyyEEENS0_10empty_typeEEEZNS1_10merge_implIS3_NS0_12zip_iteratorINS5_IJN6thrust23THRUST_200600_302600_NS6detail15normal_iteratorINSC_10device_ptrIKyEEEESI_EEEEESK_NSA_INS5_IJNSE_INSF_IyEEEESM_EEEEEPS7_SP_SP_NSC_11hip_rocprim7__merge17predicate_wrapperIyyNSC_4lessIyEEEEEE10hipError_tPvRmT0_T1_T2_T3_T4_T5_mmT6_P12ihipStream_tbEUlT_E_NS1_11comp_targetILNS1_3genE3ELNS1_11target_archE908ELNS1_3gpuE7ELNS1_3repE0EEENS1_30default_config_static_selectorELNS0_4arch9wavefront6targetE0EEEvS10_ ; -- Begin function _ZN7rocprim17ROCPRIM_400000_NS6detail17trampoline_kernelINS0_14default_configENS1_21merge_config_selectorINS0_5tupleIJyyEEENS0_10empty_typeEEEZNS1_10merge_implIS3_NS0_12zip_iteratorINS5_IJN6thrust23THRUST_200600_302600_NS6detail15normal_iteratorINSC_10device_ptrIKyEEEESI_EEEEESK_NSA_INS5_IJNSE_INSF_IyEEEESM_EEEEEPS7_SP_SP_NSC_11hip_rocprim7__merge17predicate_wrapperIyyNSC_4lessIyEEEEEE10hipError_tPvRmT0_T1_T2_T3_T4_T5_mmT6_P12ihipStream_tbEUlT_E_NS1_11comp_targetILNS1_3genE3ELNS1_11target_archE908ELNS1_3gpuE7ELNS1_3repE0EEENS1_30default_config_static_selectorELNS0_4arch9wavefront6targetE0EEEvS10_
	.globl	_ZN7rocprim17ROCPRIM_400000_NS6detail17trampoline_kernelINS0_14default_configENS1_21merge_config_selectorINS0_5tupleIJyyEEENS0_10empty_typeEEEZNS1_10merge_implIS3_NS0_12zip_iteratorINS5_IJN6thrust23THRUST_200600_302600_NS6detail15normal_iteratorINSC_10device_ptrIKyEEEESI_EEEEESK_NSA_INS5_IJNSE_INSF_IyEEEESM_EEEEEPS7_SP_SP_NSC_11hip_rocprim7__merge17predicate_wrapperIyyNSC_4lessIyEEEEEE10hipError_tPvRmT0_T1_T2_T3_T4_T5_mmT6_P12ihipStream_tbEUlT_E_NS1_11comp_targetILNS1_3genE3ELNS1_11target_archE908ELNS1_3gpuE7ELNS1_3repE0EEENS1_30default_config_static_selectorELNS0_4arch9wavefront6targetE0EEEvS10_
	.p2align	8
	.type	_ZN7rocprim17ROCPRIM_400000_NS6detail17trampoline_kernelINS0_14default_configENS1_21merge_config_selectorINS0_5tupleIJyyEEENS0_10empty_typeEEEZNS1_10merge_implIS3_NS0_12zip_iteratorINS5_IJN6thrust23THRUST_200600_302600_NS6detail15normal_iteratorINSC_10device_ptrIKyEEEESI_EEEEESK_NSA_INS5_IJNSE_INSF_IyEEEESM_EEEEEPS7_SP_SP_NSC_11hip_rocprim7__merge17predicate_wrapperIyyNSC_4lessIyEEEEEE10hipError_tPvRmT0_T1_T2_T3_T4_T5_mmT6_P12ihipStream_tbEUlT_E_NS1_11comp_targetILNS1_3genE3ELNS1_11target_archE908ELNS1_3gpuE7ELNS1_3repE0EEENS1_30default_config_static_selectorELNS0_4arch9wavefront6targetE0EEEvS10_,@function
_ZN7rocprim17ROCPRIM_400000_NS6detail17trampoline_kernelINS0_14default_configENS1_21merge_config_selectorINS0_5tupleIJyyEEENS0_10empty_typeEEEZNS1_10merge_implIS3_NS0_12zip_iteratorINS5_IJN6thrust23THRUST_200600_302600_NS6detail15normal_iteratorINSC_10device_ptrIKyEEEESI_EEEEESK_NSA_INS5_IJNSE_INSF_IyEEEESM_EEEEEPS7_SP_SP_NSC_11hip_rocprim7__merge17predicate_wrapperIyyNSC_4lessIyEEEEEE10hipError_tPvRmT0_T1_T2_T3_T4_T5_mmT6_P12ihipStream_tbEUlT_E_NS1_11comp_targetILNS1_3genE3ELNS1_11target_archE908ELNS1_3gpuE7ELNS1_3repE0EEENS1_30default_config_static_selectorELNS0_4arch9wavefront6targetE0EEEvS10_: ; @_ZN7rocprim17ROCPRIM_400000_NS6detail17trampoline_kernelINS0_14default_configENS1_21merge_config_selectorINS0_5tupleIJyyEEENS0_10empty_typeEEEZNS1_10merge_implIS3_NS0_12zip_iteratorINS5_IJN6thrust23THRUST_200600_302600_NS6detail15normal_iteratorINSC_10device_ptrIKyEEEESI_EEEEESK_NSA_INS5_IJNSE_INSF_IyEEEESM_EEEEEPS7_SP_SP_NSC_11hip_rocprim7__merge17predicate_wrapperIyyNSC_4lessIyEEEEEE10hipError_tPvRmT0_T1_T2_T3_T4_T5_mmT6_P12ihipStream_tbEUlT_E_NS1_11comp_targetILNS1_3genE3ELNS1_11target_archE908ELNS1_3gpuE7ELNS1_3repE0EEENS1_30default_config_static_selectorELNS0_4arch9wavefront6targetE0EEEvS10_
; %bb.0:
	.section	.rodata,"a",@progbits
	.p2align	6, 0x0
	.amdhsa_kernel _ZN7rocprim17ROCPRIM_400000_NS6detail17trampoline_kernelINS0_14default_configENS1_21merge_config_selectorINS0_5tupleIJyyEEENS0_10empty_typeEEEZNS1_10merge_implIS3_NS0_12zip_iteratorINS5_IJN6thrust23THRUST_200600_302600_NS6detail15normal_iteratorINSC_10device_ptrIKyEEEESI_EEEEESK_NSA_INS5_IJNSE_INSF_IyEEEESM_EEEEEPS7_SP_SP_NSC_11hip_rocprim7__merge17predicate_wrapperIyyNSC_4lessIyEEEEEE10hipError_tPvRmT0_T1_T2_T3_T4_T5_mmT6_P12ihipStream_tbEUlT_E_NS1_11comp_targetILNS1_3genE3ELNS1_11target_archE908ELNS1_3gpuE7ELNS1_3repE0EEENS1_30default_config_static_selectorELNS0_4arch9wavefront6targetE0EEEvS10_
		.amdhsa_group_segment_fixed_size 0
		.amdhsa_private_segment_fixed_size 0
		.amdhsa_kernarg_size 64
		.amdhsa_user_sgpr_count 6
		.amdhsa_user_sgpr_private_segment_buffer 1
		.amdhsa_user_sgpr_dispatch_ptr 0
		.amdhsa_user_sgpr_queue_ptr 0
		.amdhsa_user_sgpr_kernarg_segment_ptr 1
		.amdhsa_user_sgpr_dispatch_id 0
		.amdhsa_user_sgpr_flat_scratch_init 0
		.amdhsa_user_sgpr_private_segment_size 0
		.amdhsa_wavefront_size32 1
		.amdhsa_uses_dynamic_stack 0
		.amdhsa_system_sgpr_private_segment_wavefront_offset 0
		.amdhsa_system_sgpr_workgroup_id_x 1
		.amdhsa_system_sgpr_workgroup_id_y 0
		.amdhsa_system_sgpr_workgroup_id_z 0
		.amdhsa_system_sgpr_workgroup_info 0
		.amdhsa_system_vgpr_workitem_id 0
		.amdhsa_next_free_vgpr 1
		.amdhsa_next_free_sgpr 1
		.amdhsa_reserve_vcc 0
		.amdhsa_reserve_flat_scratch 0
		.amdhsa_float_round_mode_32 0
		.amdhsa_float_round_mode_16_64 0
		.amdhsa_float_denorm_mode_32 3
		.amdhsa_float_denorm_mode_16_64 3
		.amdhsa_dx10_clamp 1
		.amdhsa_ieee_mode 1
		.amdhsa_fp16_overflow 0
		.amdhsa_workgroup_processor_mode 1
		.amdhsa_memory_ordered 1
		.amdhsa_forward_progress 1
		.amdhsa_shared_vgpr_count 0
		.amdhsa_exception_fp_ieee_invalid_op 0
		.amdhsa_exception_fp_denorm_src 0
		.amdhsa_exception_fp_ieee_div_zero 0
		.amdhsa_exception_fp_ieee_overflow 0
		.amdhsa_exception_fp_ieee_underflow 0
		.amdhsa_exception_fp_ieee_inexact 0
		.amdhsa_exception_int_div_zero 0
	.end_amdhsa_kernel
	.section	.text._ZN7rocprim17ROCPRIM_400000_NS6detail17trampoline_kernelINS0_14default_configENS1_21merge_config_selectorINS0_5tupleIJyyEEENS0_10empty_typeEEEZNS1_10merge_implIS3_NS0_12zip_iteratorINS5_IJN6thrust23THRUST_200600_302600_NS6detail15normal_iteratorINSC_10device_ptrIKyEEEESI_EEEEESK_NSA_INS5_IJNSE_INSF_IyEEEESM_EEEEEPS7_SP_SP_NSC_11hip_rocprim7__merge17predicate_wrapperIyyNSC_4lessIyEEEEEE10hipError_tPvRmT0_T1_T2_T3_T4_T5_mmT6_P12ihipStream_tbEUlT_E_NS1_11comp_targetILNS1_3genE3ELNS1_11target_archE908ELNS1_3gpuE7ELNS1_3repE0EEENS1_30default_config_static_selectorELNS0_4arch9wavefront6targetE0EEEvS10_,"axG",@progbits,_ZN7rocprim17ROCPRIM_400000_NS6detail17trampoline_kernelINS0_14default_configENS1_21merge_config_selectorINS0_5tupleIJyyEEENS0_10empty_typeEEEZNS1_10merge_implIS3_NS0_12zip_iteratorINS5_IJN6thrust23THRUST_200600_302600_NS6detail15normal_iteratorINSC_10device_ptrIKyEEEESI_EEEEESK_NSA_INS5_IJNSE_INSF_IyEEEESM_EEEEEPS7_SP_SP_NSC_11hip_rocprim7__merge17predicate_wrapperIyyNSC_4lessIyEEEEEE10hipError_tPvRmT0_T1_T2_T3_T4_T5_mmT6_P12ihipStream_tbEUlT_E_NS1_11comp_targetILNS1_3genE3ELNS1_11target_archE908ELNS1_3gpuE7ELNS1_3repE0EEENS1_30default_config_static_selectorELNS0_4arch9wavefront6targetE0EEEvS10_,comdat
.Lfunc_end99:
	.size	_ZN7rocprim17ROCPRIM_400000_NS6detail17trampoline_kernelINS0_14default_configENS1_21merge_config_selectorINS0_5tupleIJyyEEENS0_10empty_typeEEEZNS1_10merge_implIS3_NS0_12zip_iteratorINS5_IJN6thrust23THRUST_200600_302600_NS6detail15normal_iteratorINSC_10device_ptrIKyEEEESI_EEEEESK_NSA_INS5_IJNSE_INSF_IyEEEESM_EEEEEPS7_SP_SP_NSC_11hip_rocprim7__merge17predicate_wrapperIyyNSC_4lessIyEEEEEE10hipError_tPvRmT0_T1_T2_T3_T4_T5_mmT6_P12ihipStream_tbEUlT_E_NS1_11comp_targetILNS1_3genE3ELNS1_11target_archE908ELNS1_3gpuE7ELNS1_3repE0EEENS1_30default_config_static_selectorELNS0_4arch9wavefront6targetE0EEEvS10_, .Lfunc_end99-_ZN7rocprim17ROCPRIM_400000_NS6detail17trampoline_kernelINS0_14default_configENS1_21merge_config_selectorINS0_5tupleIJyyEEENS0_10empty_typeEEEZNS1_10merge_implIS3_NS0_12zip_iteratorINS5_IJN6thrust23THRUST_200600_302600_NS6detail15normal_iteratorINSC_10device_ptrIKyEEEESI_EEEEESK_NSA_INS5_IJNSE_INSF_IyEEEESM_EEEEEPS7_SP_SP_NSC_11hip_rocprim7__merge17predicate_wrapperIyyNSC_4lessIyEEEEEE10hipError_tPvRmT0_T1_T2_T3_T4_T5_mmT6_P12ihipStream_tbEUlT_E_NS1_11comp_targetILNS1_3genE3ELNS1_11target_archE908ELNS1_3gpuE7ELNS1_3repE0EEENS1_30default_config_static_selectorELNS0_4arch9wavefront6targetE0EEEvS10_
                                        ; -- End function
	.set _ZN7rocprim17ROCPRIM_400000_NS6detail17trampoline_kernelINS0_14default_configENS1_21merge_config_selectorINS0_5tupleIJyyEEENS0_10empty_typeEEEZNS1_10merge_implIS3_NS0_12zip_iteratorINS5_IJN6thrust23THRUST_200600_302600_NS6detail15normal_iteratorINSC_10device_ptrIKyEEEESI_EEEEESK_NSA_INS5_IJNSE_INSF_IyEEEESM_EEEEEPS7_SP_SP_NSC_11hip_rocprim7__merge17predicate_wrapperIyyNSC_4lessIyEEEEEE10hipError_tPvRmT0_T1_T2_T3_T4_T5_mmT6_P12ihipStream_tbEUlT_E_NS1_11comp_targetILNS1_3genE3ELNS1_11target_archE908ELNS1_3gpuE7ELNS1_3repE0EEENS1_30default_config_static_selectorELNS0_4arch9wavefront6targetE0EEEvS10_.num_vgpr, 0
	.set _ZN7rocprim17ROCPRIM_400000_NS6detail17trampoline_kernelINS0_14default_configENS1_21merge_config_selectorINS0_5tupleIJyyEEENS0_10empty_typeEEEZNS1_10merge_implIS3_NS0_12zip_iteratorINS5_IJN6thrust23THRUST_200600_302600_NS6detail15normal_iteratorINSC_10device_ptrIKyEEEESI_EEEEESK_NSA_INS5_IJNSE_INSF_IyEEEESM_EEEEEPS7_SP_SP_NSC_11hip_rocprim7__merge17predicate_wrapperIyyNSC_4lessIyEEEEEE10hipError_tPvRmT0_T1_T2_T3_T4_T5_mmT6_P12ihipStream_tbEUlT_E_NS1_11comp_targetILNS1_3genE3ELNS1_11target_archE908ELNS1_3gpuE7ELNS1_3repE0EEENS1_30default_config_static_selectorELNS0_4arch9wavefront6targetE0EEEvS10_.num_agpr, 0
	.set _ZN7rocprim17ROCPRIM_400000_NS6detail17trampoline_kernelINS0_14default_configENS1_21merge_config_selectorINS0_5tupleIJyyEEENS0_10empty_typeEEEZNS1_10merge_implIS3_NS0_12zip_iteratorINS5_IJN6thrust23THRUST_200600_302600_NS6detail15normal_iteratorINSC_10device_ptrIKyEEEESI_EEEEESK_NSA_INS5_IJNSE_INSF_IyEEEESM_EEEEEPS7_SP_SP_NSC_11hip_rocprim7__merge17predicate_wrapperIyyNSC_4lessIyEEEEEE10hipError_tPvRmT0_T1_T2_T3_T4_T5_mmT6_P12ihipStream_tbEUlT_E_NS1_11comp_targetILNS1_3genE3ELNS1_11target_archE908ELNS1_3gpuE7ELNS1_3repE0EEENS1_30default_config_static_selectorELNS0_4arch9wavefront6targetE0EEEvS10_.numbered_sgpr, 0
	.set _ZN7rocprim17ROCPRIM_400000_NS6detail17trampoline_kernelINS0_14default_configENS1_21merge_config_selectorINS0_5tupleIJyyEEENS0_10empty_typeEEEZNS1_10merge_implIS3_NS0_12zip_iteratorINS5_IJN6thrust23THRUST_200600_302600_NS6detail15normal_iteratorINSC_10device_ptrIKyEEEESI_EEEEESK_NSA_INS5_IJNSE_INSF_IyEEEESM_EEEEEPS7_SP_SP_NSC_11hip_rocprim7__merge17predicate_wrapperIyyNSC_4lessIyEEEEEE10hipError_tPvRmT0_T1_T2_T3_T4_T5_mmT6_P12ihipStream_tbEUlT_E_NS1_11comp_targetILNS1_3genE3ELNS1_11target_archE908ELNS1_3gpuE7ELNS1_3repE0EEENS1_30default_config_static_selectorELNS0_4arch9wavefront6targetE0EEEvS10_.num_named_barrier, 0
	.set _ZN7rocprim17ROCPRIM_400000_NS6detail17trampoline_kernelINS0_14default_configENS1_21merge_config_selectorINS0_5tupleIJyyEEENS0_10empty_typeEEEZNS1_10merge_implIS3_NS0_12zip_iteratorINS5_IJN6thrust23THRUST_200600_302600_NS6detail15normal_iteratorINSC_10device_ptrIKyEEEESI_EEEEESK_NSA_INS5_IJNSE_INSF_IyEEEESM_EEEEEPS7_SP_SP_NSC_11hip_rocprim7__merge17predicate_wrapperIyyNSC_4lessIyEEEEEE10hipError_tPvRmT0_T1_T2_T3_T4_T5_mmT6_P12ihipStream_tbEUlT_E_NS1_11comp_targetILNS1_3genE3ELNS1_11target_archE908ELNS1_3gpuE7ELNS1_3repE0EEENS1_30default_config_static_selectorELNS0_4arch9wavefront6targetE0EEEvS10_.private_seg_size, 0
	.set _ZN7rocprim17ROCPRIM_400000_NS6detail17trampoline_kernelINS0_14default_configENS1_21merge_config_selectorINS0_5tupleIJyyEEENS0_10empty_typeEEEZNS1_10merge_implIS3_NS0_12zip_iteratorINS5_IJN6thrust23THRUST_200600_302600_NS6detail15normal_iteratorINSC_10device_ptrIKyEEEESI_EEEEESK_NSA_INS5_IJNSE_INSF_IyEEEESM_EEEEEPS7_SP_SP_NSC_11hip_rocprim7__merge17predicate_wrapperIyyNSC_4lessIyEEEEEE10hipError_tPvRmT0_T1_T2_T3_T4_T5_mmT6_P12ihipStream_tbEUlT_E_NS1_11comp_targetILNS1_3genE3ELNS1_11target_archE908ELNS1_3gpuE7ELNS1_3repE0EEENS1_30default_config_static_selectorELNS0_4arch9wavefront6targetE0EEEvS10_.uses_vcc, 0
	.set _ZN7rocprim17ROCPRIM_400000_NS6detail17trampoline_kernelINS0_14default_configENS1_21merge_config_selectorINS0_5tupleIJyyEEENS0_10empty_typeEEEZNS1_10merge_implIS3_NS0_12zip_iteratorINS5_IJN6thrust23THRUST_200600_302600_NS6detail15normal_iteratorINSC_10device_ptrIKyEEEESI_EEEEESK_NSA_INS5_IJNSE_INSF_IyEEEESM_EEEEEPS7_SP_SP_NSC_11hip_rocprim7__merge17predicate_wrapperIyyNSC_4lessIyEEEEEE10hipError_tPvRmT0_T1_T2_T3_T4_T5_mmT6_P12ihipStream_tbEUlT_E_NS1_11comp_targetILNS1_3genE3ELNS1_11target_archE908ELNS1_3gpuE7ELNS1_3repE0EEENS1_30default_config_static_selectorELNS0_4arch9wavefront6targetE0EEEvS10_.uses_flat_scratch, 0
	.set _ZN7rocprim17ROCPRIM_400000_NS6detail17trampoline_kernelINS0_14default_configENS1_21merge_config_selectorINS0_5tupleIJyyEEENS0_10empty_typeEEEZNS1_10merge_implIS3_NS0_12zip_iteratorINS5_IJN6thrust23THRUST_200600_302600_NS6detail15normal_iteratorINSC_10device_ptrIKyEEEESI_EEEEESK_NSA_INS5_IJNSE_INSF_IyEEEESM_EEEEEPS7_SP_SP_NSC_11hip_rocprim7__merge17predicate_wrapperIyyNSC_4lessIyEEEEEE10hipError_tPvRmT0_T1_T2_T3_T4_T5_mmT6_P12ihipStream_tbEUlT_E_NS1_11comp_targetILNS1_3genE3ELNS1_11target_archE908ELNS1_3gpuE7ELNS1_3repE0EEENS1_30default_config_static_selectorELNS0_4arch9wavefront6targetE0EEEvS10_.has_dyn_sized_stack, 0
	.set _ZN7rocprim17ROCPRIM_400000_NS6detail17trampoline_kernelINS0_14default_configENS1_21merge_config_selectorINS0_5tupleIJyyEEENS0_10empty_typeEEEZNS1_10merge_implIS3_NS0_12zip_iteratorINS5_IJN6thrust23THRUST_200600_302600_NS6detail15normal_iteratorINSC_10device_ptrIKyEEEESI_EEEEESK_NSA_INS5_IJNSE_INSF_IyEEEESM_EEEEEPS7_SP_SP_NSC_11hip_rocprim7__merge17predicate_wrapperIyyNSC_4lessIyEEEEEE10hipError_tPvRmT0_T1_T2_T3_T4_T5_mmT6_P12ihipStream_tbEUlT_E_NS1_11comp_targetILNS1_3genE3ELNS1_11target_archE908ELNS1_3gpuE7ELNS1_3repE0EEENS1_30default_config_static_selectorELNS0_4arch9wavefront6targetE0EEEvS10_.has_recursion, 0
	.set _ZN7rocprim17ROCPRIM_400000_NS6detail17trampoline_kernelINS0_14default_configENS1_21merge_config_selectorINS0_5tupleIJyyEEENS0_10empty_typeEEEZNS1_10merge_implIS3_NS0_12zip_iteratorINS5_IJN6thrust23THRUST_200600_302600_NS6detail15normal_iteratorINSC_10device_ptrIKyEEEESI_EEEEESK_NSA_INS5_IJNSE_INSF_IyEEEESM_EEEEEPS7_SP_SP_NSC_11hip_rocprim7__merge17predicate_wrapperIyyNSC_4lessIyEEEEEE10hipError_tPvRmT0_T1_T2_T3_T4_T5_mmT6_P12ihipStream_tbEUlT_E_NS1_11comp_targetILNS1_3genE3ELNS1_11target_archE908ELNS1_3gpuE7ELNS1_3repE0EEENS1_30default_config_static_selectorELNS0_4arch9wavefront6targetE0EEEvS10_.has_indirect_call, 0
	.section	.AMDGPU.csdata,"",@progbits
; Kernel info:
; codeLenInByte = 0
; TotalNumSgprs: 0
; NumVgprs: 0
; ScratchSize: 0
; MemoryBound: 0
; FloatMode: 240
; IeeeMode: 1
; LDSByteSize: 0 bytes/workgroup (compile time only)
; SGPRBlocks: 0
; VGPRBlocks: 0
; NumSGPRsForWavesPerEU: 1
; NumVGPRsForWavesPerEU: 1
; Occupancy: 16
; WaveLimiterHint : 0
; COMPUTE_PGM_RSRC2:SCRATCH_EN: 0
; COMPUTE_PGM_RSRC2:USER_SGPR: 6
; COMPUTE_PGM_RSRC2:TRAP_HANDLER: 0
; COMPUTE_PGM_RSRC2:TGID_X_EN: 1
; COMPUTE_PGM_RSRC2:TGID_Y_EN: 0
; COMPUTE_PGM_RSRC2:TGID_Z_EN: 0
; COMPUTE_PGM_RSRC2:TIDIG_COMP_CNT: 0
	.section	.text._ZN7rocprim17ROCPRIM_400000_NS6detail17trampoline_kernelINS0_14default_configENS1_21merge_config_selectorINS0_5tupleIJyyEEENS0_10empty_typeEEEZNS1_10merge_implIS3_NS0_12zip_iteratorINS5_IJN6thrust23THRUST_200600_302600_NS6detail15normal_iteratorINSC_10device_ptrIKyEEEESI_EEEEESK_NSA_INS5_IJNSE_INSF_IyEEEESM_EEEEEPS7_SP_SP_NSC_11hip_rocprim7__merge17predicate_wrapperIyyNSC_4lessIyEEEEEE10hipError_tPvRmT0_T1_T2_T3_T4_T5_mmT6_P12ihipStream_tbEUlT_E_NS1_11comp_targetILNS1_3genE2ELNS1_11target_archE906ELNS1_3gpuE6ELNS1_3repE0EEENS1_30default_config_static_selectorELNS0_4arch9wavefront6targetE0EEEvS10_,"axG",@progbits,_ZN7rocprim17ROCPRIM_400000_NS6detail17trampoline_kernelINS0_14default_configENS1_21merge_config_selectorINS0_5tupleIJyyEEENS0_10empty_typeEEEZNS1_10merge_implIS3_NS0_12zip_iteratorINS5_IJN6thrust23THRUST_200600_302600_NS6detail15normal_iteratorINSC_10device_ptrIKyEEEESI_EEEEESK_NSA_INS5_IJNSE_INSF_IyEEEESM_EEEEEPS7_SP_SP_NSC_11hip_rocprim7__merge17predicate_wrapperIyyNSC_4lessIyEEEEEE10hipError_tPvRmT0_T1_T2_T3_T4_T5_mmT6_P12ihipStream_tbEUlT_E_NS1_11comp_targetILNS1_3genE2ELNS1_11target_archE906ELNS1_3gpuE6ELNS1_3repE0EEENS1_30default_config_static_selectorELNS0_4arch9wavefront6targetE0EEEvS10_,comdat
	.protected	_ZN7rocprim17ROCPRIM_400000_NS6detail17trampoline_kernelINS0_14default_configENS1_21merge_config_selectorINS0_5tupleIJyyEEENS0_10empty_typeEEEZNS1_10merge_implIS3_NS0_12zip_iteratorINS5_IJN6thrust23THRUST_200600_302600_NS6detail15normal_iteratorINSC_10device_ptrIKyEEEESI_EEEEESK_NSA_INS5_IJNSE_INSF_IyEEEESM_EEEEEPS7_SP_SP_NSC_11hip_rocprim7__merge17predicate_wrapperIyyNSC_4lessIyEEEEEE10hipError_tPvRmT0_T1_T2_T3_T4_T5_mmT6_P12ihipStream_tbEUlT_E_NS1_11comp_targetILNS1_3genE2ELNS1_11target_archE906ELNS1_3gpuE6ELNS1_3repE0EEENS1_30default_config_static_selectorELNS0_4arch9wavefront6targetE0EEEvS10_ ; -- Begin function _ZN7rocprim17ROCPRIM_400000_NS6detail17trampoline_kernelINS0_14default_configENS1_21merge_config_selectorINS0_5tupleIJyyEEENS0_10empty_typeEEEZNS1_10merge_implIS3_NS0_12zip_iteratorINS5_IJN6thrust23THRUST_200600_302600_NS6detail15normal_iteratorINSC_10device_ptrIKyEEEESI_EEEEESK_NSA_INS5_IJNSE_INSF_IyEEEESM_EEEEEPS7_SP_SP_NSC_11hip_rocprim7__merge17predicate_wrapperIyyNSC_4lessIyEEEEEE10hipError_tPvRmT0_T1_T2_T3_T4_T5_mmT6_P12ihipStream_tbEUlT_E_NS1_11comp_targetILNS1_3genE2ELNS1_11target_archE906ELNS1_3gpuE6ELNS1_3repE0EEENS1_30default_config_static_selectorELNS0_4arch9wavefront6targetE0EEEvS10_
	.globl	_ZN7rocprim17ROCPRIM_400000_NS6detail17trampoline_kernelINS0_14default_configENS1_21merge_config_selectorINS0_5tupleIJyyEEENS0_10empty_typeEEEZNS1_10merge_implIS3_NS0_12zip_iteratorINS5_IJN6thrust23THRUST_200600_302600_NS6detail15normal_iteratorINSC_10device_ptrIKyEEEESI_EEEEESK_NSA_INS5_IJNSE_INSF_IyEEEESM_EEEEEPS7_SP_SP_NSC_11hip_rocprim7__merge17predicate_wrapperIyyNSC_4lessIyEEEEEE10hipError_tPvRmT0_T1_T2_T3_T4_T5_mmT6_P12ihipStream_tbEUlT_E_NS1_11comp_targetILNS1_3genE2ELNS1_11target_archE906ELNS1_3gpuE6ELNS1_3repE0EEENS1_30default_config_static_selectorELNS0_4arch9wavefront6targetE0EEEvS10_
	.p2align	8
	.type	_ZN7rocprim17ROCPRIM_400000_NS6detail17trampoline_kernelINS0_14default_configENS1_21merge_config_selectorINS0_5tupleIJyyEEENS0_10empty_typeEEEZNS1_10merge_implIS3_NS0_12zip_iteratorINS5_IJN6thrust23THRUST_200600_302600_NS6detail15normal_iteratorINSC_10device_ptrIKyEEEESI_EEEEESK_NSA_INS5_IJNSE_INSF_IyEEEESM_EEEEEPS7_SP_SP_NSC_11hip_rocprim7__merge17predicate_wrapperIyyNSC_4lessIyEEEEEE10hipError_tPvRmT0_T1_T2_T3_T4_T5_mmT6_P12ihipStream_tbEUlT_E_NS1_11comp_targetILNS1_3genE2ELNS1_11target_archE906ELNS1_3gpuE6ELNS1_3repE0EEENS1_30default_config_static_selectorELNS0_4arch9wavefront6targetE0EEEvS10_,@function
_ZN7rocprim17ROCPRIM_400000_NS6detail17trampoline_kernelINS0_14default_configENS1_21merge_config_selectorINS0_5tupleIJyyEEENS0_10empty_typeEEEZNS1_10merge_implIS3_NS0_12zip_iteratorINS5_IJN6thrust23THRUST_200600_302600_NS6detail15normal_iteratorINSC_10device_ptrIKyEEEESI_EEEEESK_NSA_INS5_IJNSE_INSF_IyEEEESM_EEEEEPS7_SP_SP_NSC_11hip_rocprim7__merge17predicate_wrapperIyyNSC_4lessIyEEEEEE10hipError_tPvRmT0_T1_T2_T3_T4_T5_mmT6_P12ihipStream_tbEUlT_E_NS1_11comp_targetILNS1_3genE2ELNS1_11target_archE906ELNS1_3gpuE6ELNS1_3repE0EEENS1_30default_config_static_selectorELNS0_4arch9wavefront6targetE0EEEvS10_: ; @_ZN7rocprim17ROCPRIM_400000_NS6detail17trampoline_kernelINS0_14default_configENS1_21merge_config_selectorINS0_5tupleIJyyEEENS0_10empty_typeEEEZNS1_10merge_implIS3_NS0_12zip_iteratorINS5_IJN6thrust23THRUST_200600_302600_NS6detail15normal_iteratorINSC_10device_ptrIKyEEEESI_EEEEESK_NSA_INS5_IJNSE_INSF_IyEEEESM_EEEEEPS7_SP_SP_NSC_11hip_rocprim7__merge17predicate_wrapperIyyNSC_4lessIyEEEEEE10hipError_tPvRmT0_T1_T2_T3_T4_T5_mmT6_P12ihipStream_tbEUlT_E_NS1_11comp_targetILNS1_3genE2ELNS1_11target_archE906ELNS1_3gpuE6ELNS1_3repE0EEENS1_30default_config_static_selectorELNS0_4arch9wavefront6targetE0EEEvS10_
; %bb.0:
	.section	.rodata,"a",@progbits
	.p2align	6, 0x0
	.amdhsa_kernel _ZN7rocprim17ROCPRIM_400000_NS6detail17trampoline_kernelINS0_14default_configENS1_21merge_config_selectorINS0_5tupleIJyyEEENS0_10empty_typeEEEZNS1_10merge_implIS3_NS0_12zip_iteratorINS5_IJN6thrust23THRUST_200600_302600_NS6detail15normal_iteratorINSC_10device_ptrIKyEEEESI_EEEEESK_NSA_INS5_IJNSE_INSF_IyEEEESM_EEEEEPS7_SP_SP_NSC_11hip_rocprim7__merge17predicate_wrapperIyyNSC_4lessIyEEEEEE10hipError_tPvRmT0_T1_T2_T3_T4_T5_mmT6_P12ihipStream_tbEUlT_E_NS1_11comp_targetILNS1_3genE2ELNS1_11target_archE906ELNS1_3gpuE6ELNS1_3repE0EEENS1_30default_config_static_selectorELNS0_4arch9wavefront6targetE0EEEvS10_
		.amdhsa_group_segment_fixed_size 0
		.amdhsa_private_segment_fixed_size 0
		.amdhsa_kernarg_size 64
		.amdhsa_user_sgpr_count 6
		.amdhsa_user_sgpr_private_segment_buffer 1
		.amdhsa_user_sgpr_dispatch_ptr 0
		.amdhsa_user_sgpr_queue_ptr 0
		.amdhsa_user_sgpr_kernarg_segment_ptr 1
		.amdhsa_user_sgpr_dispatch_id 0
		.amdhsa_user_sgpr_flat_scratch_init 0
		.amdhsa_user_sgpr_private_segment_size 0
		.amdhsa_wavefront_size32 1
		.amdhsa_uses_dynamic_stack 0
		.amdhsa_system_sgpr_private_segment_wavefront_offset 0
		.amdhsa_system_sgpr_workgroup_id_x 1
		.amdhsa_system_sgpr_workgroup_id_y 0
		.amdhsa_system_sgpr_workgroup_id_z 0
		.amdhsa_system_sgpr_workgroup_info 0
		.amdhsa_system_vgpr_workitem_id 0
		.amdhsa_next_free_vgpr 1
		.amdhsa_next_free_sgpr 1
		.amdhsa_reserve_vcc 0
		.amdhsa_reserve_flat_scratch 0
		.amdhsa_float_round_mode_32 0
		.amdhsa_float_round_mode_16_64 0
		.amdhsa_float_denorm_mode_32 3
		.amdhsa_float_denorm_mode_16_64 3
		.amdhsa_dx10_clamp 1
		.amdhsa_ieee_mode 1
		.amdhsa_fp16_overflow 0
		.amdhsa_workgroup_processor_mode 1
		.amdhsa_memory_ordered 1
		.amdhsa_forward_progress 1
		.amdhsa_shared_vgpr_count 0
		.amdhsa_exception_fp_ieee_invalid_op 0
		.amdhsa_exception_fp_denorm_src 0
		.amdhsa_exception_fp_ieee_div_zero 0
		.amdhsa_exception_fp_ieee_overflow 0
		.amdhsa_exception_fp_ieee_underflow 0
		.amdhsa_exception_fp_ieee_inexact 0
		.amdhsa_exception_int_div_zero 0
	.end_amdhsa_kernel
	.section	.text._ZN7rocprim17ROCPRIM_400000_NS6detail17trampoline_kernelINS0_14default_configENS1_21merge_config_selectorINS0_5tupleIJyyEEENS0_10empty_typeEEEZNS1_10merge_implIS3_NS0_12zip_iteratorINS5_IJN6thrust23THRUST_200600_302600_NS6detail15normal_iteratorINSC_10device_ptrIKyEEEESI_EEEEESK_NSA_INS5_IJNSE_INSF_IyEEEESM_EEEEEPS7_SP_SP_NSC_11hip_rocprim7__merge17predicate_wrapperIyyNSC_4lessIyEEEEEE10hipError_tPvRmT0_T1_T2_T3_T4_T5_mmT6_P12ihipStream_tbEUlT_E_NS1_11comp_targetILNS1_3genE2ELNS1_11target_archE906ELNS1_3gpuE6ELNS1_3repE0EEENS1_30default_config_static_selectorELNS0_4arch9wavefront6targetE0EEEvS10_,"axG",@progbits,_ZN7rocprim17ROCPRIM_400000_NS6detail17trampoline_kernelINS0_14default_configENS1_21merge_config_selectorINS0_5tupleIJyyEEENS0_10empty_typeEEEZNS1_10merge_implIS3_NS0_12zip_iteratorINS5_IJN6thrust23THRUST_200600_302600_NS6detail15normal_iteratorINSC_10device_ptrIKyEEEESI_EEEEESK_NSA_INS5_IJNSE_INSF_IyEEEESM_EEEEEPS7_SP_SP_NSC_11hip_rocprim7__merge17predicate_wrapperIyyNSC_4lessIyEEEEEE10hipError_tPvRmT0_T1_T2_T3_T4_T5_mmT6_P12ihipStream_tbEUlT_E_NS1_11comp_targetILNS1_3genE2ELNS1_11target_archE906ELNS1_3gpuE6ELNS1_3repE0EEENS1_30default_config_static_selectorELNS0_4arch9wavefront6targetE0EEEvS10_,comdat
.Lfunc_end100:
	.size	_ZN7rocprim17ROCPRIM_400000_NS6detail17trampoline_kernelINS0_14default_configENS1_21merge_config_selectorINS0_5tupleIJyyEEENS0_10empty_typeEEEZNS1_10merge_implIS3_NS0_12zip_iteratorINS5_IJN6thrust23THRUST_200600_302600_NS6detail15normal_iteratorINSC_10device_ptrIKyEEEESI_EEEEESK_NSA_INS5_IJNSE_INSF_IyEEEESM_EEEEEPS7_SP_SP_NSC_11hip_rocprim7__merge17predicate_wrapperIyyNSC_4lessIyEEEEEE10hipError_tPvRmT0_T1_T2_T3_T4_T5_mmT6_P12ihipStream_tbEUlT_E_NS1_11comp_targetILNS1_3genE2ELNS1_11target_archE906ELNS1_3gpuE6ELNS1_3repE0EEENS1_30default_config_static_selectorELNS0_4arch9wavefront6targetE0EEEvS10_, .Lfunc_end100-_ZN7rocprim17ROCPRIM_400000_NS6detail17trampoline_kernelINS0_14default_configENS1_21merge_config_selectorINS0_5tupleIJyyEEENS0_10empty_typeEEEZNS1_10merge_implIS3_NS0_12zip_iteratorINS5_IJN6thrust23THRUST_200600_302600_NS6detail15normal_iteratorINSC_10device_ptrIKyEEEESI_EEEEESK_NSA_INS5_IJNSE_INSF_IyEEEESM_EEEEEPS7_SP_SP_NSC_11hip_rocprim7__merge17predicate_wrapperIyyNSC_4lessIyEEEEEE10hipError_tPvRmT0_T1_T2_T3_T4_T5_mmT6_P12ihipStream_tbEUlT_E_NS1_11comp_targetILNS1_3genE2ELNS1_11target_archE906ELNS1_3gpuE6ELNS1_3repE0EEENS1_30default_config_static_selectorELNS0_4arch9wavefront6targetE0EEEvS10_
                                        ; -- End function
	.set _ZN7rocprim17ROCPRIM_400000_NS6detail17trampoline_kernelINS0_14default_configENS1_21merge_config_selectorINS0_5tupleIJyyEEENS0_10empty_typeEEEZNS1_10merge_implIS3_NS0_12zip_iteratorINS5_IJN6thrust23THRUST_200600_302600_NS6detail15normal_iteratorINSC_10device_ptrIKyEEEESI_EEEEESK_NSA_INS5_IJNSE_INSF_IyEEEESM_EEEEEPS7_SP_SP_NSC_11hip_rocprim7__merge17predicate_wrapperIyyNSC_4lessIyEEEEEE10hipError_tPvRmT0_T1_T2_T3_T4_T5_mmT6_P12ihipStream_tbEUlT_E_NS1_11comp_targetILNS1_3genE2ELNS1_11target_archE906ELNS1_3gpuE6ELNS1_3repE0EEENS1_30default_config_static_selectorELNS0_4arch9wavefront6targetE0EEEvS10_.num_vgpr, 0
	.set _ZN7rocprim17ROCPRIM_400000_NS6detail17trampoline_kernelINS0_14default_configENS1_21merge_config_selectorINS0_5tupleIJyyEEENS0_10empty_typeEEEZNS1_10merge_implIS3_NS0_12zip_iteratorINS5_IJN6thrust23THRUST_200600_302600_NS6detail15normal_iteratorINSC_10device_ptrIKyEEEESI_EEEEESK_NSA_INS5_IJNSE_INSF_IyEEEESM_EEEEEPS7_SP_SP_NSC_11hip_rocprim7__merge17predicate_wrapperIyyNSC_4lessIyEEEEEE10hipError_tPvRmT0_T1_T2_T3_T4_T5_mmT6_P12ihipStream_tbEUlT_E_NS1_11comp_targetILNS1_3genE2ELNS1_11target_archE906ELNS1_3gpuE6ELNS1_3repE0EEENS1_30default_config_static_selectorELNS0_4arch9wavefront6targetE0EEEvS10_.num_agpr, 0
	.set _ZN7rocprim17ROCPRIM_400000_NS6detail17trampoline_kernelINS0_14default_configENS1_21merge_config_selectorINS0_5tupleIJyyEEENS0_10empty_typeEEEZNS1_10merge_implIS3_NS0_12zip_iteratorINS5_IJN6thrust23THRUST_200600_302600_NS6detail15normal_iteratorINSC_10device_ptrIKyEEEESI_EEEEESK_NSA_INS5_IJNSE_INSF_IyEEEESM_EEEEEPS7_SP_SP_NSC_11hip_rocprim7__merge17predicate_wrapperIyyNSC_4lessIyEEEEEE10hipError_tPvRmT0_T1_T2_T3_T4_T5_mmT6_P12ihipStream_tbEUlT_E_NS1_11comp_targetILNS1_3genE2ELNS1_11target_archE906ELNS1_3gpuE6ELNS1_3repE0EEENS1_30default_config_static_selectorELNS0_4arch9wavefront6targetE0EEEvS10_.numbered_sgpr, 0
	.set _ZN7rocprim17ROCPRIM_400000_NS6detail17trampoline_kernelINS0_14default_configENS1_21merge_config_selectorINS0_5tupleIJyyEEENS0_10empty_typeEEEZNS1_10merge_implIS3_NS0_12zip_iteratorINS5_IJN6thrust23THRUST_200600_302600_NS6detail15normal_iteratorINSC_10device_ptrIKyEEEESI_EEEEESK_NSA_INS5_IJNSE_INSF_IyEEEESM_EEEEEPS7_SP_SP_NSC_11hip_rocprim7__merge17predicate_wrapperIyyNSC_4lessIyEEEEEE10hipError_tPvRmT0_T1_T2_T3_T4_T5_mmT6_P12ihipStream_tbEUlT_E_NS1_11comp_targetILNS1_3genE2ELNS1_11target_archE906ELNS1_3gpuE6ELNS1_3repE0EEENS1_30default_config_static_selectorELNS0_4arch9wavefront6targetE0EEEvS10_.num_named_barrier, 0
	.set _ZN7rocprim17ROCPRIM_400000_NS6detail17trampoline_kernelINS0_14default_configENS1_21merge_config_selectorINS0_5tupleIJyyEEENS0_10empty_typeEEEZNS1_10merge_implIS3_NS0_12zip_iteratorINS5_IJN6thrust23THRUST_200600_302600_NS6detail15normal_iteratorINSC_10device_ptrIKyEEEESI_EEEEESK_NSA_INS5_IJNSE_INSF_IyEEEESM_EEEEEPS7_SP_SP_NSC_11hip_rocprim7__merge17predicate_wrapperIyyNSC_4lessIyEEEEEE10hipError_tPvRmT0_T1_T2_T3_T4_T5_mmT6_P12ihipStream_tbEUlT_E_NS1_11comp_targetILNS1_3genE2ELNS1_11target_archE906ELNS1_3gpuE6ELNS1_3repE0EEENS1_30default_config_static_selectorELNS0_4arch9wavefront6targetE0EEEvS10_.private_seg_size, 0
	.set _ZN7rocprim17ROCPRIM_400000_NS6detail17trampoline_kernelINS0_14default_configENS1_21merge_config_selectorINS0_5tupleIJyyEEENS0_10empty_typeEEEZNS1_10merge_implIS3_NS0_12zip_iteratorINS5_IJN6thrust23THRUST_200600_302600_NS6detail15normal_iteratorINSC_10device_ptrIKyEEEESI_EEEEESK_NSA_INS5_IJNSE_INSF_IyEEEESM_EEEEEPS7_SP_SP_NSC_11hip_rocprim7__merge17predicate_wrapperIyyNSC_4lessIyEEEEEE10hipError_tPvRmT0_T1_T2_T3_T4_T5_mmT6_P12ihipStream_tbEUlT_E_NS1_11comp_targetILNS1_3genE2ELNS1_11target_archE906ELNS1_3gpuE6ELNS1_3repE0EEENS1_30default_config_static_selectorELNS0_4arch9wavefront6targetE0EEEvS10_.uses_vcc, 0
	.set _ZN7rocprim17ROCPRIM_400000_NS6detail17trampoline_kernelINS0_14default_configENS1_21merge_config_selectorINS0_5tupleIJyyEEENS0_10empty_typeEEEZNS1_10merge_implIS3_NS0_12zip_iteratorINS5_IJN6thrust23THRUST_200600_302600_NS6detail15normal_iteratorINSC_10device_ptrIKyEEEESI_EEEEESK_NSA_INS5_IJNSE_INSF_IyEEEESM_EEEEEPS7_SP_SP_NSC_11hip_rocprim7__merge17predicate_wrapperIyyNSC_4lessIyEEEEEE10hipError_tPvRmT0_T1_T2_T3_T4_T5_mmT6_P12ihipStream_tbEUlT_E_NS1_11comp_targetILNS1_3genE2ELNS1_11target_archE906ELNS1_3gpuE6ELNS1_3repE0EEENS1_30default_config_static_selectorELNS0_4arch9wavefront6targetE0EEEvS10_.uses_flat_scratch, 0
	.set _ZN7rocprim17ROCPRIM_400000_NS6detail17trampoline_kernelINS0_14default_configENS1_21merge_config_selectorINS0_5tupleIJyyEEENS0_10empty_typeEEEZNS1_10merge_implIS3_NS0_12zip_iteratorINS5_IJN6thrust23THRUST_200600_302600_NS6detail15normal_iteratorINSC_10device_ptrIKyEEEESI_EEEEESK_NSA_INS5_IJNSE_INSF_IyEEEESM_EEEEEPS7_SP_SP_NSC_11hip_rocprim7__merge17predicate_wrapperIyyNSC_4lessIyEEEEEE10hipError_tPvRmT0_T1_T2_T3_T4_T5_mmT6_P12ihipStream_tbEUlT_E_NS1_11comp_targetILNS1_3genE2ELNS1_11target_archE906ELNS1_3gpuE6ELNS1_3repE0EEENS1_30default_config_static_selectorELNS0_4arch9wavefront6targetE0EEEvS10_.has_dyn_sized_stack, 0
	.set _ZN7rocprim17ROCPRIM_400000_NS6detail17trampoline_kernelINS0_14default_configENS1_21merge_config_selectorINS0_5tupleIJyyEEENS0_10empty_typeEEEZNS1_10merge_implIS3_NS0_12zip_iteratorINS5_IJN6thrust23THRUST_200600_302600_NS6detail15normal_iteratorINSC_10device_ptrIKyEEEESI_EEEEESK_NSA_INS5_IJNSE_INSF_IyEEEESM_EEEEEPS7_SP_SP_NSC_11hip_rocprim7__merge17predicate_wrapperIyyNSC_4lessIyEEEEEE10hipError_tPvRmT0_T1_T2_T3_T4_T5_mmT6_P12ihipStream_tbEUlT_E_NS1_11comp_targetILNS1_3genE2ELNS1_11target_archE906ELNS1_3gpuE6ELNS1_3repE0EEENS1_30default_config_static_selectorELNS0_4arch9wavefront6targetE0EEEvS10_.has_recursion, 0
	.set _ZN7rocprim17ROCPRIM_400000_NS6detail17trampoline_kernelINS0_14default_configENS1_21merge_config_selectorINS0_5tupleIJyyEEENS0_10empty_typeEEEZNS1_10merge_implIS3_NS0_12zip_iteratorINS5_IJN6thrust23THRUST_200600_302600_NS6detail15normal_iteratorINSC_10device_ptrIKyEEEESI_EEEEESK_NSA_INS5_IJNSE_INSF_IyEEEESM_EEEEEPS7_SP_SP_NSC_11hip_rocprim7__merge17predicate_wrapperIyyNSC_4lessIyEEEEEE10hipError_tPvRmT0_T1_T2_T3_T4_T5_mmT6_P12ihipStream_tbEUlT_E_NS1_11comp_targetILNS1_3genE2ELNS1_11target_archE906ELNS1_3gpuE6ELNS1_3repE0EEENS1_30default_config_static_selectorELNS0_4arch9wavefront6targetE0EEEvS10_.has_indirect_call, 0
	.section	.AMDGPU.csdata,"",@progbits
; Kernel info:
; codeLenInByte = 0
; TotalNumSgprs: 0
; NumVgprs: 0
; ScratchSize: 0
; MemoryBound: 0
; FloatMode: 240
; IeeeMode: 1
; LDSByteSize: 0 bytes/workgroup (compile time only)
; SGPRBlocks: 0
; VGPRBlocks: 0
; NumSGPRsForWavesPerEU: 1
; NumVGPRsForWavesPerEU: 1
; Occupancy: 16
; WaveLimiterHint : 0
; COMPUTE_PGM_RSRC2:SCRATCH_EN: 0
; COMPUTE_PGM_RSRC2:USER_SGPR: 6
; COMPUTE_PGM_RSRC2:TRAP_HANDLER: 0
; COMPUTE_PGM_RSRC2:TGID_X_EN: 1
; COMPUTE_PGM_RSRC2:TGID_Y_EN: 0
; COMPUTE_PGM_RSRC2:TGID_Z_EN: 0
; COMPUTE_PGM_RSRC2:TIDIG_COMP_CNT: 0
	.section	.text._ZN7rocprim17ROCPRIM_400000_NS6detail17trampoline_kernelINS0_14default_configENS1_21merge_config_selectorINS0_5tupleIJyyEEENS0_10empty_typeEEEZNS1_10merge_implIS3_NS0_12zip_iteratorINS5_IJN6thrust23THRUST_200600_302600_NS6detail15normal_iteratorINSC_10device_ptrIKyEEEESI_EEEEESK_NSA_INS5_IJNSE_INSF_IyEEEESM_EEEEEPS7_SP_SP_NSC_11hip_rocprim7__merge17predicate_wrapperIyyNSC_4lessIyEEEEEE10hipError_tPvRmT0_T1_T2_T3_T4_T5_mmT6_P12ihipStream_tbEUlT_E_NS1_11comp_targetILNS1_3genE10ELNS1_11target_archE1201ELNS1_3gpuE5ELNS1_3repE0EEENS1_30default_config_static_selectorELNS0_4arch9wavefront6targetE0EEEvS10_,"axG",@progbits,_ZN7rocprim17ROCPRIM_400000_NS6detail17trampoline_kernelINS0_14default_configENS1_21merge_config_selectorINS0_5tupleIJyyEEENS0_10empty_typeEEEZNS1_10merge_implIS3_NS0_12zip_iteratorINS5_IJN6thrust23THRUST_200600_302600_NS6detail15normal_iteratorINSC_10device_ptrIKyEEEESI_EEEEESK_NSA_INS5_IJNSE_INSF_IyEEEESM_EEEEEPS7_SP_SP_NSC_11hip_rocprim7__merge17predicate_wrapperIyyNSC_4lessIyEEEEEE10hipError_tPvRmT0_T1_T2_T3_T4_T5_mmT6_P12ihipStream_tbEUlT_E_NS1_11comp_targetILNS1_3genE10ELNS1_11target_archE1201ELNS1_3gpuE5ELNS1_3repE0EEENS1_30default_config_static_selectorELNS0_4arch9wavefront6targetE0EEEvS10_,comdat
	.protected	_ZN7rocprim17ROCPRIM_400000_NS6detail17trampoline_kernelINS0_14default_configENS1_21merge_config_selectorINS0_5tupleIJyyEEENS0_10empty_typeEEEZNS1_10merge_implIS3_NS0_12zip_iteratorINS5_IJN6thrust23THRUST_200600_302600_NS6detail15normal_iteratorINSC_10device_ptrIKyEEEESI_EEEEESK_NSA_INS5_IJNSE_INSF_IyEEEESM_EEEEEPS7_SP_SP_NSC_11hip_rocprim7__merge17predicate_wrapperIyyNSC_4lessIyEEEEEE10hipError_tPvRmT0_T1_T2_T3_T4_T5_mmT6_P12ihipStream_tbEUlT_E_NS1_11comp_targetILNS1_3genE10ELNS1_11target_archE1201ELNS1_3gpuE5ELNS1_3repE0EEENS1_30default_config_static_selectorELNS0_4arch9wavefront6targetE0EEEvS10_ ; -- Begin function _ZN7rocprim17ROCPRIM_400000_NS6detail17trampoline_kernelINS0_14default_configENS1_21merge_config_selectorINS0_5tupleIJyyEEENS0_10empty_typeEEEZNS1_10merge_implIS3_NS0_12zip_iteratorINS5_IJN6thrust23THRUST_200600_302600_NS6detail15normal_iteratorINSC_10device_ptrIKyEEEESI_EEEEESK_NSA_INS5_IJNSE_INSF_IyEEEESM_EEEEEPS7_SP_SP_NSC_11hip_rocprim7__merge17predicate_wrapperIyyNSC_4lessIyEEEEEE10hipError_tPvRmT0_T1_T2_T3_T4_T5_mmT6_P12ihipStream_tbEUlT_E_NS1_11comp_targetILNS1_3genE10ELNS1_11target_archE1201ELNS1_3gpuE5ELNS1_3repE0EEENS1_30default_config_static_selectorELNS0_4arch9wavefront6targetE0EEEvS10_
	.globl	_ZN7rocprim17ROCPRIM_400000_NS6detail17trampoline_kernelINS0_14default_configENS1_21merge_config_selectorINS0_5tupleIJyyEEENS0_10empty_typeEEEZNS1_10merge_implIS3_NS0_12zip_iteratorINS5_IJN6thrust23THRUST_200600_302600_NS6detail15normal_iteratorINSC_10device_ptrIKyEEEESI_EEEEESK_NSA_INS5_IJNSE_INSF_IyEEEESM_EEEEEPS7_SP_SP_NSC_11hip_rocprim7__merge17predicate_wrapperIyyNSC_4lessIyEEEEEE10hipError_tPvRmT0_T1_T2_T3_T4_T5_mmT6_P12ihipStream_tbEUlT_E_NS1_11comp_targetILNS1_3genE10ELNS1_11target_archE1201ELNS1_3gpuE5ELNS1_3repE0EEENS1_30default_config_static_selectorELNS0_4arch9wavefront6targetE0EEEvS10_
	.p2align	8
	.type	_ZN7rocprim17ROCPRIM_400000_NS6detail17trampoline_kernelINS0_14default_configENS1_21merge_config_selectorINS0_5tupleIJyyEEENS0_10empty_typeEEEZNS1_10merge_implIS3_NS0_12zip_iteratorINS5_IJN6thrust23THRUST_200600_302600_NS6detail15normal_iteratorINSC_10device_ptrIKyEEEESI_EEEEESK_NSA_INS5_IJNSE_INSF_IyEEEESM_EEEEEPS7_SP_SP_NSC_11hip_rocprim7__merge17predicate_wrapperIyyNSC_4lessIyEEEEEE10hipError_tPvRmT0_T1_T2_T3_T4_T5_mmT6_P12ihipStream_tbEUlT_E_NS1_11comp_targetILNS1_3genE10ELNS1_11target_archE1201ELNS1_3gpuE5ELNS1_3repE0EEENS1_30default_config_static_selectorELNS0_4arch9wavefront6targetE0EEEvS10_,@function
_ZN7rocprim17ROCPRIM_400000_NS6detail17trampoline_kernelINS0_14default_configENS1_21merge_config_selectorINS0_5tupleIJyyEEENS0_10empty_typeEEEZNS1_10merge_implIS3_NS0_12zip_iteratorINS5_IJN6thrust23THRUST_200600_302600_NS6detail15normal_iteratorINSC_10device_ptrIKyEEEESI_EEEEESK_NSA_INS5_IJNSE_INSF_IyEEEESM_EEEEEPS7_SP_SP_NSC_11hip_rocprim7__merge17predicate_wrapperIyyNSC_4lessIyEEEEEE10hipError_tPvRmT0_T1_T2_T3_T4_T5_mmT6_P12ihipStream_tbEUlT_E_NS1_11comp_targetILNS1_3genE10ELNS1_11target_archE1201ELNS1_3gpuE5ELNS1_3repE0EEENS1_30default_config_static_selectorELNS0_4arch9wavefront6targetE0EEEvS10_: ; @_ZN7rocprim17ROCPRIM_400000_NS6detail17trampoline_kernelINS0_14default_configENS1_21merge_config_selectorINS0_5tupleIJyyEEENS0_10empty_typeEEEZNS1_10merge_implIS3_NS0_12zip_iteratorINS5_IJN6thrust23THRUST_200600_302600_NS6detail15normal_iteratorINSC_10device_ptrIKyEEEESI_EEEEESK_NSA_INS5_IJNSE_INSF_IyEEEESM_EEEEEPS7_SP_SP_NSC_11hip_rocprim7__merge17predicate_wrapperIyyNSC_4lessIyEEEEEE10hipError_tPvRmT0_T1_T2_T3_T4_T5_mmT6_P12ihipStream_tbEUlT_E_NS1_11comp_targetILNS1_3genE10ELNS1_11target_archE1201ELNS1_3gpuE5ELNS1_3repE0EEENS1_30default_config_static_selectorELNS0_4arch9wavefront6targetE0EEEvS10_
; %bb.0:
	.section	.rodata,"a",@progbits
	.p2align	6, 0x0
	.amdhsa_kernel _ZN7rocprim17ROCPRIM_400000_NS6detail17trampoline_kernelINS0_14default_configENS1_21merge_config_selectorINS0_5tupleIJyyEEENS0_10empty_typeEEEZNS1_10merge_implIS3_NS0_12zip_iteratorINS5_IJN6thrust23THRUST_200600_302600_NS6detail15normal_iteratorINSC_10device_ptrIKyEEEESI_EEEEESK_NSA_INS5_IJNSE_INSF_IyEEEESM_EEEEEPS7_SP_SP_NSC_11hip_rocprim7__merge17predicate_wrapperIyyNSC_4lessIyEEEEEE10hipError_tPvRmT0_T1_T2_T3_T4_T5_mmT6_P12ihipStream_tbEUlT_E_NS1_11comp_targetILNS1_3genE10ELNS1_11target_archE1201ELNS1_3gpuE5ELNS1_3repE0EEENS1_30default_config_static_selectorELNS0_4arch9wavefront6targetE0EEEvS10_
		.amdhsa_group_segment_fixed_size 0
		.amdhsa_private_segment_fixed_size 0
		.amdhsa_kernarg_size 64
		.amdhsa_user_sgpr_count 6
		.amdhsa_user_sgpr_private_segment_buffer 1
		.amdhsa_user_sgpr_dispatch_ptr 0
		.amdhsa_user_sgpr_queue_ptr 0
		.amdhsa_user_sgpr_kernarg_segment_ptr 1
		.amdhsa_user_sgpr_dispatch_id 0
		.amdhsa_user_sgpr_flat_scratch_init 0
		.amdhsa_user_sgpr_private_segment_size 0
		.amdhsa_wavefront_size32 1
		.amdhsa_uses_dynamic_stack 0
		.amdhsa_system_sgpr_private_segment_wavefront_offset 0
		.amdhsa_system_sgpr_workgroup_id_x 1
		.amdhsa_system_sgpr_workgroup_id_y 0
		.amdhsa_system_sgpr_workgroup_id_z 0
		.amdhsa_system_sgpr_workgroup_info 0
		.amdhsa_system_vgpr_workitem_id 0
		.amdhsa_next_free_vgpr 1
		.amdhsa_next_free_sgpr 1
		.amdhsa_reserve_vcc 0
		.amdhsa_reserve_flat_scratch 0
		.amdhsa_float_round_mode_32 0
		.amdhsa_float_round_mode_16_64 0
		.amdhsa_float_denorm_mode_32 3
		.amdhsa_float_denorm_mode_16_64 3
		.amdhsa_dx10_clamp 1
		.amdhsa_ieee_mode 1
		.amdhsa_fp16_overflow 0
		.amdhsa_workgroup_processor_mode 1
		.amdhsa_memory_ordered 1
		.amdhsa_forward_progress 1
		.amdhsa_shared_vgpr_count 0
		.amdhsa_exception_fp_ieee_invalid_op 0
		.amdhsa_exception_fp_denorm_src 0
		.amdhsa_exception_fp_ieee_div_zero 0
		.amdhsa_exception_fp_ieee_overflow 0
		.amdhsa_exception_fp_ieee_underflow 0
		.amdhsa_exception_fp_ieee_inexact 0
		.amdhsa_exception_int_div_zero 0
	.end_amdhsa_kernel
	.section	.text._ZN7rocprim17ROCPRIM_400000_NS6detail17trampoline_kernelINS0_14default_configENS1_21merge_config_selectorINS0_5tupleIJyyEEENS0_10empty_typeEEEZNS1_10merge_implIS3_NS0_12zip_iteratorINS5_IJN6thrust23THRUST_200600_302600_NS6detail15normal_iteratorINSC_10device_ptrIKyEEEESI_EEEEESK_NSA_INS5_IJNSE_INSF_IyEEEESM_EEEEEPS7_SP_SP_NSC_11hip_rocprim7__merge17predicate_wrapperIyyNSC_4lessIyEEEEEE10hipError_tPvRmT0_T1_T2_T3_T4_T5_mmT6_P12ihipStream_tbEUlT_E_NS1_11comp_targetILNS1_3genE10ELNS1_11target_archE1201ELNS1_3gpuE5ELNS1_3repE0EEENS1_30default_config_static_selectorELNS0_4arch9wavefront6targetE0EEEvS10_,"axG",@progbits,_ZN7rocprim17ROCPRIM_400000_NS6detail17trampoline_kernelINS0_14default_configENS1_21merge_config_selectorINS0_5tupleIJyyEEENS0_10empty_typeEEEZNS1_10merge_implIS3_NS0_12zip_iteratorINS5_IJN6thrust23THRUST_200600_302600_NS6detail15normal_iteratorINSC_10device_ptrIKyEEEESI_EEEEESK_NSA_INS5_IJNSE_INSF_IyEEEESM_EEEEEPS7_SP_SP_NSC_11hip_rocprim7__merge17predicate_wrapperIyyNSC_4lessIyEEEEEE10hipError_tPvRmT0_T1_T2_T3_T4_T5_mmT6_P12ihipStream_tbEUlT_E_NS1_11comp_targetILNS1_3genE10ELNS1_11target_archE1201ELNS1_3gpuE5ELNS1_3repE0EEENS1_30default_config_static_selectorELNS0_4arch9wavefront6targetE0EEEvS10_,comdat
.Lfunc_end101:
	.size	_ZN7rocprim17ROCPRIM_400000_NS6detail17trampoline_kernelINS0_14default_configENS1_21merge_config_selectorINS0_5tupleIJyyEEENS0_10empty_typeEEEZNS1_10merge_implIS3_NS0_12zip_iteratorINS5_IJN6thrust23THRUST_200600_302600_NS6detail15normal_iteratorINSC_10device_ptrIKyEEEESI_EEEEESK_NSA_INS5_IJNSE_INSF_IyEEEESM_EEEEEPS7_SP_SP_NSC_11hip_rocprim7__merge17predicate_wrapperIyyNSC_4lessIyEEEEEE10hipError_tPvRmT0_T1_T2_T3_T4_T5_mmT6_P12ihipStream_tbEUlT_E_NS1_11comp_targetILNS1_3genE10ELNS1_11target_archE1201ELNS1_3gpuE5ELNS1_3repE0EEENS1_30default_config_static_selectorELNS0_4arch9wavefront6targetE0EEEvS10_, .Lfunc_end101-_ZN7rocprim17ROCPRIM_400000_NS6detail17trampoline_kernelINS0_14default_configENS1_21merge_config_selectorINS0_5tupleIJyyEEENS0_10empty_typeEEEZNS1_10merge_implIS3_NS0_12zip_iteratorINS5_IJN6thrust23THRUST_200600_302600_NS6detail15normal_iteratorINSC_10device_ptrIKyEEEESI_EEEEESK_NSA_INS5_IJNSE_INSF_IyEEEESM_EEEEEPS7_SP_SP_NSC_11hip_rocprim7__merge17predicate_wrapperIyyNSC_4lessIyEEEEEE10hipError_tPvRmT0_T1_T2_T3_T4_T5_mmT6_P12ihipStream_tbEUlT_E_NS1_11comp_targetILNS1_3genE10ELNS1_11target_archE1201ELNS1_3gpuE5ELNS1_3repE0EEENS1_30default_config_static_selectorELNS0_4arch9wavefront6targetE0EEEvS10_
                                        ; -- End function
	.set _ZN7rocprim17ROCPRIM_400000_NS6detail17trampoline_kernelINS0_14default_configENS1_21merge_config_selectorINS0_5tupleIJyyEEENS0_10empty_typeEEEZNS1_10merge_implIS3_NS0_12zip_iteratorINS5_IJN6thrust23THRUST_200600_302600_NS6detail15normal_iteratorINSC_10device_ptrIKyEEEESI_EEEEESK_NSA_INS5_IJNSE_INSF_IyEEEESM_EEEEEPS7_SP_SP_NSC_11hip_rocprim7__merge17predicate_wrapperIyyNSC_4lessIyEEEEEE10hipError_tPvRmT0_T1_T2_T3_T4_T5_mmT6_P12ihipStream_tbEUlT_E_NS1_11comp_targetILNS1_3genE10ELNS1_11target_archE1201ELNS1_3gpuE5ELNS1_3repE0EEENS1_30default_config_static_selectorELNS0_4arch9wavefront6targetE0EEEvS10_.num_vgpr, 0
	.set _ZN7rocprim17ROCPRIM_400000_NS6detail17trampoline_kernelINS0_14default_configENS1_21merge_config_selectorINS0_5tupleIJyyEEENS0_10empty_typeEEEZNS1_10merge_implIS3_NS0_12zip_iteratorINS5_IJN6thrust23THRUST_200600_302600_NS6detail15normal_iteratorINSC_10device_ptrIKyEEEESI_EEEEESK_NSA_INS5_IJNSE_INSF_IyEEEESM_EEEEEPS7_SP_SP_NSC_11hip_rocprim7__merge17predicate_wrapperIyyNSC_4lessIyEEEEEE10hipError_tPvRmT0_T1_T2_T3_T4_T5_mmT6_P12ihipStream_tbEUlT_E_NS1_11comp_targetILNS1_3genE10ELNS1_11target_archE1201ELNS1_3gpuE5ELNS1_3repE0EEENS1_30default_config_static_selectorELNS0_4arch9wavefront6targetE0EEEvS10_.num_agpr, 0
	.set _ZN7rocprim17ROCPRIM_400000_NS6detail17trampoline_kernelINS0_14default_configENS1_21merge_config_selectorINS0_5tupleIJyyEEENS0_10empty_typeEEEZNS1_10merge_implIS3_NS0_12zip_iteratorINS5_IJN6thrust23THRUST_200600_302600_NS6detail15normal_iteratorINSC_10device_ptrIKyEEEESI_EEEEESK_NSA_INS5_IJNSE_INSF_IyEEEESM_EEEEEPS7_SP_SP_NSC_11hip_rocprim7__merge17predicate_wrapperIyyNSC_4lessIyEEEEEE10hipError_tPvRmT0_T1_T2_T3_T4_T5_mmT6_P12ihipStream_tbEUlT_E_NS1_11comp_targetILNS1_3genE10ELNS1_11target_archE1201ELNS1_3gpuE5ELNS1_3repE0EEENS1_30default_config_static_selectorELNS0_4arch9wavefront6targetE0EEEvS10_.numbered_sgpr, 0
	.set _ZN7rocprim17ROCPRIM_400000_NS6detail17trampoline_kernelINS0_14default_configENS1_21merge_config_selectorINS0_5tupleIJyyEEENS0_10empty_typeEEEZNS1_10merge_implIS3_NS0_12zip_iteratorINS5_IJN6thrust23THRUST_200600_302600_NS6detail15normal_iteratorINSC_10device_ptrIKyEEEESI_EEEEESK_NSA_INS5_IJNSE_INSF_IyEEEESM_EEEEEPS7_SP_SP_NSC_11hip_rocprim7__merge17predicate_wrapperIyyNSC_4lessIyEEEEEE10hipError_tPvRmT0_T1_T2_T3_T4_T5_mmT6_P12ihipStream_tbEUlT_E_NS1_11comp_targetILNS1_3genE10ELNS1_11target_archE1201ELNS1_3gpuE5ELNS1_3repE0EEENS1_30default_config_static_selectorELNS0_4arch9wavefront6targetE0EEEvS10_.num_named_barrier, 0
	.set _ZN7rocprim17ROCPRIM_400000_NS6detail17trampoline_kernelINS0_14default_configENS1_21merge_config_selectorINS0_5tupleIJyyEEENS0_10empty_typeEEEZNS1_10merge_implIS3_NS0_12zip_iteratorINS5_IJN6thrust23THRUST_200600_302600_NS6detail15normal_iteratorINSC_10device_ptrIKyEEEESI_EEEEESK_NSA_INS5_IJNSE_INSF_IyEEEESM_EEEEEPS7_SP_SP_NSC_11hip_rocprim7__merge17predicate_wrapperIyyNSC_4lessIyEEEEEE10hipError_tPvRmT0_T1_T2_T3_T4_T5_mmT6_P12ihipStream_tbEUlT_E_NS1_11comp_targetILNS1_3genE10ELNS1_11target_archE1201ELNS1_3gpuE5ELNS1_3repE0EEENS1_30default_config_static_selectorELNS0_4arch9wavefront6targetE0EEEvS10_.private_seg_size, 0
	.set _ZN7rocprim17ROCPRIM_400000_NS6detail17trampoline_kernelINS0_14default_configENS1_21merge_config_selectorINS0_5tupleIJyyEEENS0_10empty_typeEEEZNS1_10merge_implIS3_NS0_12zip_iteratorINS5_IJN6thrust23THRUST_200600_302600_NS6detail15normal_iteratorINSC_10device_ptrIKyEEEESI_EEEEESK_NSA_INS5_IJNSE_INSF_IyEEEESM_EEEEEPS7_SP_SP_NSC_11hip_rocprim7__merge17predicate_wrapperIyyNSC_4lessIyEEEEEE10hipError_tPvRmT0_T1_T2_T3_T4_T5_mmT6_P12ihipStream_tbEUlT_E_NS1_11comp_targetILNS1_3genE10ELNS1_11target_archE1201ELNS1_3gpuE5ELNS1_3repE0EEENS1_30default_config_static_selectorELNS0_4arch9wavefront6targetE0EEEvS10_.uses_vcc, 0
	.set _ZN7rocprim17ROCPRIM_400000_NS6detail17trampoline_kernelINS0_14default_configENS1_21merge_config_selectorINS0_5tupleIJyyEEENS0_10empty_typeEEEZNS1_10merge_implIS3_NS0_12zip_iteratorINS5_IJN6thrust23THRUST_200600_302600_NS6detail15normal_iteratorINSC_10device_ptrIKyEEEESI_EEEEESK_NSA_INS5_IJNSE_INSF_IyEEEESM_EEEEEPS7_SP_SP_NSC_11hip_rocprim7__merge17predicate_wrapperIyyNSC_4lessIyEEEEEE10hipError_tPvRmT0_T1_T2_T3_T4_T5_mmT6_P12ihipStream_tbEUlT_E_NS1_11comp_targetILNS1_3genE10ELNS1_11target_archE1201ELNS1_3gpuE5ELNS1_3repE0EEENS1_30default_config_static_selectorELNS0_4arch9wavefront6targetE0EEEvS10_.uses_flat_scratch, 0
	.set _ZN7rocprim17ROCPRIM_400000_NS6detail17trampoline_kernelINS0_14default_configENS1_21merge_config_selectorINS0_5tupleIJyyEEENS0_10empty_typeEEEZNS1_10merge_implIS3_NS0_12zip_iteratorINS5_IJN6thrust23THRUST_200600_302600_NS6detail15normal_iteratorINSC_10device_ptrIKyEEEESI_EEEEESK_NSA_INS5_IJNSE_INSF_IyEEEESM_EEEEEPS7_SP_SP_NSC_11hip_rocprim7__merge17predicate_wrapperIyyNSC_4lessIyEEEEEE10hipError_tPvRmT0_T1_T2_T3_T4_T5_mmT6_P12ihipStream_tbEUlT_E_NS1_11comp_targetILNS1_3genE10ELNS1_11target_archE1201ELNS1_3gpuE5ELNS1_3repE0EEENS1_30default_config_static_selectorELNS0_4arch9wavefront6targetE0EEEvS10_.has_dyn_sized_stack, 0
	.set _ZN7rocprim17ROCPRIM_400000_NS6detail17trampoline_kernelINS0_14default_configENS1_21merge_config_selectorINS0_5tupleIJyyEEENS0_10empty_typeEEEZNS1_10merge_implIS3_NS0_12zip_iteratorINS5_IJN6thrust23THRUST_200600_302600_NS6detail15normal_iteratorINSC_10device_ptrIKyEEEESI_EEEEESK_NSA_INS5_IJNSE_INSF_IyEEEESM_EEEEEPS7_SP_SP_NSC_11hip_rocprim7__merge17predicate_wrapperIyyNSC_4lessIyEEEEEE10hipError_tPvRmT0_T1_T2_T3_T4_T5_mmT6_P12ihipStream_tbEUlT_E_NS1_11comp_targetILNS1_3genE10ELNS1_11target_archE1201ELNS1_3gpuE5ELNS1_3repE0EEENS1_30default_config_static_selectorELNS0_4arch9wavefront6targetE0EEEvS10_.has_recursion, 0
	.set _ZN7rocprim17ROCPRIM_400000_NS6detail17trampoline_kernelINS0_14default_configENS1_21merge_config_selectorINS0_5tupleIJyyEEENS0_10empty_typeEEEZNS1_10merge_implIS3_NS0_12zip_iteratorINS5_IJN6thrust23THRUST_200600_302600_NS6detail15normal_iteratorINSC_10device_ptrIKyEEEESI_EEEEESK_NSA_INS5_IJNSE_INSF_IyEEEESM_EEEEEPS7_SP_SP_NSC_11hip_rocprim7__merge17predicate_wrapperIyyNSC_4lessIyEEEEEE10hipError_tPvRmT0_T1_T2_T3_T4_T5_mmT6_P12ihipStream_tbEUlT_E_NS1_11comp_targetILNS1_3genE10ELNS1_11target_archE1201ELNS1_3gpuE5ELNS1_3repE0EEENS1_30default_config_static_selectorELNS0_4arch9wavefront6targetE0EEEvS10_.has_indirect_call, 0
	.section	.AMDGPU.csdata,"",@progbits
; Kernel info:
; codeLenInByte = 0
; TotalNumSgprs: 0
; NumVgprs: 0
; ScratchSize: 0
; MemoryBound: 0
; FloatMode: 240
; IeeeMode: 1
; LDSByteSize: 0 bytes/workgroup (compile time only)
; SGPRBlocks: 0
; VGPRBlocks: 0
; NumSGPRsForWavesPerEU: 1
; NumVGPRsForWavesPerEU: 1
; Occupancy: 16
; WaveLimiterHint : 0
; COMPUTE_PGM_RSRC2:SCRATCH_EN: 0
; COMPUTE_PGM_RSRC2:USER_SGPR: 6
; COMPUTE_PGM_RSRC2:TRAP_HANDLER: 0
; COMPUTE_PGM_RSRC2:TGID_X_EN: 1
; COMPUTE_PGM_RSRC2:TGID_Y_EN: 0
; COMPUTE_PGM_RSRC2:TGID_Z_EN: 0
; COMPUTE_PGM_RSRC2:TIDIG_COMP_CNT: 0
	.section	.text._ZN7rocprim17ROCPRIM_400000_NS6detail17trampoline_kernelINS0_14default_configENS1_21merge_config_selectorINS0_5tupleIJyyEEENS0_10empty_typeEEEZNS1_10merge_implIS3_NS0_12zip_iteratorINS5_IJN6thrust23THRUST_200600_302600_NS6detail15normal_iteratorINSC_10device_ptrIKyEEEESI_EEEEESK_NSA_INS5_IJNSE_INSF_IyEEEESM_EEEEEPS7_SP_SP_NSC_11hip_rocprim7__merge17predicate_wrapperIyyNSC_4lessIyEEEEEE10hipError_tPvRmT0_T1_T2_T3_T4_T5_mmT6_P12ihipStream_tbEUlT_E_NS1_11comp_targetILNS1_3genE10ELNS1_11target_archE1200ELNS1_3gpuE4ELNS1_3repE0EEENS1_30default_config_static_selectorELNS0_4arch9wavefront6targetE0EEEvS10_,"axG",@progbits,_ZN7rocprim17ROCPRIM_400000_NS6detail17trampoline_kernelINS0_14default_configENS1_21merge_config_selectorINS0_5tupleIJyyEEENS0_10empty_typeEEEZNS1_10merge_implIS3_NS0_12zip_iteratorINS5_IJN6thrust23THRUST_200600_302600_NS6detail15normal_iteratorINSC_10device_ptrIKyEEEESI_EEEEESK_NSA_INS5_IJNSE_INSF_IyEEEESM_EEEEEPS7_SP_SP_NSC_11hip_rocprim7__merge17predicate_wrapperIyyNSC_4lessIyEEEEEE10hipError_tPvRmT0_T1_T2_T3_T4_T5_mmT6_P12ihipStream_tbEUlT_E_NS1_11comp_targetILNS1_3genE10ELNS1_11target_archE1200ELNS1_3gpuE4ELNS1_3repE0EEENS1_30default_config_static_selectorELNS0_4arch9wavefront6targetE0EEEvS10_,comdat
	.protected	_ZN7rocprim17ROCPRIM_400000_NS6detail17trampoline_kernelINS0_14default_configENS1_21merge_config_selectorINS0_5tupleIJyyEEENS0_10empty_typeEEEZNS1_10merge_implIS3_NS0_12zip_iteratorINS5_IJN6thrust23THRUST_200600_302600_NS6detail15normal_iteratorINSC_10device_ptrIKyEEEESI_EEEEESK_NSA_INS5_IJNSE_INSF_IyEEEESM_EEEEEPS7_SP_SP_NSC_11hip_rocprim7__merge17predicate_wrapperIyyNSC_4lessIyEEEEEE10hipError_tPvRmT0_T1_T2_T3_T4_T5_mmT6_P12ihipStream_tbEUlT_E_NS1_11comp_targetILNS1_3genE10ELNS1_11target_archE1200ELNS1_3gpuE4ELNS1_3repE0EEENS1_30default_config_static_selectorELNS0_4arch9wavefront6targetE0EEEvS10_ ; -- Begin function _ZN7rocprim17ROCPRIM_400000_NS6detail17trampoline_kernelINS0_14default_configENS1_21merge_config_selectorINS0_5tupleIJyyEEENS0_10empty_typeEEEZNS1_10merge_implIS3_NS0_12zip_iteratorINS5_IJN6thrust23THRUST_200600_302600_NS6detail15normal_iteratorINSC_10device_ptrIKyEEEESI_EEEEESK_NSA_INS5_IJNSE_INSF_IyEEEESM_EEEEEPS7_SP_SP_NSC_11hip_rocprim7__merge17predicate_wrapperIyyNSC_4lessIyEEEEEE10hipError_tPvRmT0_T1_T2_T3_T4_T5_mmT6_P12ihipStream_tbEUlT_E_NS1_11comp_targetILNS1_3genE10ELNS1_11target_archE1200ELNS1_3gpuE4ELNS1_3repE0EEENS1_30default_config_static_selectorELNS0_4arch9wavefront6targetE0EEEvS10_
	.globl	_ZN7rocprim17ROCPRIM_400000_NS6detail17trampoline_kernelINS0_14default_configENS1_21merge_config_selectorINS0_5tupleIJyyEEENS0_10empty_typeEEEZNS1_10merge_implIS3_NS0_12zip_iteratorINS5_IJN6thrust23THRUST_200600_302600_NS6detail15normal_iteratorINSC_10device_ptrIKyEEEESI_EEEEESK_NSA_INS5_IJNSE_INSF_IyEEEESM_EEEEEPS7_SP_SP_NSC_11hip_rocprim7__merge17predicate_wrapperIyyNSC_4lessIyEEEEEE10hipError_tPvRmT0_T1_T2_T3_T4_T5_mmT6_P12ihipStream_tbEUlT_E_NS1_11comp_targetILNS1_3genE10ELNS1_11target_archE1200ELNS1_3gpuE4ELNS1_3repE0EEENS1_30default_config_static_selectorELNS0_4arch9wavefront6targetE0EEEvS10_
	.p2align	8
	.type	_ZN7rocprim17ROCPRIM_400000_NS6detail17trampoline_kernelINS0_14default_configENS1_21merge_config_selectorINS0_5tupleIJyyEEENS0_10empty_typeEEEZNS1_10merge_implIS3_NS0_12zip_iteratorINS5_IJN6thrust23THRUST_200600_302600_NS6detail15normal_iteratorINSC_10device_ptrIKyEEEESI_EEEEESK_NSA_INS5_IJNSE_INSF_IyEEEESM_EEEEEPS7_SP_SP_NSC_11hip_rocprim7__merge17predicate_wrapperIyyNSC_4lessIyEEEEEE10hipError_tPvRmT0_T1_T2_T3_T4_T5_mmT6_P12ihipStream_tbEUlT_E_NS1_11comp_targetILNS1_3genE10ELNS1_11target_archE1200ELNS1_3gpuE4ELNS1_3repE0EEENS1_30default_config_static_selectorELNS0_4arch9wavefront6targetE0EEEvS10_,@function
_ZN7rocprim17ROCPRIM_400000_NS6detail17trampoline_kernelINS0_14default_configENS1_21merge_config_selectorINS0_5tupleIJyyEEENS0_10empty_typeEEEZNS1_10merge_implIS3_NS0_12zip_iteratorINS5_IJN6thrust23THRUST_200600_302600_NS6detail15normal_iteratorINSC_10device_ptrIKyEEEESI_EEEEESK_NSA_INS5_IJNSE_INSF_IyEEEESM_EEEEEPS7_SP_SP_NSC_11hip_rocprim7__merge17predicate_wrapperIyyNSC_4lessIyEEEEEE10hipError_tPvRmT0_T1_T2_T3_T4_T5_mmT6_P12ihipStream_tbEUlT_E_NS1_11comp_targetILNS1_3genE10ELNS1_11target_archE1200ELNS1_3gpuE4ELNS1_3repE0EEENS1_30default_config_static_selectorELNS0_4arch9wavefront6targetE0EEEvS10_: ; @_ZN7rocprim17ROCPRIM_400000_NS6detail17trampoline_kernelINS0_14default_configENS1_21merge_config_selectorINS0_5tupleIJyyEEENS0_10empty_typeEEEZNS1_10merge_implIS3_NS0_12zip_iteratorINS5_IJN6thrust23THRUST_200600_302600_NS6detail15normal_iteratorINSC_10device_ptrIKyEEEESI_EEEEESK_NSA_INS5_IJNSE_INSF_IyEEEESM_EEEEEPS7_SP_SP_NSC_11hip_rocprim7__merge17predicate_wrapperIyyNSC_4lessIyEEEEEE10hipError_tPvRmT0_T1_T2_T3_T4_T5_mmT6_P12ihipStream_tbEUlT_E_NS1_11comp_targetILNS1_3genE10ELNS1_11target_archE1200ELNS1_3gpuE4ELNS1_3repE0EEENS1_30default_config_static_selectorELNS0_4arch9wavefront6targetE0EEEvS10_
; %bb.0:
	.section	.rodata,"a",@progbits
	.p2align	6, 0x0
	.amdhsa_kernel _ZN7rocprim17ROCPRIM_400000_NS6detail17trampoline_kernelINS0_14default_configENS1_21merge_config_selectorINS0_5tupleIJyyEEENS0_10empty_typeEEEZNS1_10merge_implIS3_NS0_12zip_iteratorINS5_IJN6thrust23THRUST_200600_302600_NS6detail15normal_iteratorINSC_10device_ptrIKyEEEESI_EEEEESK_NSA_INS5_IJNSE_INSF_IyEEEESM_EEEEEPS7_SP_SP_NSC_11hip_rocprim7__merge17predicate_wrapperIyyNSC_4lessIyEEEEEE10hipError_tPvRmT0_T1_T2_T3_T4_T5_mmT6_P12ihipStream_tbEUlT_E_NS1_11comp_targetILNS1_3genE10ELNS1_11target_archE1200ELNS1_3gpuE4ELNS1_3repE0EEENS1_30default_config_static_selectorELNS0_4arch9wavefront6targetE0EEEvS10_
		.amdhsa_group_segment_fixed_size 0
		.amdhsa_private_segment_fixed_size 0
		.amdhsa_kernarg_size 64
		.amdhsa_user_sgpr_count 6
		.amdhsa_user_sgpr_private_segment_buffer 1
		.amdhsa_user_sgpr_dispatch_ptr 0
		.amdhsa_user_sgpr_queue_ptr 0
		.amdhsa_user_sgpr_kernarg_segment_ptr 1
		.amdhsa_user_sgpr_dispatch_id 0
		.amdhsa_user_sgpr_flat_scratch_init 0
		.amdhsa_user_sgpr_private_segment_size 0
		.amdhsa_wavefront_size32 1
		.amdhsa_uses_dynamic_stack 0
		.amdhsa_system_sgpr_private_segment_wavefront_offset 0
		.amdhsa_system_sgpr_workgroup_id_x 1
		.amdhsa_system_sgpr_workgroup_id_y 0
		.amdhsa_system_sgpr_workgroup_id_z 0
		.amdhsa_system_sgpr_workgroup_info 0
		.amdhsa_system_vgpr_workitem_id 0
		.amdhsa_next_free_vgpr 1
		.amdhsa_next_free_sgpr 1
		.amdhsa_reserve_vcc 0
		.amdhsa_reserve_flat_scratch 0
		.amdhsa_float_round_mode_32 0
		.amdhsa_float_round_mode_16_64 0
		.amdhsa_float_denorm_mode_32 3
		.amdhsa_float_denorm_mode_16_64 3
		.amdhsa_dx10_clamp 1
		.amdhsa_ieee_mode 1
		.amdhsa_fp16_overflow 0
		.amdhsa_workgroup_processor_mode 1
		.amdhsa_memory_ordered 1
		.amdhsa_forward_progress 1
		.amdhsa_shared_vgpr_count 0
		.amdhsa_exception_fp_ieee_invalid_op 0
		.amdhsa_exception_fp_denorm_src 0
		.amdhsa_exception_fp_ieee_div_zero 0
		.amdhsa_exception_fp_ieee_overflow 0
		.amdhsa_exception_fp_ieee_underflow 0
		.amdhsa_exception_fp_ieee_inexact 0
		.amdhsa_exception_int_div_zero 0
	.end_amdhsa_kernel
	.section	.text._ZN7rocprim17ROCPRIM_400000_NS6detail17trampoline_kernelINS0_14default_configENS1_21merge_config_selectorINS0_5tupleIJyyEEENS0_10empty_typeEEEZNS1_10merge_implIS3_NS0_12zip_iteratorINS5_IJN6thrust23THRUST_200600_302600_NS6detail15normal_iteratorINSC_10device_ptrIKyEEEESI_EEEEESK_NSA_INS5_IJNSE_INSF_IyEEEESM_EEEEEPS7_SP_SP_NSC_11hip_rocprim7__merge17predicate_wrapperIyyNSC_4lessIyEEEEEE10hipError_tPvRmT0_T1_T2_T3_T4_T5_mmT6_P12ihipStream_tbEUlT_E_NS1_11comp_targetILNS1_3genE10ELNS1_11target_archE1200ELNS1_3gpuE4ELNS1_3repE0EEENS1_30default_config_static_selectorELNS0_4arch9wavefront6targetE0EEEvS10_,"axG",@progbits,_ZN7rocprim17ROCPRIM_400000_NS6detail17trampoline_kernelINS0_14default_configENS1_21merge_config_selectorINS0_5tupleIJyyEEENS0_10empty_typeEEEZNS1_10merge_implIS3_NS0_12zip_iteratorINS5_IJN6thrust23THRUST_200600_302600_NS6detail15normal_iteratorINSC_10device_ptrIKyEEEESI_EEEEESK_NSA_INS5_IJNSE_INSF_IyEEEESM_EEEEEPS7_SP_SP_NSC_11hip_rocprim7__merge17predicate_wrapperIyyNSC_4lessIyEEEEEE10hipError_tPvRmT0_T1_T2_T3_T4_T5_mmT6_P12ihipStream_tbEUlT_E_NS1_11comp_targetILNS1_3genE10ELNS1_11target_archE1200ELNS1_3gpuE4ELNS1_3repE0EEENS1_30default_config_static_selectorELNS0_4arch9wavefront6targetE0EEEvS10_,comdat
.Lfunc_end102:
	.size	_ZN7rocprim17ROCPRIM_400000_NS6detail17trampoline_kernelINS0_14default_configENS1_21merge_config_selectorINS0_5tupleIJyyEEENS0_10empty_typeEEEZNS1_10merge_implIS3_NS0_12zip_iteratorINS5_IJN6thrust23THRUST_200600_302600_NS6detail15normal_iteratorINSC_10device_ptrIKyEEEESI_EEEEESK_NSA_INS5_IJNSE_INSF_IyEEEESM_EEEEEPS7_SP_SP_NSC_11hip_rocprim7__merge17predicate_wrapperIyyNSC_4lessIyEEEEEE10hipError_tPvRmT0_T1_T2_T3_T4_T5_mmT6_P12ihipStream_tbEUlT_E_NS1_11comp_targetILNS1_3genE10ELNS1_11target_archE1200ELNS1_3gpuE4ELNS1_3repE0EEENS1_30default_config_static_selectorELNS0_4arch9wavefront6targetE0EEEvS10_, .Lfunc_end102-_ZN7rocprim17ROCPRIM_400000_NS6detail17trampoline_kernelINS0_14default_configENS1_21merge_config_selectorINS0_5tupleIJyyEEENS0_10empty_typeEEEZNS1_10merge_implIS3_NS0_12zip_iteratorINS5_IJN6thrust23THRUST_200600_302600_NS6detail15normal_iteratorINSC_10device_ptrIKyEEEESI_EEEEESK_NSA_INS5_IJNSE_INSF_IyEEEESM_EEEEEPS7_SP_SP_NSC_11hip_rocprim7__merge17predicate_wrapperIyyNSC_4lessIyEEEEEE10hipError_tPvRmT0_T1_T2_T3_T4_T5_mmT6_P12ihipStream_tbEUlT_E_NS1_11comp_targetILNS1_3genE10ELNS1_11target_archE1200ELNS1_3gpuE4ELNS1_3repE0EEENS1_30default_config_static_selectorELNS0_4arch9wavefront6targetE0EEEvS10_
                                        ; -- End function
	.set _ZN7rocprim17ROCPRIM_400000_NS6detail17trampoline_kernelINS0_14default_configENS1_21merge_config_selectorINS0_5tupleIJyyEEENS0_10empty_typeEEEZNS1_10merge_implIS3_NS0_12zip_iteratorINS5_IJN6thrust23THRUST_200600_302600_NS6detail15normal_iteratorINSC_10device_ptrIKyEEEESI_EEEEESK_NSA_INS5_IJNSE_INSF_IyEEEESM_EEEEEPS7_SP_SP_NSC_11hip_rocprim7__merge17predicate_wrapperIyyNSC_4lessIyEEEEEE10hipError_tPvRmT0_T1_T2_T3_T4_T5_mmT6_P12ihipStream_tbEUlT_E_NS1_11comp_targetILNS1_3genE10ELNS1_11target_archE1200ELNS1_3gpuE4ELNS1_3repE0EEENS1_30default_config_static_selectorELNS0_4arch9wavefront6targetE0EEEvS10_.num_vgpr, 0
	.set _ZN7rocprim17ROCPRIM_400000_NS6detail17trampoline_kernelINS0_14default_configENS1_21merge_config_selectorINS0_5tupleIJyyEEENS0_10empty_typeEEEZNS1_10merge_implIS3_NS0_12zip_iteratorINS5_IJN6thrust23THRUST_200600_302600_NS6detail15normal_iteratorINSC_10device_ptrIKyEEEESI_EEEEESK_NSA_INS5_IJNSE_INSF_IyEEEESM_EEEEEPS7_SP_SP_NSC_11hip_rocprim7__merge17predicate_wrapperIyyNSC_4lessIyEEEEEE10hipError_tPvRmT0_T1_T2_T3_T4_T5_mmT6_P12ihipStream_tbEUlT_E_NS1_11comp_targetILNS1_3genE10ELNS1_11target_archE1200ELNS1_3gpuE4ELNS1_3repE0EEENS1_30default_config_static_selectorELNS0_4arch9wavefront6targetE0EEEvS10_.num_agpr, 0
	.set _ZN7rocprim17ROCPRIM_400000_NS6detail17trampoline_kernelINS0_14default_configENS1_21merge_config_selectorINS0_5tupleIJyyEEENS0_10empty_typeEEEZNS1_10merge_implIS3_NS0_12zip_iteratorINS5_IJN6thrust23THRUST_200600_302600_NS6detail15normal_iteratorINSC_10device_ptrIKyEEEESI_EEEEESK_NSA_INS5_IJNSE_INSF_IyEEEESM_EEEEEPS7_SP_SP_NSC_11hip_rocprim7__merge17predicate_wrapperIyyNSC_4lessIyEEEEEE10hipError_tPvRmT0_T1_T2_T3_T4_T5_mmT6_P12ihipStream_tbEUlT_E_NS1_11comp_targetILNS1_3genE10ELNS1_11target_archE1200ELNS1_3gpuE4ELNS1_3repE0EEENS1_30default_config_static_selectorELNS0_4arch9wavefront6targetE0EEEvS10_.numbered_sgpr, 0
	.set _ZN7rocprim17ROCPRIM_400000_NS6detail17trampoline_kernelINS0_14default_configENS1_21merge_config_selectorINS0_5tupleIJyyEEENS0_10empty_typeEEEZNS1_10merge_implIS3_NS0_12zip_iteratorINS5_IJN6thrust23THRUST_200600_302600_NS6detail15normal_iteratorINSC_10device_ptrIKyEEEESI_EEEEESK_NSA_INS5_IJNSE_INSF_IyEEEESM_EEEEEPS7_SP_SP_NSC_11hip_rocprim7__merge17predicate_wrapperIyyNSC_4lessIyEEEEEE10hipError_tPvRmT0_T1_T2_T3_T4_T5_mmT6_P12ihipStream_tbEUlT_E_NS1_11comp_targetILNS1_3genE10ELNS1_11target_archE1200ELNS1_3gpuE4ELNS1_3repE0EEENS1_30default_config_static_selectorELNS0_4arch9wavefront6targetE0EEEvS10_.num_named_barrier, 0
	.set _ZN7rocprim17ROCPRIM_400000_NS6detail17trampoline_kernelINS0_14default_configENS1_21merge_config_selectorINS0_5tupleIJyyEEENS0_10empty_typeEEEZNS1_10merge_implIS3_NS0_12zip_iteratorINS5_IJN6thrust23THRUST_200600_302600_NS6detail15normal_iteratorINSC_10device_ptrIKyEEEESI_EEEEESK_NSA_INS5_IJNSE_INSF_IyEEEESM_EEEEEPS7_SP_SP_NSC_11hip_rocprim7__merge17predicate_wrapperIyyNSC_4lessIyEEEEEE10hipError_tPvRmT0_T1_T2_T3_T4_T5_mmT6_P12ihipStream_tbEUlT_E_NS1_11comp_targetILNS1_3genE10ELNS1_11target_archE1200ELNS1_3gpuE4ELNS1_3repE0EEENS1_30default_config_static_selectorELNS0_4arch9wavefront6targetE0EEEvS10_.private_seg_size, 0
	.set _ZN7rocprim17ROCPRIM_400000_NS6detail17trampoline_kernelINS0_14default_configENS1_21merge_config_selectorINS0_5tupleIJyyEEENS0_10empty_typeEEEZNS1_10merge_implIS3_NS0_12zip_iteratorINS5_IJN6thrust23THRUST_200600_302600_NS6detail15normal_iteratorINSC_10device_ptrIKyEEEESI_EEEEESK_NSA_INS5_IJNSE_INSF_IyEEEESM_EEEEEPS7_SP_SP_NSC_11hip_rocprim7__merge17predicate_wrapperIyyNSC_4lessIyEEEEEE10hipError_tPvRmT0_T1_T2_T3_T4_T5_mmT6_P12ihipStream_tbEUlT_E_NS1_11comp_targetILNS1_3genE10ELNS1_11target_archE1200ELNS1_3gpuE4ELNS1_3repE0EEENS1_30default_config_static_selectorELNS0_4arch9wavefront6targetE0EEEvS10_.uses_vcc, 0
	.set _ZN7rocprim17ROCPRIM_400000_NS6detail17trampoline_kernelINS0_14default_configENS1_21merge_config_selectorINS0_5tupleIJyyEEENS0_10empty_typeEEEZNS1_10merge_implIS3_NS0_12zip_iteratorINS5_IJN6thrust23THRUST_200600_302600_NS6detail15normal_iteratorINSC_10device_ptrIKyEEEESI_EEEEESK_NSA_INS5_IJNSE_INSF_IyEEEESM_EEEEEPS7_SP_SP_NSC_11hip_rocprim7__merge17predicate_wrapperIyyNSC_4lessIyEEEEEE10hipError_tPvRmT0_T1_T2_T3_T4_T5_mmT6_P12ihipStream_tbEUlT_E_NS1_11comp_targetILNS1_3genE10ELNS1_11target_archE1200ELNS1_3gpuE4ELNS1_3repE0EEENS1_30default_config_static_selectorELNS0_4arch9wavefront6targetE0EEEvS10_.uses_flat_scratch, 0
	.set _ZN7rocprim17ROCPRIM_400000_NS6detail17trampoline_kernelINS0_14default_configENS1_21merge_config_selectorINS0_5tupleIJyyEEENS0_10empty_typeEEEZNS1_10merge_implIS3_NS0_12zip_iteratorINS5_IJN6thrust23THRUST_200600_302600_NS6detail15normal_iteratorINSC_10device_ptrIKyEEEESI_EEEEESK_NSA_INS5_IJNSE_INSF_IyEEEESM_EEEEEPS7_SP_SP_NSC_11hip_rocprim7__merge17predicate_wrapperIyyNSC_4lessIyEEEEEE10hipError_tPvRmT0_T1_T2_T3_T4_T5_mmT6_P12ihipStream_tbEUlT_E_NS1_11comp_targetILNS1_3genE10ELNS1_11target_archE1200ELNS1_3gpuE4ELNS1_3repE0EEENS1_30default_config_static_selectorELNS0_4arch9wavefront6targetE0EEEvS10_.has_dyn_sized_stack, 0
	.set _ZN7rocprim17ROCPRIM_400000_NS6detail17trampoline_kernelINS0_14default_configENS1_21merge_config_selectorINS0_5tupleIJyyEEENS0_10empty_typeEEEZNS1_10merge_implIS3_NS0_12zip_iteratorINS5_IJN6thrust23THRUST_200600_302600_NS6detail15normal_iteratorINSC_10device_ptrIKyEEEESI_EEEEESK_NSA_INS5_IJNSE_INSF_IyEEEESM_EEEEEPS7_SP_SP_NSC_11hip_rocprim7__merge17predicate_wrapperIyyNSC_4lessIyEEEEEE10hipError_tPvRmT0_T1_T2_T3_T4_T5_mmT6_P12ihipStream_tbEUlT_E_NS1_11comp_targetILNS1_3genE10ELNS1_11target_archE1200ELNS1_3gpuE4ELNS1_3repE0EEENS1_30default_config_static_selectorELNS0_4arch9wavefront6targetE0EEEvS10_.has_recursion, 0
	.set _ZN7rocprim17ROCPRIM_400000_NS6detail17trampoline_kernelINS0_14default_configENS1_21merge_config_selectorINS0_5tupleIJyyEEENS0_10empty_typeEEEZNS1_10merge_implIS3_NS0_12zip_iteratorINS5_IJN6thrust23THRUST_200600_302600_NS6detail15normal_iteratorINSC_10device_ptrIKyEEEESI_EEEEESK_NSA_INS5_IJNSE_INSF_IyEEEESM_EEEEEPS7_SP_SP_NSC_11hip_rocprim7__merge17predicate_wrapperIyyNSC_4lessIyEEEEEE10hipError_tPvRmT0_T1_T2_T3_T4_T5_mmT6_P12ihipStream_tbEUlT_E_NS1_11comp_targetILNS1_3genE10ELNS1_11target_archE1200ELNS1_3gpuE4ELNS1_3repE0EEENS1_30default_config_static_selectorELNS0_4arch9wavefront6targetE0EEEvS10_.has_indirect_call, 0
	.section	.AMDGPU.csdata,"",@progbits
; Kernel info:
; codeLenInByte = 0
; TotalNumSgprs: 0
; NumVgprs: 0
; ScratchSize: 0
; MemoryBound: 0
; FloatMode: 240
; IeeeMode: 1
; LDSByteSize: 0 bytes/workgroup (compile time only)
; SGPRBlocks: 0
; VGPRBlocks: 0
; NumSGPRsForWavesPerEU: 1
; NumVGPRsForWavesPerEU: 1
; Occupancy: 16
; WaveLimiterHint : 0
; COMPUTE_PGM_RSRC2:SCRATCH_EN: 0
; COMPUTE_PGM_RSRC2:USER_SGPR: 6
; COMPUTE_PGM_RSRC2:TRAP_HANDLER: 0
; COMPUTE_PGM_RSRC2:TGID_X_EN: 1
; COMPUTE_PGM_RSRC2:TGID_Y_EN: 0
; COMPUTE_PGM_RSRC2:TGID_Z_EN: 0
; COMPUTE_PGM_RSRC2:TIDIG_COMP_CNT: 0
	.section	.text._ZN7rocprim17ROCPRIM_400000_NS6detail17trampoline_kernelINS0_14default_configENS1_21merge_config_selectorINS0_5tupleIJyyEEENS0_10empty_typeEEEZNS1_10merge_implIS3_NS0_12zip_iteratorINS5_IJN6thrust23THRUST_200600_302600_NS6detail15normal_iteratorINSC_10device_ptrIKyEEEESI_EEEEESK_NSA_INS5_IJNSE_INSF_IyEEEESM_EEEEEPS7_SP_SP_NSC_11hip_rocprim7__merge17predicate_wrapperIyyNSC_4lessIyEEEEEE10hipError_tPvRmT0_T1_T2_T3_T4_T5_mmT6_P12ihipStream_tbEUlT_E_NS1_11comp_targetILNS1_3genE9ELNS1_11target_archE1100ELNS1_3gpuE3ELNS1_3repE0EEENS1_30default_config_static_selectorELNS0_4arch9wavefront6targetE0EEEvS10_,"axG",@progbits,_ZN7rocprim17ROCPRIM_400000_NS6detail17trampoline_kernelINS0_14default_configENS1_21merge_config_selectorINS0_5tupleIJyyEEENS0_10empty_typeEEEZNS1_10merge_implIS3_NS0_12zip_iteratorINS5_IJN6thrust23THRUST_200600_302600_NS6detail15normal_iteratorINSC_10device_ptrIKyEEEESI_EEEEESK_NSA_INS5_IJNSE_INSF_IyEEEESM_EEEEEPS7_SP_SP_NSC_11hip_rocprim7__merge17predicate_wrapperIyyNSC_4lessIyEEEEEE10hipError_tPvRmT0_T1_T2_T3_T4_T5_mmT6_P12ihipStream_tbEUlT_E_NS1_11comp_targetILNS1_3genE9ELNS1_11target_archE1100ELNS1_3gpuE3ELNS1_3repE0EEENS1_30default_config_static_selectorELNS0_4arch9wavefront6targetE0EEEvS10_,comdat
	.protected	_ZN7rocprim17ROCPRIM_400000_NS6detail17trampoline_kernelINS0_14default_configENS1_21merge_config_selectorINS0_5tupleIJyyEEENS0_10empty_typeEEEZNS1_10merge_implIS3_NS0_12zip_iteratorINS5_IJN6thrust23THRUST_200600_302600_NS6detail15normal_iteratorINSC_10device_ptrIKyEEEESI_EEEEESK_NSA_INS5_IJNSE_INSF_IyEEEESM_EEEEEPS7_SP_SP_NSC_11hip_rocprim7__merge17predicate_wrapperIyyNSC_4lessIyEEEEEE10hipError_tPvRmT0_T1_T2_T3_T4_T5_mmT6_P12ihipStream_tbEUlT_E_NS1_11comp_targetILNS1_3genE9ELNS1_11target_archE1100ELNS1_3gpuE3ELNS1_3repE0EEENS1_30default_config_static_selectorELNS0_4arch9wavefront6targetE0EEEvS10_ ; -- Begin function _ZN7rocprim17ROCPRIM_400000_NS6detail17trampoline_kernelINS0_14default_configENS1_21merge_config_selectorINS0_5tupleIJyyEEENS0_10empty_typeEEEZNS1_10merge_implIS3_NS0_12zip_iteratorINS5_IJN6thrust23THRUST_200600_302600_NS6detail15normal_iteratorINSC_10device_ptrIKyEEEESI_EEEEESK_NSA_INS5_IJNSE_INSF_IyEEEESM_EEEEEPS7_SP_SP_NSC_11hip_rocprim7__merge17predicate_wrapperIyyNSC_4lessIyEEEEEE10hipError_tPvRmT0_T1_T2_T3_T4_T5_mmT6_P12ihipStream_tbEUlT_E_NS1_11comp_targetILNS1_3genE9ELNS1_11target_archE1100ELNS1_3gpuE3ELNS1_3repE0EEENS1_30default_config_static_selectorELNS0_4arch9wavefront6targetE0EEEvS10_
	.globl	_ZN7rocprim17ROCPRIM_400000_NS6detail17trampoline_kernelINS0_14default_configENS1_21merge_config_selectorINS0_5tupleIJyyEEENS0_10empty_typeEEEZNS1_10merge_implIS3_NS0_12zip_iteratorINS5_IJN6thrust23THRUST_200600_302600_NS6detail15normal_iteratorINSC_10device_ptrIKyEEEESI_EEEEESK_NSA_INS5_IJNSE_INSF_IyEEEESM_EEEEEPS7_SP_SP_NSC_11hip_rocprim7__merge17predicate_wrapperIyyNSC_4lessIyEEEEEE10hipError_tPvRmT0_T1_T2_T3_T4_T5_mmT6_P12ihipStream_tbEUlT_E_NS1_11comp_targetILNS1_3genE9ELNS1_11target_archE1100ELNS1_3gpuE3ELNS1_3repE0EEENS1_30default_config_static_selectorELNS0_4arch9wavefront6targetE0EEEvS10_
	.p2align	8
	.type	_ZN7rocprim17ROCPRIM_400000_NS6detail17trampoline_kernelINS0_14default_configENS1_21merge_config_selectorINS0_5tupleIJyyEEENS0_10empty_typeEEEZNS1_10merge_implIS3_NS0_12zip_iteratorINS5_IJN6thrust23THRUST_200600_302600_NS6detail15normal_iteratorINSC_10device_ptrIKyEEEESI_EEEEESK_NSA_INS5_IJNSE_INSF_IyEEEESM_EEEEEPS7_SP_SP_NSC_11hip_rocprim7__merge17predicate_wrapperIyyNSC_4lessIyEEEEEE10hipError_tPvRmT0_T1_T2_T3_T4_T5_mmT6_P12ihipStream_tbEUlT_E_NS1_11comp_targetILNS1_3genE9ELNS1_11target_archE1100ELNS1_3gpuE3ELNS1_3repE0EEENS1_30default_config_static_selectorELNS0_4arch9wavefront6targetE0EEEvS10_,@function
_ZN7rocprim17ROCPRIM_400000_NS6detail17trampoline_kernelINS0_14default_configENS1_21merge_config_selectorINS0_5tupleIJyyEEENS0_10empty_typeEEEZNS1_10merge_implIS3_NS0_12zip_iteratorINS5_IJN6thrust23THRUST_200600_302600_NS6detail15normal_iteratorINSC_10device_ptrIKyEEEESI_EEEEESK_NSA_INS5_IJNSE_INSF_IyEEEESM_EEEEEPS7_SP_SP_NSC_11hip_rocprim7__merge17predicate_wrapperIyyNSC_4lessIyEEEEEE10hipError_tPvRmT0_T1_T2_T3_T4_T5_mmT6_P12ihipStream_tbEUlT_E_NS1_11comp_targetILNS1_3genE9ELNS1_11target_archE1100ELNS1_3gpuE3ELNS1_3repE0EEENS1_30default_config_static_selectorELNS0_4arch9wavefront6targetE0EEEvS10_: ; @_ZN7rocprim17ROCPRIM_400000_NS6detail17trampoline_kernelINS0_14default_configENS1_21merge_config_selectorINS0_5tupleIJyyEEENS0_10empty_typeEEEZNS1_10merge_implIS3_NS0_12zip_iteratorINS5_IJN6thrust23THRUST_200600_302600_NS6detail15normal_iteratorINSC_10device_ptrIKyEEEESI_EEEEESK_NSA_INS5_IJNSE_INSF_IyEEEESM_EEEEEPS7_SP_SP_NSC_11hip_rocprim7__merge17predicate_wrapperIyyNSC_4lessIyEEEEEE10hipError_tPvRmT0_T1_T2_T3_T4_T5_mmT6_P12ihipStream_tbEUlT_E_NS1_11comp_targetILNS1_3genE9ELNS1_11target_archE1100ELNS1_3gpuE3ELNS1_3repE0EEENS1_30default_config_static_selectorELNS0_4arch9wavefront6targetE0EEEvS10_
; %bb.0:
	.section	.rodata,"a",@progbits
	.p2align	6, 0x0
	.amdhsa_kernel _ZN7rocprim17ROCPRIM_400000_NS6detail17trampoline_kernelINS0_14default_configENS1_21merge_config_selectorINS0_5tupleIJyyEEENS0_10empty_typeEEEZNS1_10merge_implIS3_NS0_12zip_iteratorINS5_IJN6thrust23THRUST_200600_302600_NS6detail15normal_iteratorINSC_10device_ptrIKyEEEESI_EEEEESK_NSA_INS5_IJNSE_INSF_IyEEEESM_EEEEEPS7_SP_SP_NSC_11hip_rocprim7__merge17predicate_wrapperIyyNSC_4lessIyEEEEEE10hipError_tPvRmT0_T1_T2_T3_T4_T5_mmT6_P12ihipStream_tbEUlT_E_NS1_11comp_targetILNS1_3genE9ELNS1_11target_archE1100ELNS1_3gpuE3ELNS1_3repE0EEENS1_30default_config_static_selectorELNS0_4arch9wavefront6targetE0EEEvS10_
		.amdhsa_group_segment_fixed_size 0
		.amdhsa_private_segment_fixed_size 0
		.amdhsa_kernarg_size 64
		.amdhsa_user_sgpr_count 6
		.amdhsa_user_sgpr_private_segment_buffer 1
		.amdhsa_user_sgpr_dispatch_ptr 0
		.amdhsa_user_sgpr_queue_ptr 0
		.amdhsa_user_sgpr_kernarg_segment_ptr 1
		.amdhsa_user_sgpr_dispatch_id 0
		.amdhsa_user_sgpr_flat_scratch_init 0
		.amdhsa_user_sgpr_private_segment_size 0
		.amdhsa_wavefront_size32 1
		.amdhsa_uses_dynamic_stack 0
		.amdhsa_system_sgpr_private_segment_wavefront_offset 0
		.amdhsa_system_sgpr_workgroup_id_x 1
		.amdhsa_system_sgpr_workgroup_id_y 0
		.amdhsa_system_sgpr_workgroup_id_z 0
		.amdhsa_system_sgpr_workgroup_info 0
		.amdhsa_system_vgpr_workitem_id 0
		.amdhsa_next_free_vgpr 1
		.amdhsa_next_free_sgpr 1
		.amdhsa_reserve_vcc 0
		.amdhsa_reserve_flat_scratch 0
		.amdhsa_float_round_mode_32 0
		.amdhsa_float_round_mode_16_64 0
		.amdhsa_float_denorm_mode_32 3
		.amdhsa_float_denorm_mode_16_64 3
		.amdhsa_dx10_clamp 1
		.amdhsa_ieee_mode 1
		.amdhsa_fp16_overflow 0
		.amdhsa_workgroup_processor_mode 1
		.amdhsa_memory_ordered 1
		.amdhsa_forward_progress 1
		.amdhsa_shared_vgpr_count 0
		.amdhsa_exception_fp_ieee_invalid_op 0
		.amdhsa_exception_fp_denorm_src 0
		.amdhsa_exception_fp_ieee_div_zero 0
		.amdhsa_exception_fp_ieee_overflow 0
		.amdhsa_exception_fp_ieee_underflow 0
		.amdhsa_exception_fp_ieee_inexact 0
		.amdhsa_exception_int_div_zero 0
	.end_amdhsa_kernel
	.section	.text._ZN7rocprim17ROCPRIM_400000_NS6detail17trampoline_kernelINS0_14default_configENS1_21merge_config_selectorINS0_5tupleIJyyEEENS0_10empty_typeEEEZNS1_10merge_implIS3_NS0_12zip_iteratorINS5_IJN6thrust23THRUST_200600_302600_NS6detail15normal_iteratorINSC_10device_ptrIKyEEEESI_EEEEESK_NSA_INS5_IJNSE_INSF_IyEEEESM_EEEEEPS7_SP_SP_NSC_11hip_rocprim7__merge17predicate_wrapperIyyNSC_4lessIyEEEEEE10hipError_tPvRmT0_T1_T2_T3_T4_T5_mmT6_P12ihipStream_tbEUlT_E_NS1_11comp_targetILNS1_3genE9ELNS1_11target_archE1100ELNS1_3gpuE3ELNS1_3repE0EEENS1_30default_config_static_selectorELNS0_4arch9wavefront6targetE0EEEvS10_,"axG",@progbits,_ZN7rocprim17ROCPRIM_400000_NS6detail17trampoline_kernelINS0_14default_configENS1_21merge_config_selectorINS0_5tupleIJyyEEENS0_10empty_typeEEEZNS1_10merge_implIS3_NS0_12zip_iteratorINS5_IJN6thrust23THRUST_200600_302600_NS6detail15normal_iteratorINSC_10device_ptrIKyEEEESI_EEEEESK_NSA_INS5_IJNSE_INSF_IyEEEESM_EEEEEPS7_SP_SP_NSC_11hip_rocprim7__merge17predicate_wrapperIyyNSC_4lessIyEEEEEE10hipError_tPvRmT0_T1_T2_T3_T4_T5_mmT6_P12ihipStream_tbEUlT_E_NS1_11comp_targetILNS1_3genE9ELNS1_11target_archE1100ELNS1_3gpuE3ELNS1_3repE0EEENS1_30default_config_static_selectorELNS0_4arch9wavefront6targetE0EEEvS10_,comdat
.Lfunc_end103:
	.size	_ZN7rocprim17ROCPRIM_400000_NS6detail17trampoline_kernelINS0_14default_configENS1_21merge_config_selectorINS0_5tupleIJyyEEENS0_10empty_typeEEEZNS1_10merge_implIS3_NS0_12zip_iteratorINS5_IJN6thrust23THRUST_200600_302600_NS6detail15normal_iteratorINSC_10device_ptrIKyEEEESI_EEEEESK_NSA_INS5_IJNSE_INSF_IyEEEESM_EEEEEPS7_SP_SP_NSC_11hip_rocprim7__merge17predicate_wrapperIyyNSC_4lessIyEEEEEE10hipError_tPvRmT0_T1_T2_T3_T4_T5_mmT6_P12ihipStream_tbEUlT_E_NS1_11comp_targetILNS1_3genE9ELNS1_11target_archE1100ELNS1_3gpuE3ELNS1_3repE0EEENS1_30default_config_static_selectorELNS0_4arch9wavefront6targetE0EEEvS10_, .Lfunc_end103-_ZN7rocprim17ROCPRIM_400000_NS6detail17trampoline_kernelINS0_14default_configENS1_21merge_config_selectorINS0_5tupleIJyyEEENS0_10empty_typeEEEZNS1_10merge_implIS3_NS0_12zip_iteratorINS5_IJN6thrust23THRUST_200600_302600_NS6detail15normal_iteratorINSC_10device_ptrIKyEEEESI_EEEEESK_NSA_INS5_IJNSE_INSF_IyEEEESM_EEEEEPS7_SP_SP_NSC_11hip_rocprim7__merge17predicate_wrapperIyyNSC_4lessIyEEEEEE10hipError_tPvRmT0_T1_T2_T3_T4_T5_mmT6_P12ihipStream_tbEUlT_E_NS1_11comp_targetILNS1_3genE9ELNS1_11target_archE1100ELNS1_3gpuE3ELNS1_3repE0EEENS1_30default_config_static_selectorELNS0_4arch9wavefront6targetE0EEEvS10_
                                        ; -- End function
	.set _ZN7rocprim17ROCPRIM_400000_NS6detail17trampoline_kernelINS0_14default_configENS1_21merge_config_selectorINS0_5tupleIJyyEEENS0_10empty_typeEEEZNS1_10merge_implIS3_NS0_12zip_iteratorINS5_IJN6thrust23THRUST_200600_302600_NS6detail15normal_iteratorINSC_10device_ptrIKyEEEESI_EEEEESK_NSA_INS5_IJNSE_INSF_IyEEEESM_EEEEEPS7_SP_SP_NSC_11hip_rocprim7__merge17predicate_wrapperIyyNSC_4lessIyEEEEEE10hipError_tPvRmT0_T1_T2_T3_T4_T5_mmT6_P12ihipStream_tbEUlT_E_NS1_11comp_targetILNS1_3genE9ELNS1_11target_archE1100ELNS1_3gpuE3ELNS1_3repE0EEENS1_30default_config_static_selectorELNS0_4arch9wavefront6targetE0EEEvS10_.num_vgpr, 0
	.set _ZN7rocprim17ROCPRIM_400000_NS6detail17trampoline_kernelINS0_14default_configENS1_21merge_config_selectorINS0_5tupleIJyyEEENS0_10empty_typeEEEZNS1_10merge_implIS3_NS0_12zip_iteratorINS5_IJN6thrust23THRUST_200600_302600_NS6detail15normal_iteratorINSC_10device_ptrIKyEEEESI_EEEEESK_NSA_INS5_IJNSE_INSF_IyEEEESM_EEEEEPS7_SP_SP_NSC_11hip_rocprim7__merge17predicate_wrapperIyyNSC_4lessIyEEEEEE10hipError_tPvRmT0_T1_T2_T3_T4_T5_mmT6_P12ihipStream_tbEUlT_E_NS1_11comp_targetILNS1_3genE9ELNS1_11target_archE1100ELNS1_3gpuE3ELNS1_3repE0EEENS1_30default_config_static_selectorELNS0_4arch9wavefront6targetE0EEEvS10_.num_agpr, 0
	.set _ZN7rocprim17ROCPRIM_400000_NS6detail17trampoline_kernelINS0_14default_configENS1_21merge_config_selectorINS0_5tupleIJyyEEENS0_10empty_typeEEEZNS1_10merge_implIS3_NS0_12zip_iteratorINS5_IJN6thrust23THRUST_200600_302600_NS6detail15normal_iteratorINSC_10device_ptrIKyEEEESI_EEEEESK_NSA_INS5_IJNSE_INSF_IyEEEESM_EEEEEPS7_SP_SP_NSC_11hip_rocprim7__merge17predicate_wrapperIyyNSC_4lessIyEEEEEE10hipError_tPvRmT0_T1_T2_T3_T4_T5_mmT6_P12ihipStream_tbEUlT_E_NS1_11comp_targetILNS1_3genE9ELNS1_11target_archE1100ELNS1_3gpuE3ELNS1_3repE0EEENS1_30default_config_static_selectorELNS0_4arch9wavefront6targetE0EEEvS10_.numbered_sgpr, 0
	.set _ZN7rocprim17ROCPRIM_400000_NS6detail17trampoline_kernelINS0_14default_configENS1_21merge_config_selectorINS0_5tupleIJyyEEENS0_10empty_typeEEEZNS1_10merge_implIS3_NS0_12zip_iteratorINS5_IJN6thrust23THRUST_200600_302600_NS6detail15normal_iteratorINSC_10device_ptrIKyEEEESI_EEEEESK_NSA_INS5_IJNSE_INSF_IyEEEESM_EEEEEPS7_SP_SP_NSC_11hip_rocprim7__merge17predicate_wrapperIyyNSC_4lessIyEEEEEE10hipError_tPvRmT0_T1_T2_T3_T4_T5_mmT6_P12ihipStream_tbEUlT_E_NS1_11comp_targetILNS1_3genE9ELNS1_11target_archE1100ELNS1_3gpuE3ELNS1_3repE0EEENS1_30default_config_static_selectorELNS0_4arch9wavefront6targetE0EEEvS10_.num_named_barrier, 0
	.set _ZN7rocprim17ROCPRIM_400000_NS6detail17trampoline_kernelINS0_14default_configENS1_21merge_config_selectorINS0_5tupleIJyyEEENS0_10empty_typeEEEZNS1_10merge_implIS3_NS0_12zip_iteratorINS5_IJN6thrust23THRUST_200600_302600_NS6detail15normal_iteratorINSC_10device_ptrIKyEEEESI_EEEEESK_NSA_INS5_IJNSE_INSF_IyEEEESM_EEEEEPS7_SP_SP_NSC_11hip_rocprim7__merge17predicate_wrapperIyyNSC_4lessIyEEEEEE10hipError_tPvRmT0_T1_T2_T3_T4_T5_mmT6_P12ihipStream_tbEUlT_E_NS1_11comp_targetILNS1_3genE9ELNS1_11target_archE1100ELNS1_3gpuE3ELNS1_3repE0EEENS1_30default_config_static_selectorELNS0_4arch9wavefront6targetE0EEEvS10_.private_seg_size, 0
	.set _ZN7rocprim17ROCPRIM_400000_NS6detail17trampoline_kernelINS0_14default_configENS1_21merge_config_selectorINS0_5tupleIJyyEEENS0_10empty_typeEEEZNS1_10merge_implIS3_NS0_12zip_iteratorINS5_IJN6thrust23THRUST_200600_302600_NS6detail15normal_iteratorINSC_10device_ptrIKyEEEESI_EEEEESK_NSA_INS5_IJNSE_INSF_IyEEEESM_EEEEEPS7_SP_SP_NSC_11hip_rocprim7__merge17predicate_wrapperIyyNSC_4lessIyEEEEEE10hipError_tPvRmT0_T1_T2_T3_T4_T5_mmT6_P12ihipStream_tbEUlT_E_NS1_11comp_targetILNS1_3genE9ELNS1_11target_archE1100ELNS1_3gpuE3ELNS1_3repE0EEENS1_30default_config_static_selectorELNS0_4arch9wavefront6targetE0EEEvS10_.uses_vcc, 0
	.set _ZN7rocprim17ROCPRIM_400000_NS6detail17trampoline_kernelINS0_14default_configENS1_21merge_config_selectorINS0_5tupleIJyyEEENS0_10empty_typeEEEZNS1_10merge_implIS3_NS0_12zip_iteratorINS5_IJN6thrust23THRUST_200600_302600_NS6detail15normal_iteratorINSC_10device_ptrIKyEEEESI_EEEEESK_NSA_INS5_IJNSE_INSF_IyEEEESM_EEEEEPS7_SP_SP_NSC_11hip_rocprim7__merge17predicate_wrapperIyyNSC_4lessIyEEEEEE10hipError_tPvRmT0_T1_T2_T3_T4_T5_mmT6_P12ihipStream_tbEUlT_E_NS1_11comp_targetILNS1_3genE9ELNS1_11target_archE1100ELNS1_3gpuE3ELNS1_3repE0EEENS1_30default_config_static_selectorELNS0_4arch9wavefront6targetE0EEEvS10_.uses_flat_scratch, 0
	.set _ZN7rocprim17ROCPRIM_400000_NS6detail17trampoline_kernelINS0_14default_configENS1_21merge_config_selectorINS0_5tupleIJyyEEENS0_10empty_typeEEEZNS1_10merge_implIS3_NS0_12zip_iteratorINS5_IJN6thrust23THRUST_200600_302600_NS6detail15normal_iteratorINSC_10device_ptrIKyEEEESI_EEEEESK_NSA_INS5_IJNSE_INSF_IyEEEESM_EEEEEPS7_SP_SP_NSC_11hip_rocprim7__merge17predicate_wrapperIyyNSC_4lessIyEEEEEE10hipError_tPvRmT0_T1_T2_T3_T4_T5_mmT6_P12ihipStream_tbEUlT_E_NS1_11comp_targetILNS1_3genE9ELNS1_11target_archE1100ELNS1_3gpuE3ELNS1_3repE0EEENS1_30default_config_static_selectorELNS0_4arch9wavefront6targetE0EEEvS10_.has_dyn_sized_stack, 0
	.set _ZN7rocprim17ROCPRIM_400000_NS6detail17trampoline_kernelINS0_14default_configENS1_21merge_config_selectorINS0_5tupleIJyyEEENS0_10empty_typeEEEZNS1_10merge_implIS3_NS0_12zip_iteratorINS5_IJN6thrust23THRUST_200600_302600_NS6detail15normal_iteratorINSC_10device_ptrIKyEEEESI_EEEEESK_NSA_INS5_IJNSE_INSF_IyEEEESM_EEEEEPS7_SP_SP_NSC_11hip_rocprim7__merge17predicate_wrapperIyyNSC_4lessIyEEEEEE10hipError_tPvRmT0_T1_T2_T3_T4_T5_mmT6_P12ihipStream_tbEUlT_E_NS1_11comp_targetILNS1_3genE9ELNS1_11target_archE1100ELNS1_3gpuE3ELNS1_3repE0EEENS1_30default_config_static_selectorELNS0_4arch9wavefront6targetE0EEEvS10_.has_recursion, 0
	.set _ZN7rocprim17ROCPRIM_400000_NS6detail17trampoline_kernelINS0_14default_configENS1_21merge_config_selectorINS0_5tupleIJyyEEENS0_10empty_typeEEEZNS1_10merge_implIS3_NS0_12zip_iteratorINS5_IJN6thrust23THRUST_200600_302600_NS6detail15normal_iteratorINSC_10device_ptrIKyEEEESI_EEEEESK_NSA_INS5_IJNSE_INSF_IyEEEESM_EEEEEPS7_SP_SP_NSC_11hip_rocprim7__merge17predicate_wrapperIyyNSC_4lessIyEEEEEE10hipError_tPvRmT0_T1_T2_T3_T4_T5_mmT6_P12ihipStream_tbEUlT_E_NS1_11comp_targetILNS1_3genE9ELNS1_11target_archE1100ELNS1_3gpuE3ELNS1_3repE0EEENS1_30default_config_static_selectorELNS0_4arch9wavefront6targetE0EEEvS10_.has_indirect_call, 0
	.section	.AMDGPU.csdata,"",@progbits
; Kernel info:
; codeLenInByte = 0
; TotalNumSgprs: 0
; NumVgprs: 0
; ScratchSize: 0
; MemoryBound: 0
; FloatMode: 240
; IeeeMode: 1
; LDSByteSize: 0 bytes/workgroup (compile time only)
; SGPRBlocks: 0
; VGPRBlocks: 0
; NumSGPRsForWavesPerEU: 1
; NumVGPRsForWavesPerEU: 1
; Occupancy: 16
; WaveLimiterHint : 0
; COMPUTE_PGM_RSRC2:SCRATCH_EN: 0
; COMPUTE_PGM_RSRC2:USER_SGPR: 6
; COMPUTE_PGM_RSRC2:TRAP_HANDLER: 0
; COMPUTE_PGM_RSRC2:TGID_X_EN: 1
; COMPUTE_PGM_RSRC2:TGID_Y_EN: 0
; COMPUTE_PGM_RSRC2:TGID_Z_EN: 0
; COMPUTE_PGM_RSRC2:TIDIG_COMP_CNT: 0
	.section	.text._ZN7rocprim17ROCPRIM_400000_NS6detail17trampoline_kernelINS0_14default_configENS1_21merge_config_selectorINS0_5tupleIJyyEEENS0_10empty_typeEEEZNS1_10merge_implIS3_NS0_12zip_iteratorINS5_IJN6thrust23THRUST_200600_302600_NS6detail15normal_iteratorINSC_10device_ptrIKyEEEESI_EEEEESK_NSA_INS5_IJNSE_INSF_IyEEEESM_EEEEEPS7_SP_SP_NSC_11hip_rocprim7__merge17predicate_wrapperIyyNSC_4lessIyEEEEEE10hipError_tPvRmT0_T1_T2_T3_T4_T5_mmT6_P12ihipStream_tbEUlT_E_NS1_11comp_targetILNS1_3genE8ELNS1_11target_archE1030ELNS1_3gpuE2ELNS1_3repE0EEENS1_30default_config_static_selectorELNS0_4arch9wavefront6targetE0EEEvS10_,"axG",@progbits,_ZN7rocprim17ROCPRIM_400000_NS6detail17trampoline_kernelINS0_14default_configENS1_21merge_config_selectorINS0_5tupleIJyyEEENS0_10empty_typeEEEZNS1_10merge_implIS3_NS0_12zip_iteratorINS5_IJN6thrust23THRUST_200600_302600_NS6detail15normal_iteratorINSC_10device_ptrIKyEEEESI_EEEEESK_NSA_INS5_IJNSE_INSF_IyEEEESM_EEEEEPS7_SP_SP_NSC_11hip_rocprim7__merge17predicate_wrapperIyyNSC_4lessIyEEEEEE10hipError_tPvRmT0_T1_T2_T3_T4_T5_mmT6_P12ihipStream_tbEUlT_E_NS1_11comp_targetILNS1_3genE8ELNS1_11target_archE1030ELNS1_3gpuE2ELNS1_3repE0EEENS1_30default_config_static_selectorELNS0_4arch9wavefront6targetE0EEEvS10_,comdat
	.protected	_ZN7rocprim17ROCPRIM_400000_NS6detail17trampoline_kernelINS0_14default_configENS1_21merge_config_selectorINS0_5tupleIJyyEEENS0_10empty_typeEEEZNS1_10merge_implIS3_NS0_12zip_iteratorINS5_IJN6thrust23THRUST_200600_302600_NS6detail15normal_iteratorINSC_10device_ptrIKyEEEESI_EEEEESK_NSA_INS5_IJNSE_INSF_IyEEEESM_EEEEEPS7_SP_SP_NSC_11hip_rocprim7__merge17predicate_wrapperIyyNSC_4lessIyEEEEEE10hipError_tPvRmT0_T1_T2_T3_T4_T5_mmT6_P12ihipStream_tbEUlT_E_NS1_11comp_targetILNS1_3genE8ELNS1_11target_archE1030ELNS1_3gpuE2ELNS1_3repE0EEENS1_30default_config_static_selectorELNS0_4arch9wavefront6targetE0EEEvS10_ ; -- Begin function _ZN7rocprim17ROCPRIM_400000_NS6detail17trampoline_kernelINS0_14default_configENS1_21merge_config_selectorINS0_5tupleIJyyEEENS0_10empty_typeEEEZNS1_10merge_implIS3_NS0_12zip_iteratorINS5_IJN6thrust23THRUST_200600_302600_NS6detail15normal_iteratorINSC_10device_ptrIKyEEEESI_EEEEESK_NSA_INS5_IJNSE_INSF_IyEEEESM_EEEEEPS7_SP_SP_NSC_11hip_rocprim7__merge17predicate_wrapperIyyNSC_4lessIyEEEEEE10hipError_tPvRmT0_T1_T2_T3_T4_T5_mmT6_P12ihipStream_tbEUlT_E_NS1_11comp_targetILNS1_3genE8ELNS1_11target_archE1030ELNS1_3gpuE2ELNS1_3repE0EEENS1_30default_config_static_selectorELNS0_4arch9wavefront6targetE0EEEvS10_
	.globl	_ZN7rocprim17ROCPRIM_400000_NS6detail17trampoline_kernelINS0_14default_configENS1_21merge_config_selectorINS0_5tupleIJyyEEENS0_10empty_typeEEEZNS1_10merge_implIS3_NS0_12zip_iteratorINS5_IJN6thrust23THRUST_200600_302600_NS6detail15normal_iteratorINSC_10device_ptrIKyEEEESI_EEEEESK_NSA_INS5_IJNSE_INSF_IyEEEESM_EEEEEPS7_SP_SP_NSC_11hip_rocprim7__merge17predicate_wrapperIyyNSC_4lessIyEEEEEE10hipError_tPvRmT0_T1_T2_T3_T4_T5_mmT6_P12ihipStream_tbEUlT_E_NS1_11comp_targetILNS1_3genE8ELNS1_11target_archE1030ELNS1_3gpuE2ELNS1_3repE0EEENS1_30default_config_static_selectorELNS0_4arch9wavefront6targetE0EEEvS10_
	.p2align	8
	.type	_ZN7rocprim17ROCPRIM_400000_NS6detail17trampoline_kernelINS0_14default_configENS1_21merge_config_selectorINS0_5tupleIJyyEEENS0_10empty_typeEEEZNS1_10merge_implIS3_NS0_12zip_iteratorINS5_IJN6thrust23THRUST_200600_302600_NS6detail15normal_iteratorINSC_10device_ptrIKyEEEESI_EEEEESK_NSA_INS5_IJNSE_INSF_IyEEEESM_EEEEEPS7_SP_SP_NSC_11hip_rocprim7__merge17predicate_wrapperIyyNSC_4lessIyEEEEEE10hipError_tPvRmT0_T1_T2_T3_T4_T5_mmT6_P12ihipStream_tbEUlT_E_NS1_11comp_targetILNS1_3genE8ELNS1_11target_archE1030ELNS1_3gpuE2ELNS1_3repE0EEENS1_30default_config_static_selectorELNS0_4arch9wavefront6targetE0EEEvS10_,@function
_ZN7rocprim17ROCPRIM_400000_NS6detail17trampoline_kernelINS0_14default_configENS1_21merge_config_selectorINS0_5tupleIJyyEEENS0_10empty_typeEEEZNS1_10merge_implIS3_NS0_12zip_iteratorINS5_IJN6thrust23THRUST_200600_302600_NS6detail15normal_iteratorINSC_10device_ptrIKyEEEESI_EEEEESK_NSA_INS5_IJNSE_INSF_IyEEEESM_EEEEEPS7_SP_SP_NSC_11hip_rocprim7__merge17predicate_wrapperIyyNSC_4lessIyEEEEEE10hipError_tPvRmT0_T1_T2_T3_T4_T5_mmT6_P12ihipStream_tbEUlT_E_NS1_11comp_targetILNS1_3genE8ELNS1_11target_archE1030ELNS1_3gpuE2ELNS1_3repE0EEENS1_30default_config_static_selectorELNS0_4arch9wavefront6targetE0EEEvS10_: ; @_ZN7rocprim17ROCPRIM_400000_NS6detail17trampoline_kernelINS0_14default_configENS1_21merge_config_selectorINS0_5tupleIJyyEEENS0_10empty_typeEEEZNS1_10merge_implIS3_NS0_12zip_iteratorINS5_IJN6thrust23THRUST_200600_302600_NS6detail15normal_iteratorINSC_10device_ptrIKyEEEESI_EEEEESK_NSA_INS5_IJNSE_INSF_IyEEEESM_EEEEEPS7_SP_SP_NSC_11hip_rocprim7__merge17predicate_wrapperIyyNSC_4lessIyEEEEEE10hipError_tPvRmT0_T1_T2_T3_T4_T5_mmT6_P12ihipStream_tbEUlT_E_NS1_11comp_targetILNS1_3genE8ELNS1_11target_archE1030ELNS1_3gpuE2ELNS1_3repE0EEENS1_30default_config_static_selectorELNS0_4arch9wavefront6targetE0EEEvS10_
; %bb.0:
	s_clause 0x2
	s_load_dword s2, s[4:5], 0x38
	s_load_dword s0, s[4:5], 0x4c
	s_load_dwordx4 s[12:15], s[4:5], 0x28
	s_waitcnt lgkmcnt(0)
	v_cvt_f32_u32_e32 v1, s2
	s_and_b32 s3, s0, 0xffff
	s_add_u32 s0, s14, s12
	s_addc_u32 s1, s15, s13
	s_sub_i32 s8, 0, s2
	v_rcp_iflag_f32_e32 v1, v1
	s_add_i32 s9, s2, s0
	s_add_i32 s9, s9, -1
	v_mul_f32_e32 v1, 0x4f7ffffe, v1
	v_cvt_u32_f32_e32 v1, v1
	v_readfirstlane_b32 s7, v1
	v_mad_u64_u32 v[0:1], null, s6, s3, v[0:1]
	s_mul_i32 s8, s8, s7
	s_mul_hi_u32 s8, s7, s8
	s_add_i32 s7, s7, s8
	s_mul_hi_u32 s7, s9, s7
	s_mul_i32 s8, s7, s2
	s_sub_i32 s8, s9, s8
	s_add_i32 s9, s7, 1
	s_sub_i32 s10, s8, s2
	s_cmp_ge_u32 s8, s2
	s_cselect_b32 s3, s9, s7
	s_cselect_b32 s6, s10, s8
	s_add_i32 s7, s3, 1
	s_cmp_ge_u32 s6, s2
	s_cselect_b32 s3, s7, s3
	v_cmp_ge_u32_e32 vcc_lo, s3, v0
	s_and_saveexec_b32 s3, vcc_lo
	s_cbranch_execz .LBB104_6
; %bb.1:
	v_mul_lo_u32 v1, v0, s2
	v_mov_b32_e32 v2, 0
	s_load_dwordx4 s[8:11], s[4:5], 0x0
	v_cmp_gt_u64_e32 vcc_lo, s[0:1], v[1:2]
	v_cndmask_b32_e32 v6, s0, v1, vcc_lo
	v_cndmask_b32_e64 v7, s1, 0, vcc_lo
	s_mov_b32 s1, exec_lo
	v_sub_co_u32 v1, vcc_lo, v6, s14
	v_subrev_co_ci_u32_e64 v2, null, s15, v7, vcc_lo
	v_cmp_gt_u64_e64 s0, s[12:13], v[6:7]
	v_cmp_gt_u64_e32 vcc_lo, v[1:2], v[6:7]
	v_cndmask_b32_e64 v5, s13, v7, s0
	v_cndmask_b32_e64 v4, s12, v6, s0
	v_cndmask_b32_e64 v3, v2, 0, vcc_lo
	v_cndmask_b32_e64 v2, v1, 0, vcc_lo
	v_cmpx_lt_u64_e64 v[2:3], v[4:5]
	s_cbranch_execz .LBB104_5
; %bb.2:
	s_load_dwordx2 s[2:3], s[4:5], 0x18
	v_lshlrev_b64 v[6:7], 3, v[6:7]
	s_waitcnt lgkmcnt(0)
	v_add_co_u32 v1, vcc_lo, s2, v6
	v_add_co_ci_u32_e64 v6, null, s3, v7, vcc_lo
	s_mov_b32 s2, 0
	s_inst_prefetch 0x1
	.p2align	6
.LBB104_3:                              ; =>This Inner Loop Header: Depth=1
	v_add_co_u32 v7, vcc_lo, v4, v2
	v_add_co_ci_u32_e64 v8, null, v5, v3, vcc_lo
	v_lshrrev_b64 v[7:8], 1, v[7:8]
	v_lshlrev_b64 v[9:10], 3, v[7:8]
	v_xor_b32_e32 v11, -8, v9
	v_xor_b32_e32 v12, -1, v10
	v_add_co_u32 v9, vcc_lo, s10, v9
	v_add_co_ci_u32_e64 v10, null, s11, v10, vcc_lo
	v_add_co_u32 v11, vcc_lo, v1, v11
	v_add_co_ci_u32_e64 v12, null, v6, v12, vcc_lo
	v_add_co_u32 v13, vcc_lo, v7, 1
	global_load_dwordx2 v[9:10], v[9:10], off
	global_load_dwordx2 v[11:12], v[11:12], off
	s_waitcnt vmcnt(0)
	v_cmp_lt_u64_e64 s0, v[11:12], v[9:10]
	v_add_co_ci_u32_e64 v9, null, 0, v8, vcc_lo
	v_cndmask_b32_e64 v5, v5, v8, s0
	v_cndmask_b32_e64 v4, v4, v7, s0
	;; [unrolled: 1-line block ×4, first 2 shown]
	v_cmp_ge_u64_e32 vcc_lo, v[2:3], v[4:5]
	s_or_b32 s2, vcc_lo, s2
	s_andn2_b32 exec_lo, exec_lo, s2
	s_cbranch_execnz .LBB104_3
; %bb.4:
	s_inst_prefetch 0x2
	s_or_b32 exec_lo, exec_lo, s2
.LBB104_5:
	s_or_b32 exec_lo, exec_lo, s1
	v_mov_b32_e32 v1, 0
	v_lshlrev_b64 v[0:1], 2, v[0:1]
	s_waitcnt lgkmcnt(0)
	v_add_co_u32 v0, vcc_lo, s8, v0
	v_add_co_ci_u32_e64 v1, null, s9, v1, vcc_lo
	global_store_dword v[0:1], v2, off
.LBB104_6:
	s_endpgm
	.section	.rodata,"a",@progbits
	.p2align	6, 0x0
	.amdhsa_kernel _ZN7rocprim17ROCPRIM_400000_NS6detail17trampoline_kernelINS0_14default_configENS1_21merge_config_selectorINS0_5tupleIJyyEEENS0_10empty_typeEEEZNS1_10merge_implIS3_NS0_12zip_iteratorINS5_IJN6thrust23THRUST_200600_302600_NS6detail15normal_iteratorINSC_10device_ptrIKyEEEESI_EEEEESK_NSA_INS5_IJNSE_INSF_IyEEEESM_EEEEEPS7_SP_SP_NSC_11hip_rocprim7__merge17predicate_wrapperIyyNSC_4lessIyEEEEEE10hipError_tPvRmT0_T1_T2_T3_T4_T5_mmT6_P12ihipStream_tbEUlT_E_NS1_11comp_targetILNS1_3genE8ELNS1_11target_archE1030ELNS1_3gpuE2ELNS1_3repE0EEENS1_30default_config_static_selectorELNS0_4arch9wavefront6targetE0EEEvS10_
		.amdhsa_group_segment_fixed_size 0
		.amdhsa_private_segment_fixed_size 0
		.amdhsa_kernarg_size 320
		.amdhsa_user_sgpr_count 6
		.amdhsa_user_sgpr_private_segment_buffer 1
		.amdhsa_user_sgpr_dispatch_ptr 0
		.amdhsa_user_sgpr_queue_ptr 0
		.amdhsa_user_sgpr_kernarg_segment_ptr 1
		.amdhsa_user_sgpr_dispatch_id 0
		.amdhsa_user_sgpr_flat_scratch_init 0
		.amdhsa_user_sgpr_private_segment_size 0
		.amdhsa_wavefront_size32 1
		.amdhsa_uses_dynamic_stack 0
		.amdhsa_system_sgpr_private_segment_wavefront_offset 0
		.amdhsa_system_sgpr_workgroup_id_x 1
		.amdhsa_system_sgpr_workgroup_id_y 0
		.amdhsa_system_sgpr_workgroup_id_z 0
		.amdhsa_system_sgpr_workgroup_info 0
		.amdhsa_system_vgpr_workitem_id 0
		.amdhsa_next_free_vgpr 14
		.amdhsa_next_free_sgpr 16
		.amdhsa_reserve_vcc 1
		.amdhsa_reserve_flat_scratch 0
		.amdhsa_float_round_mode_32 0
		.amdhsa_float_round_mode_16_64 0
		.amdhsa_float_denorm_mode_32 3
		.amdhsa_float_denorm_mode_16_64 3
		.amdhsa_dx10_clamp 1
		.amdhsa_ieee_mode 1
		.amdhsa_fp16_overflow 0
		.amdhsa_workgroup_processor_mode 1
		.amdhsa_memory_ordered 1
		.amdhsa_forward_progress 1
		.amdhsa_shared_vgpr_count 0
		.amdhsa_exception_fp_ieee_invalid_op 0
		.amdhsa_exception_fp_denorm_src 0
		.amdhsa_exception_fp_ieee_div_zero 0
		.amdhsa_exception_fp_ieee_overflow 0
		.amdhsa_exception_fp_ieee_underflow 0
		.amdhsa_exception_fp_ieee_inexact 0
		.amdhsa_exception_int_div_zero 0
	.end_amdhsa_kernel
	.section	.text._ZN7rocprim17ROCPRIM_400000_NS6detail17trampoline_kernelINS0_14default_configENS1_21merge_config_selectorINS0_5tupleIJyyEEENS0_10empty_typeEEEZNS1_10merge_implIS3_NS0_12zip_iteratorINS5_IJN6thrust23THRUST_200600_302600_NS6detail15normal_iteratorINSC_10device_ptrIKyEEEESI_EEEEESK_NSA_INS5_IJNSE_INSF_IyEEEESM_EEEEEPS7_SP_SP_NSC_11hip_rocprim7__merge17predicate_wrapperIyyNSC_4lessIyEEEEEE10hipError_tPvRmT0_T1_T2_T3_T4_T5_mmT6_P12ihipStream_tbEUlT_E_NS1_11comp_targetILNS1_3genE8ELNS1_11target_archE1030ELNS1_3gpuE2ELNS1_3repE0EEENS1_30default_config_static_selectorELNS0_4arch9wavefront6targetE0EEEvS10_,"axG",@progbits,_ZN7rocprim17ROCPRIM_400000_NS6detail17trampoline_kernelINS0_14default_configENS1_21merge_config_selectorINS0_5tupleIJyyEEENS0_10empty_typeEEEZNS1_10merge_implIS3_NS0_12zip_iteratorINS5_IJN6thrust23THRUST_200600_302600_NS6detail15normal_iteratorINSC_10device_ptrIKyEEEESI_EEEEESK_NSA_INS5_IJNSE_INSF_IyEEEESM_EEEEEPS7_SP_SP_NSC_11hip_rocprim7__merge17predicate_wrapperIyyNSC_4lessIyEEEEEE10hipError_tPvRmT0_T1_T2_T3_T4_T5_mmT6_P12ihipStream_tbEUlT_E_NS1_11comp_targetILNS1_3genE8ELNS1_11target_archE1030ELNS1_3gpuE2ELNS1_3repE0EEENS1_30default_config_static_selectorELNS0_4arch9wavefront6targetE0EEEvS10_,comdat
.Lfunc_end104:
	.size	_ZN7rocprim17ROCPRIM_400000_NS6detail17trampoline_kernelINS0_14default_configENS1_21merge_config_selectorINS0_5tupleIJyyEEENS0_10empty_typeEEEZNS1_10merge_implIS3_NS0_12zip_iteratorINS5_IJN6thrust23THRUST_200600_302600_NS6detail15normal_iteratorINSC_10device_ptrIKyEEEESI_EEEEESK_NSA_INS5_IJNSE_INSF_IyEEEESM_EEEEEPS7_SP_SP_NSC_11hip_rocprim7__merge17predicate_wrapperIyyNSC_4lessIyEEEEEE10hipError_tPvRmT0_T1_T2_T3_T4_T5_mmT6_P12ihipStream_tbEUlT_E_NS1_11comp_targetILNS1_3genE8ELNS1_11target_archE1030ELNS1_3gpuE2ELNS1_3repE0EEENS1_30default_config_static_selectorELNS0_4arch9wavefront6targetE0EEEvS10_, .Lfunc_end104-_ZN7rocprim17ROCPRIM_400000_NS6detail17trampoline_kernelINS0_14default_configENS1_21merge_config_selectorINS0_5tupleIJyyEEENS0_10empty_typeEEEZNS1_10merge_implIS3_NS0_12zip_iteratorINS5_IJN6thrust23THRUST_200600_302600_NS6detail15normal_iteratorINSC_10device_ptrIKyEEEESI_EEEEESK_NSA_INS5_IJNSE_INSF_IyEEEESM_EEEEEPS7_SP_SP_NSC_11hip_rocprim7__merge17predicate_wrapperIyyNSC_4lessIyEEEEEE10hipError_tPvRmT0_T1_T2_T3_T4_T5_mmT6_P12ihipStream_tbEUlT_E_NS1_11comp_targetILNS1_3genE8ELNS1_11target_archE1030ELNS1_3gpuE2ELNS1_3repE0EEENS1_30default_config_static_selectorELNS0_4arch9wavefront6targetE0EEEvS10_
                                        ; -- End function
	.set _ZN7rocprim17ROCPRIM_400000_NS6detail17trampoline_kernelINS0_14default_configENS1_21merge_config_selectorINS0_5tupleIJyyEEENS0_10empty_typeEEEZNS1_10merge_implIS3_NS0_12zip_iteratorINS5_IJN6thrust23THRUST_200600_302600_NS6detail15normal_iteratorINSC_10device_ptrIKyEEEESI_EEEEESK_NSA_INS5_IJNSE_INSF_IyEEEESM_EEEEEPS7_SP_SP_NSC_11hip_rocprim7__merge17predicate_wrapperIyyNSC_4lessIyEEEEEE10hipError_tPvRmT0_T1_T2_T3_T4_T5_mmT6_P12ihipStream_tbEUlT_E_NS1_11comp_targetILNS1_3genE8ELNS1_11target_archE1030ELNS1_3gpuE2ELNS1_3repE0EEENS1_30default_config_static_selectorELNS0_4arch9wavefront6targetE0EEEvS10_.num_vgpr, 14
	.set _ZN7rocprim17ROCPRIM_400000_NS6detail17trampoline_kernelINS0_14default_configENS1_21merge_config_selectorINS0_5tupleIJyyEEENS0_10empty_typeEEEZNS1_10merge_implIS3_NS0_12zip_iteratorINS5_IJN6thrust23THRUST_200600_302600_NS6detail15normal_iteratorINSC_10device_ptrIKyEEEESI_EEEEESK_NSA_INS5_IJNSE_INSF_IyEEEESM_EEEEEPS7_SP_SP_NSC_11hip_rocprim7__merge17predicate_wrapperIyyNSC_4lessIyEEEEEE10hipError_tPvRmT0_T1_T2_T3_T4_T5_mmT6_P12ihipStream_tbEUlT_E_NS1_11comp_targetILNS1_3genE8ELNS1_11target_archE1030ELNS1_3gpuE2ELNS1_3repE0EEENS1_30default_config_static_selectorELNS0_4arch9wavefront6targetE0EEEvS10_.num_agpr, 0
	.set _ZN7rocprim17ROCPRIM_400000_NS6detail17trampoline_kernelINS0_14default_configENS1_21merge_config_selectorINS0_5tupleIJyyEEENS0_10empty_typeEEEZNS1_10merge_implIS3_NS0_12zip_iteratorINS5_IJN6thrust23THRUST_200600_302600_NS6detail15normal_iteratorINSC_10device_ptrIKyEEEESI_EEEEESK_NSA_INS5_IJNSE_INSF_IyEEEESM_EEEEEPS7_SP_SP_NSC_11hip_rocprim7__merge17predicate_wrapperIyyNSC_4lessIyEEEEEE10hipError_tPvRmT0_T1_T2_T3_T4_T5_mmT6_P12ihipStream_tbEUlT_E_NS1_11comp_targetILNS1_3genE8ELNS1_11target_archE1030ELNS1_3gpuE2ELNS1_3repE0EEENS1_30default_config_static_selectorELNS0_4arch9wavefront6targetE0EEEvS10_.numbered_sgpr, 16
	.set _ZN7rocprim17ROCPRIM_400000_NS6detail17trampoline_kernelINS0_14default_configENS1_21merge_config_selectorINS0_5tupleIJyyEEENS0_10empty_typeEEEZNS1_10merge_implIS3_NS0_12zip_iteratorINS5_IJN6thrust23THRUST_200600_302600_NS6detail15normal_iteratorINSC_10device_ptrIKyEEEESI_EEEEESK_NSA_INS5_IJNSE_INSF_IyEEEESM_EEEEEPS7_SP_SP_NSC_11hip_rocprim7__merge17predicate_wrapperIyyNSC_4lessIyEEEEEE10hipError_tPvRmT0_T1_T2_T3_T4_T5_mmT6_P12ihipStream_tbEUlT_E_NS1_11comp_targetILNS1_3genE8ELNS1_11target_archE1030ELNS1_3gpuE2ELNS1_3repE0EEENS1_30default_config_static_selectorELNS0_4arch9wavefront6targetE0EEEvS10_.num_named_barrier, 0
	.set _ZN7rocprim17ROCPRIM_400000_NS6detail17trampoline_kernelINS0_14default_configENS1_21merge_config_selectorINS0_5tupleIJyyEEENS0_10empty_typeEEEZNS1_10merge_implIS3_NS0_12zip_iteratorINS5_IJN6thrust23THRUST_200600_302600_NS6detail15normal_iteratorINSC_10device_ptrIKyEEEESI_EEEEESK_NSA_INS5_IJNSE_INSF_IyEEEESM_EEEEEPS7_SP_SP_NSC_11hip_rocprim7__merge17predicate_wrapperIyyNSC_4lessIyEEEEEE10hipError_tPvRmT0_T1_T2_T3_T4_T5_mmT6_P12ihipStream_tbEUlT_E_NS1_11comp_targetILNS1_3genE8ELNS1_11target_archE1030ELNS1_3gpuE2ELNS1_3repE0EEENS1_30default_config_static_selectorELNS0_4arch9wavefront6targetE0EEEvS10_.private_seg_size, 0
	.set _ZN7rocprim17ROCPRIM_400000_NS6detail17trampoline_kernelINS0_14default_configENS1_21merge_config_selectorINS0_5tupleIJyyEEENS0_10empty_typeEEEZNS1_10merge_implIS3_NS0_12zip_iteratorINS5_IJN6thrust23THRUST_200600_302600_NS6detail15normal_iteratorINSC_10device_ptrIKyEEEESI_EEEEESK_NSA_INS5_IJNSE_INSF_IyEEEESM_EEEEEPS7_SP_SP_NSC_11hip_rocprim7__merge17predicate_wrapperIyyNSC_4lessIyEEEEEE10hipError_tPvRmT0_T1_T2_T3_T4_T5_mmT6_P12ihipStream_tbEUlT_E_NS1_11comp_targetILNS1_3genE8ELNS1_11target_archE1030ELNS1_3gpuE2ELNS1_3repE0EEENS1_30default_config_static_selectorELNS0_4arch9wavefront6targetE0EEEvS10_.uses_vcc, 1
	.set _ZN7rocprim17ROCPRIM_400000_NS6detail17trampoline_kernelINS0_14default_configENS1_21merge_config_selectorINS0_5tupleIJyyEEENS0_10empty_typeEEEZNS1_10merge_implIS3_NS0_12zip_iteratorINS5_IJN6thrust23THRUST_200600_302600_NS6detail15normal_iteratorINSC_10device_ptrIKyEEEESI_EEEEESK_NSA_INS5_IJNSE_INSF_IyEEEESM_EEEEEPS7_SP_SP_NSC_11hip_rocprim7__merge17predicate_wrapperIyyNSC_4lessIyEEEEEE10hipError_tPvRmT0_T1_T2_T3_T4_T5_mmT6_P12ihipStream_tbEUlT_E_NS1_11comp_targetILNS1_3genE8ELNS1_11target_archE1030ELNS1_3gpuE2ELNS1_3repE0EEENS1_30default_config_static_selectorELNS0_4arch9wavefront6targetE0EEEvS10_.uses_flat_scratch, 0
	.set _ZN7rocprim17ROCPRIM_400000_NS6detail17trampoline_kernelINS0_14default_configENS1_21merge_config_selectorINS0_5tupleIJyyEEENS0_10empty_typeEEEZNS1_10merge_implIS3_NS0_12zip_iteratorINS5_IJN6thrust23THRUST_200600_302600_NS6detail15normal_iteratorINSC_10device_ptrIKyEEEESI_EEEEESK_NSA_INS5_IJNSE_INSF_IyEEEESM_EEEEEPS7_SP_SP_NSC_11hip_rocprim7__merge17predicate_wrapperIyyNSC_4lessIyEEEEEE10hipError_tPvRmT0_T1_T2_T3_T4_T5_mmT6_P12ihipStream_tbEUlT_E_NS1_11comp_targetILNS1_3genE8ELNS1_11target_archE1030ELNS1_3gpuE2ELNS1_3repE0EEENS1_30default_config_static_selectorELNS0_4arch9wavefront6targetE0EEEvS10_.has_dyn_sized_stack, 0
	.set _ZN7rocprim17ROCPRIM_400000_NS6detail17trampoline_kernelINS0_14default_configENS1_21merge_config_selectorINS0_5tupleIJyyEEENS0_10empty_typeEEEZNS1_10merge_implIS3_NS0_12zip_iteratorINS5_IJN6thrust23THRUST_200600_302600_NS6detail15normal_iteratorINSC_10device_ptrIKyEEEESI_EEEEESK_NSA_INS5_IJNSE_INSF_IyEEEESM_EEEEEPS7_SP_SP_NSC_11hip_rocprim7__merge17predicate_wrapperIyyNSC_4lessIyEEEEEE10hipError_tPvRmT0_T1_T2_T3_T4_T5_mmT6_P12ihipStream_tbEUlT_E_NS1_11comp_targetILNS1_3genE8ELNS1_11target_archE1030ELNS1_3gpuE2ELNS1_3repE0EEENS1_30default_config_static_selectorELNS0_4arch9wavefront6targetE0EEEvS10_.has_recursion, 0
	.set _ZN7rocprim17ROCPRIM_400000_NS6detail17trampoline_kernelINS0_14default_configENS1_21merge_config_selectorINS0_5tupleIJyyEEENS0_10empty_typeEEEZNS1_10merge_implIS3_NS0_12zip_iteratorINS5_IJN6thrust23THRUST_200600_302600_NS6detail15normal_iteratorINSC_10device_ptrIKyEEEESI_EEEEESK_NSA_INS5_IJNSE_INSF_IyEEEESM_EEEEEPS7_SP_SP_NSC_11hip_rocprim7__merge17predicate_wrapperIyyNSC_4lessIyEEEEEE10hipError_tPvRmT0_T1_T2_T3_T4_T5_mmT6_P12ihipStream_tbEUlT_E_NS1_11comp_targetILNS1_3genE8ELNS1_11target_archE1030ELNS1_3gpuE2ELNS1_3repE0EEENS1_30default_config_static_selectorELNS0_4arch9wavefront6targetE0EEEvS10_.has_indirect_call, 0
	.section	.AMDGPU.csdata,"",@progbits
; Kernel info:
; codeLenInByte = 540
; TotalNumSgprs: 18
; NumVgprs: 14
; ScratchSize: 0
; MemoryBound: 0
; FloatMode: 240
; IeeeMode: 1
; LDSByteSize: 0 bytes/workgroup (compile time only)
; SGPRBlocks: 0
; VGPRBlocks: 1
; NumSGPRsForWavesPerEU: 18
; NumVGPRsForWavesPerEU: 14
; Occupancy: 16
; WaveLimiterHint : 0
; COMPUTE_PGM_RSRC2:SCRATCH_EN: 0
; COMPUTE_PGM_RSRC2:USER_SGPR: 6
; COMPUTE_PGM_RSRC2:TRAP_HANDLER: 0
; COMPUTE_PGM_RSRC2:TGID_X_EN: 1
; COMPUTE_PGM_RSRC2:TGID_Y_EN: 0
; COMPUTE_PGM_RSRC2:TGID_Z_EN: 0
; COMPUTE_PGM_RSRC2:TIDIG_COMP_CNT: 0
	.section	.text._ZN7rocprim17ROCPRIM_400000_NS6detail17trampoline_kernelINS0_14default_configENS1_21merge_config_selectorINS0_5tupleIJyyEEENS0_10empty_typeEEEZNS1_10merge_implIS3_NS0_12zip_iteratorINS5_IJN6thrust23THRUST_200600_302600_NS6detail15normal_iteratorINSC_10device_ptrIKyEEEESI_EEEEESK_NSA_INS5_IJNSE_INSF_IyEEEESM_EEEEEPS7_SP_SP_NSC_11hip_rocprim7__merge17predicate_wrapperIyyNSC_4lessIyEEEEEE10hipError_tPvRmT0_T1_T2_T3_T4_T5_mmT6_P12ihipStream_tbEUlT_E0_NS1_11comp_targetILNS1_3genE0ELNS1_11target_archE4294967295ELNS1_3gpuE0ELNS1_3repE0EEENS1_30default_config_static_selectorELNS0_4arch9wavefront6targetE0EEEvS10_,"axG",@progbits,_ZN7rocprim17ROCPRIM_400000_NS6detail17trampoline_kernelINS0_14default_configENS1_21merge_config_selectorINS0_5tupleIJyyEEENS0_10empty_typeEEEZNS1_10merge_implIS3_NS0_12zip_iteratorINS5_IJN6thrust23THRUST_200600_302600_NS6detail15normal_iteratorINSC_10device_ptrIKyEEEESI_EEEEESK_NSA_INS5_IJNSE_INSF_IyEEEESM_EEEEEPS7_SP_SP_NSC_11hip_rocprim7__merge17predicate_wrapperIyyNSC_4lessIyEEEEEE10hipError_tPvRmT0_T1_T2_T3_T4_T5_mmT6_P12ihipStream_tbEUlT_E0_NS1_11comp_targetILNS1_3genE0ELNS1_11target_archE4294967295ELNS1_3gpuE0ELNS1_3repE0EEENS1_30default_config_static_selectorELNS0_4arch9wavefront6targetE0EEEvS10_,comdat
	.protected	_ZN7rocprim17ROCPRIM_400000_NS6detail17trampoline_kernelINS0_14default_configENS1_21merge_config_selectorINS0_5tupleIJyyEEENS0_10empty_typeEEEZNS1_10merge_implIS3_NS0_12zip_iteratorINS5_IJN6thrust23THRUST_200600_302600_NS6detail15normal_iteratorINSC_10device_ptrIKyEEEESI_EEEEESK_NSA_INS5_IJNSE_INSF_IyEEEESM_EEEEEPS7_SP_SP_NSC_11hip_rocprim7__merge17predicate_wrapperIyyNSC_4lessIyEEEEEE10hipError_tPvRmT0_T1_T2_T3_T4_T5_mmT6_P12ihipStream_tbEUlT_E0_NS1_11comp_targetILNS1_3genE0ELNS1_11target_archE4294967295ELNS1_3gpuE0ELNS1_3repE0EEENS1_30default_config_static_selectorELNS0_4arch9wavefront6targetE0EEEvS10_ ; -- Begin function _ZN7rocprim17ROCPRIM_400000_NS6detail17trampoline_kernelINS0_14default_configENS1_21merge_config_selectorINS0_5tupleIJyyEEENS0_10empty_typeEEEZNS1_10merge_implIS3_NS0_12zip_iteratorINS5_IJN6thrust23THRUST_200600_302600_NS6detail15normal_iteratorINSC_10device_ptrIKyEEEESI_EEEEESK_NSA_INS5_IJNSE_INSF_IyEEEESM_EEEEEPS7_SP_SP_NSC_11hip_rocprim7__merge17predicate_wrapperIyyNSC_4lessIyEEEEEE10hipError_tPvRmT0_T1_T2_T3_T4_T5_mmT6_P12ihipStream_tbEUlT_E0_NS1_11comp_targetILNS1_3genE0ELNS1_11target_archE4294967295ELNS1_3gpuE0ELNS1_3repE0EEENS1_30default_config_static_selectorELNS0_4arch9wavefront6targetE0EEEvS10_
	.globl	_ZN7rocprim17ROCPRIM_400000_NS6detail17trampoline_kernelINS0_14default_configENS1_21merge_config_selectorINS0_5tupleIJyyEEENS0_10empty_typeEEEZNS1_10merge_implIS3_NS0_12zip_iteratorINS5_IJN6thrust23THRUST_200600_302600_NS6detail15normal_iteratorINSC_10device_ptrIKyEEEESI_EEEEESK_NSA_INS5_IJNSE_INSF_IyEEEESM_EEEEEPS7_SP_SP_NSC_11hip_rocprim7__merge17predicate_wrapperIyyNSC_4lessIyEEEEEE10hipError_tPvRmT0_T1_T2_T3_T4_T5_mmT6_P12ihipStream_tbEUlT_E0_NS1_11comp_targetILNS1_3genE0ELNS1_11target_archE4294967295ELNS1_3gpuE0ELNS1_3repE0EEENS1_30default_config_static_selectorELNS0_4arch9wavefront6targetE0EEEvS10_
	.p2align	8
	.type	_ZN7rocprim17ROCPRIM_400000_NS6detail17trampoline_kernelINS0_14default_configENS1_21merge_config_selectorINS0_5tupleIJyyEEENS0_10empty_typeEEEZNS1_10merge_implIS3_NS0_12zip_iteratorINS5_IJN6thrust23THRUST_200600_302600_NS6detail15normal_iteratorINSC_10device_ptrIKyEEEESI_EEEEESK_NSA_INS5_IJNSE_INSF_IyEEEESM_EEEEEPS7_SP_SP_NSC_11hip_rocprim7__merge17predicate_wrapperIyyNSC_4lessIyEEEEEE10hipError_tPvRmT0_T1_T2_T3_T4_T5_mmT6_P12ihipStream_tbEUlT_E0_NS1_11comp_targetILNS1_3genE0ELNS1_11target_archE4294967295ELNS1_3gpuE0ELNS1_3repE0EEENS1_30default_config_static_selectorELNS0_4arch9wavefront6targetE0EEEvS10_,@function
_ZN7rocprim17ROCPRIM_400000_NS6detail17trampoline_kernelINS0_14default_configENS1_21merge_config_selectorINS0_5tupleIJyyEEENS0_10empty_typeEEEZNS1_10merge_implIS3_NS0_12zip_iteratorINS5_IJN6thrust23THRUST_200600_302600_NS6detail15normal_iteratorINSC_10device_ptrIKyEEEESI_EEEEESK_NSA_INS5_IJNSE_INSF_IyEEEESM_EEEEEPS7_SP_SP_NSC_11hip_rocprim7__merge17predicate_wrapperIyyNSC_4lessIyEEEEEE10hipError_tPvRmT0_T1_T2_T3_T4_T5_mmT6_P12ihipStream_tbEUlT_E0_NS1_11comp_targetILNS1_3genE0ELNS1_11target_archE4294967295ELNS1_3gpuE0ELNS1_3repE0EEENS1_30default_config_static_selectorELNS0_4arch9wavefront6targetE0EEEvS10_: ; @_ZN7rocprim17ROCPRIM_400000_NS6detail17trampoline_kernelINS0_14default_configENS1_21merge_config_selectorINS0_5tupleIJyyEEENS0_10empty_typeEEEZNS1_10merge_implIS3_NS0_12zip_iteratorINS5_IJN6thrust23THRUST_200600_302600_NS6detail15normal_iteratorINSC_10device_ptrIKyEEEESI_EEEEESK_NSA_INS5_IJNSE_INSF_IyEEEESM_EEEEEPS7_SP_SP_NSC_11hip_rocprim7__merge17predicate_wrapperIyyNSC_4lessIyEEEEEE10hipError_tPvRmT0_T1_T2_T3_T4_T5_mmT6_P12ihipStream_tbEUlT_E0_NS1_11comp_targetILNS1_3genE0ELNS1_11target_archE4294967295ELNS1_3gpuE0ELNS1_3repE0EEENS1_30default_config_static_selectorELNS0_4arch9wavefront6targetE0EEEvS10_
; %bb.0:
	.section	.rodata,"a",@progbits
	.p2align	6, 0x0
	.amdhsa_kernel _ZN7rocprim17ROCPRIM_400000_NS6detail17trampoline_kernelINS0_14default_configENS1_21merge_config_selectorINS0_5tupleIJyyEEENS0_10empty_typeEEEZNS1_10merge_implIS3_NS0_12zip_iteratorINS5_IJN6thrust23THRUST_200600_302600_NS6detail15normal_iteratorINSC_10device_ptrIKyEEEESI_EEEEESK_NSA_INS5_IJNSE_INSF_IyEEEESM_EEEEEPS7_SP_SP_NSC_11hip_rocprim7__merge17predicate_wrapperIyyNSC_4lessIyEEEEEE10hipError_tPvRmT0_T1_T2_T3_T4_T5_mmT6_P12ihipStream_tbEUlT_E0_NS1_11comp_targetILNS1_3genE0ELNS1_11target_archE4294967295ELNS1_3gpuE0ELNS1_3repE0EEENS1_30default_config_static_selectorELNS0_4arch9wavefront6targetE0EEEvS10_
		.amdhsa_group_segment_fixed_size 0
		.amdhsa_private_segment_fixed_size 0
		.amdhsa_kernarg_size 112
		.amdhsa_user_sgpr_count 6
		.amdhsa_user_sgpr_private_segment_buffer 1
		.amdhsa_user_sgpr_dispatch_ptr 0
		.amdhsa_user_sgpr_queue_ptr 0
		.amdhsa_user_sgpr_kernarg_segment_ptr 1
		.amdhsa_user_sgpr_dispatch_id 0
		.amdhsa_user_sgpr_flat_scratch_init 0
		.amdhsa_user_sgpr_private_segment_size 0
		.amdhsa_wavefront_size32 1
		.amdhsa_uses_dynamic_stack 0
		.amdhsa_system_sgpr_private_segment_wavefront_offset 0
		.amdhsa_system_sgpr_workgroup_id_x 1
		.amdhsa_system_sgpr_workgroup_id_y 0
		.amdhsa_system_sgpr_workgroup_id_z 0
		.amdhsa_system_sgpr_workgroup_info 0
		.amdhsa_system_vgpr_workitem_id 0
		.amdhsa_next_free_vgpr 1
		.amdhsa_next_free_sgpr 1
		.amdhsa_reserve_vcc 0
		.amdhsa_reserve_flat_scratch 0
		.amdhsa_float_round_mode_32 0
		.amdhsa_float_round_mode_16_64 0
		.amdhsa_float_denorm_mode_32 3
		.amdhsa_float_denorm_mode_16_64 3
		.amdhsa_dx10_clamp 1
		.amdhsa_ieee_mode 1
		.amdhsa_fp16_overflow 0
		.amdhsa_workgroup_processor_mode 1
		.amdhsa_memory_ordered 1
		.amdhsa_forward_progress 1
		.amdhsa_shared_vgpr_count 0
		.amdhsa_exception_fp_ieee_invalid_op 0
		.amdhsa_exception_fp_denorm_src 0
		.amdhsa_exception_fp_ieee_div_zero 0
		.amdhsa_exception_fp_ieee_overflow 0
		.amdhsa_exception_fp_ieee_underflow 0
		.amdhsa_exception_fp_ieee_inexact 0
		.amdhsa_exception_int_div_zero 0
	.end_amdhsa_kernel
	.section	.text._ZN7rocprim17ROCPRIM_400000_NS6detail17trampoline_kernelINS0_14default_configENS1_21merge_config_selectorINS0_5tupleIJyyEEENS0_10empty_typeEEEZNS1_10merge_implIS3_NS0_12zip_iteratorINS5_IJN6thrust23THRUST_200600_302600_NS6detail15normal_iteratorINSC_10device_ptrIKyEEEESI_EEEEESK_NSA_INS5_IJNSE_INSF_IyEEEESM_EEEEEPS7_SP_SP_NSC_11hip_rocprim7__merge17predicate_wrapperIyyNSC_4lessIyEEEEEE10hipError_tPvRmT0_T1_T2_T3_T4_T5_mmT6_P12ihipStream_tbEUlT_E0_NS1_11comp_targetILNS1_3genE0ELNS1_11target_archE4294967295ELNS1_3gpuE0ELNS1_3repE0EEENS1_30default_config_static_selectorELNS0_4arch9wavefront6targetE0EEEvS10_,"axG",@progbits,_ZN7rocprim17ROCPRIM_400000_NS6detail17trampoline_kernelINS0_14default_configENS1_21merge_config_selectorINS0_5tupleIJyyEEENS0_10empty_typeEEEZNS1_10merge_implIS3_NS0_12zip_iteratorINS5_IJN6thrust23THRUST_200600_302600_NS6detail15normal_iteratorINSC_10device_ptrIKyEEEESI_EEEEESK_NSA_INS5_IJNSE_INSF_IyEEEESM_EEEEEPS7_SP_SP_NSC_11hip_rocprim7__merge17predicate_wrapperIyyNSC_4lessIyEEEEEE10hipError_tPvRmT0_T1_T2_T3_T4_T5_mmT6_P12ihipStream_tbEUlT_E0_NS1_11comp_targetILNS1_3genE0ELNS1_11target_archE4294967295ELNS1_3gpuE0ELNS1_3repE0EEENS1_30default_config_static_selectorELNS0_4arch9wavefront6targetE0EEEvS10_,comdat
.Lfunc_end105:
	.size	_ZN7rocprim17ROCPRIM_400000_NS6detail17trampoline_kernelINS0_14default_configENS1_21merge_config_selectorINS0_5tupleIJyyEEENS0_10empty_typeEEEZNS1_10merge_implIS3_NS0_12zip_iteratorINS5_IJN6thrust23THRUST_200600_302600_NS6detail15normal_iteratorINSC_10device_ptrIKyEEEESI_EEEEESK_NSA_INS5_IJNSE_INSF_IyEEEESM_EEEEEPS7_SP_SP_NSC_11hip_rocprim7__merge17predicate_wrapperIyyNSC_4lessIyEEEEEE10hipError_tPvRmT0_T1_T2_T3_T4_T5_mmT6_P12ihipStream_tbEUlT_E0_NS1_11comp_targetILNS1_3genE0ELNS1_11target_archE4294967295ELNS1_3gpuE0ELNS1_3repE0EEENS1_30default_config_static_selectorELNS0_4arch9wavefront6targetE0EEEvS10_, .Lfunc_end105-_ZN7rocprim17ROCPRIM_400000_NS6detail17trampoline_kernelINS0_14default_configENS1_21merge_config_selectorINS0_5tupleIJyyEEENS0_10empty_typeEEEZNS1_10merge_implIS3_NS0_12zip_iteratorINS5_IJN6thrust23THRUST_200600_302600_NS6detail15normal_iteratorINSC_10device_ptrIKyEEEESI_EEEEESK_NSA_INS5_IJNSE_INSF_IyEEEESM_EEEEEPS7_SP_SP_NSC_11hip_rocprim7__merge17predicate_wrapperIyyNSC_4lessIyEEEEEE10hipError_tPvRmT0_T1_T2_T3_T4_T5_mmT6_P12ihipStream_tbEUlT_E0_NS1_11comp_targetILNS1_3genE0ELNS1_11target_archE4294967295ELNS1_3gpuE0ELNS1_3repE0EEENS1_30default_config_static_selectorELNS0_4arch9wavefront6targetE0EEEvS10_
                                        ; -- End function
	.set _ZN7rocprim17ROCPRIM_400000_NS6detail17trampoline_kernelINS0_14default_configENS1_21merge_config_selectorINS0_5tupleIJyyEEENS0_10empty_typeEEEZNS1_10merge_implIS3_NS0_12zip_iteratorINS5_IJN6thrust23THRUST_200600_302600_NS6detail15normal_iteratorINSC_10device_ptrIKyEEEESI_EEEEESK_NSA_INS5_IJNSE_INSF_IyEEEESM_EEEEEPS7_SP_SP_NSC_11hip_rocprim7__merge17predicate_wrapperIyyNSC_4lessIyEEEEEE10hipError_tPvRmT0_T1_T2_T3_T4_T5_mmT6_P12ihipStream_tbEUlT_E0_NS1_11comp_targetILNS1_3genE0ELNS1_11target_archE4294967295ELNS1_3gpuE0ELNS1_3repE0EEENS1_30default_config_static_selectorELNS0_4arch9wavefront6targetE0EEEvS10_.num_vgpr, 0
	.set _ZN7rocprim17ROCPRIM_400000_NS6detail17trampoline_kernelINS0_14default_configENS1_21merge_config_selectorINS0_5tupleIJyyEEENS0_10empty_typeEEEZNS1_10merge_implIS3_NS0_12zip_iteratorINS5_IJN6thrust23THRUST_200600_302600_NS6detail15normal_iteratorINSC_10device_ptrIKyEEEESI_EEEEESK_NSA_INS5_IJNSE_INSF_IyEEEESM_EEEEEPS7_SP_SP_NSC_11hip_rocprim7__merge17predicate_wrapperIyyNSC_4lessIyEEEEEE10hipError_tPvRmT0_T1_T2_T3_T4_T5_mmT6_P12ihipStream_tbEUlT_E0_NS1_11comp_targetILNS1_3genE0ELNS1_11target_archE4294967295ELNS1_3gpuE0ELNS1_3repE0EEENS1_30default_config_static_selectorELNS0_4arch9wavefront6targetE0EEEvS10_.num_agpr, 0
	.set _ZN7rocprim17ROCPRIM_400000_NS6detail17trampoline_kernelINS0_14default_configENS1_21merge_config_selectorINS0_5tupleIJyyEEENS0_10empty_typeEEEZNS1_10merge_implIS3_NS0_12zip_iteratorINS5_IJN6thrust23THRUST_200600_302600_NS6detail15normal_iteratorINSC_10device_ptrIKyEEEESI_EEEEESK_NSA_INS5_IJNSE_INSF_IyEEEESM_EEEEEPS7_SP_SP_NSC_11hip_rocprim7__merge17predicate_wrapperIyyNSC_4lessIyEEEEEE10hipError_tPvRmT0_T1_T2_T3_T4_T5_mmT6_P12ihipStream_tbEUlT_E0_NS1_11comp_targetILNS1_3genE0ELNS1_11target_archE4294967295ELNS1_3gpuE0ELNS1_3repE0EEENS1_30default_config_static_selectorELNS0_4arch9wavefront6targetE0EEEvS10_.numbered_sgpr, 0
	.set _ZN7rocprim17ROCPRIM_400000_NS6detail17trampoline_kernelINS0_14default_configENS1_21merge_config_selectorINS0_5tupleIJyyEEENS0_10empty_typeEEEZNS1_10merge_implIS3_NS0_12zip_iteratorINS5_IJN6thrust23THRUST_200600_302600_NS6detail15normal_iteratorINSC_10device_ptrIKyEEEESI_EEEEESK_NSA_INS5_IJNSE_INSF_IyEEEESM_EEEEEPS7_SP_SP_NSC_11hip_rocprim7__merge17predicate_wrapperIyyNSC_4lessIyEEEEEE10hipError_tPvRmT0_T1_T2_T3_T4_T5_mmT6_P12ihipStream_tbEUlT_E0_NS1_11comp_targetILNS1_3genE0ELNS1_11target_archE4294967295ELNS1_3gpuE0ELNS1_3repE0EEENS1_30default_config_static_selectorELNS0_4arch9wavefront6targetE0EEEvS10_.num_named_barrier, 0
	.set _ZN7rocprim17ROCPRIM_400000_NS6detail17trampoline_kernelINS0_14default_configENS1_21merge_config_selectorINS0_5tupleIJyyEEENS0_10empty_typeEEEZNS1_10merge_implIS3_NS0_12zip_iteratorINS5_IJN6thrust23THRUST_200600_302600_NS6detail15normal_iteratorINSC_10device_ptrIKyEEEESI_EEEEESK_NSA_INS5_IJNSE_INSF_IyEEEESM_EEEEEPS7_SP_SP_NSC_11hip_rocprim7__merge17predicate_wrapperIyyNSC_4lessIyEEEEEE10hipError_tPvRmT0_T1_T2_T3_T4_T5_mmT6_P12ihipStream_tbEUlT_E0_NS1_11comp_targetILNS1_3genE0ELNS1_11target_archE4294967295ELNS1_3gpuE0ELNS1_3repE0EEENS1_30default_config_static_selectorELNS0_4arch9wavefront6targetE0EEEvS10_.private_seg_size, 0
	.set _ZN7rocprim17ROCPRIM_400000_NS6detail17trampoline_kernelINS0_14default_configENS1_21merge_config_selectorINS0_5tupleIJyyEEENS0_10empty_typeEEEZNS1_10merge_implIS3_NS0_12zip_iteratorINS5_IJN6thrust23THRUST_200600_302600_NS6detail15normal_iteratorINSC_10device_ptrIKyEEEESI_EEEEESK_NSA_INS5_IJNSE_INSF_IyEEEESM_EEEEEPS7_SP_SP_NSC_11hip_rocprim7__merge17predicate_wrapperIyyNSC_4lessIyEEEEEE10hipError_tPvRmT0_T1_T2_T3_T4_T5_mmT6_P12ihipStream_tbEUlT_E0_NS1_11comp_targetILNS1_3genE0ELNS1_11target_archE4294967295ELNS1_3gpuE0ELNS1_3repE0EEENS1_30default_config_static_selectorELNS0_4arch9wavefront6targetE0EEEvS10_.uses_vcc, 0
	.set _ZN7rocprim17ROCPRIM_400000_NS6detail17trampoline_kernelINS0_14default_configENS1_21merge_config_selectorINS0_5tupleIJyyEEENS0_10empty_typeEEEZNS1_10merge_implIS3_NS0_12zip_iteratorINS5_IJN6thrust23THRUST_200600_302600_NS6detail15normal_iteratorINSC_10device_ptrIKyEEEESI_EEEEESK_NSA_INS5_IJNSE_INSF_IyEEEESM_EEEEEPS7_SP_SP_NSC_11hip_rocprim7__merge17predicate_wrapperIyyNSC_4lessIyEEEEEE10hipError_tPvRmT0_T1_T2_T3_T4_T5_mmT6_P12ihipStream_tbEUlT_E0_NS1_11comp_targetILNS1_3genE0ELNS1_11target_archE4294967295ELNS1_3gpuE0ELNS1_3repE0EEENS1_30default_config_static_selectorELNS0_4arch9wavefront6targetE0EEEvS10_.uses_flat_scratch, 0
	.set _ZN7rocprim17ROCPRIM_400000_NS6detail17trampoline_kernelINS0_14default_configENS1_21merge_config_selectorINS0_5tupleIJyyEEENS0_10empty_typeEEEZNS1_10merge_implIS3_NS0_12zip_iteratorINS5_IJN6thrust23THRUST_200600_302600_NS6detail15normal_iteratorINSC_10device_ptrIKyEEEESI_EEEEESK_NSA_INS5_IJNSE_INSF_IyEEEESM_EEEEEPS7_SP_SP_NSC_11hip_rocprim7__merge17predicate_wrapperIyyNSC_4lessIyEEEEEE10hipError_tPvRmT0_T1_T2_T3_T4_T5_mmT6_P12ihipStream_tbEUlT_E0_NS1_11comp_targetILNS1_3genE0ELNS1_11target_archE4294967295ELNS1_3gpuE0ELNS1_3repE0EEENS1_30default_config_static_selectorELNS0_4arch9wavefront6targetE0EEEvS10_.has_dyn_sized_stack, 0
	.set _ZN7rocprim17ROCPRIM_400000_NS6detail17trampoline_kernelINS0_14default_configENS1_21merge_config_selectorINS0_5tupleIJyyEEENS0_10empty_typeEEEZNS1_10merge_implIS3_NS0_12zip_iteratorINS5_IJN6thrust23THRUST_200600_302600_NS6detail15normal_iteratorINSC_10device_ptrIKyEEEESI_EEEEESK_NSA_INS5_IJNSE_INSF_IyEEEESM_EEEEEPS7_SP_SP_NSC_11hip_rocprim7__merge17predicate_wrapperIyyNSC_4lessIyEEEEEE10hipError_tPvRmT0_T1_T2_T3_T4_T5_mmT6_P12ihipStream_tbEUlT_E0_NS1_11comp_targetILNS1_3genE0ELNS1_11target_archE4294967295ELNS1_3gpuE0ELNS1_3repE0EEENS1_30default_config_static_selectorELNS0_4arch9wavefront6targetE0EEEvS10_.has_recursion, 0
	.set _ZN7rocprim17ROCPRIM_400000_NS6detail17trampoline_kernelINS0_14default_configENS1_21merge_config_selectorINS0_5tupleIJyyEEENS0_10empty_typeEEEZNS1_10merge_implIS3_NS0_12zip_iteratorINS5_IJN6thrust23THRUST_200600_302600_NS6detail15normal_iteratorINSC_10device_ptrIKyEEEESI_EEEEESK_NSA_INS5_IJNSE_INSF_IyEEEESM_EEEEEPS7_SP_SP_NSC_11hip_rocprim7__merge17predicate_wrapperIyyNSC_4lessIyEEEEEE10hipError_tPvRmT0_T1_T2_T3_T4_T5_mmT6_P12ihipStream_tbEUlT_E0_NS1_11comp_targetILNS1_3genE0ELNS1_11target_archE4294967295ELNS1_3gpuE0ELNS1_3repE0EEENS1_30default_config_static_selectorELNS0_4arch9wavefront6targetE0EEEvS10_.has_indirect_call, 0
	.section	.AMDGPU.csdata,"",@progbits
; Kernel info:
; codeLenInByte = 0
; TotalNumSgprs: 0
; NumVgprs: 0
; ScratchSize: 0
; MemoryBound: 0
; FloatMode: 240
; IeeeMode: 1
; LDSByteSize: 0 bytes/workgroup (compile time only)
; SGPRBlocks: 0
; VGPRBlocks: 0
; NumSGPRsForWavesPerEU: 1
; NumVGPRsForWavesPerEU: 1
; Occupancy: 16
; WaveLimiterHint : 0
; COMPUTE_PGM_RSRC2:SCRATCH_EN: 0
; COMPUTE_PGM_RSRC2:USER_SGPR: 6
; COMPUTE_PGM_RSRC2:TRAP_HANDLER: 0
; COMPUTE_PGM_RSRC2:TGID_X_EN: 1
; COMPUTE_PGM_RSRC2:TGID_Y_EN: 0
; COMPUTE_PGM_RSRC2:TGID_Z_EN: 0
; COMPUTE_PGM_RSRC2:TIDIG_COMP_CNT: 0
	.section	.text._ZN7rocprim17ROCPRIM_400000_NS6detail17trampoline_kernelINS0_14default_configENS1_21merge_config_selectorINS0_5tupleIJyyEEENS0_10empty_typeEEEZNS1_10merge_implIS3_NS0_12zip_iteratorINS5_IJN6thrust23THRUST_200600_302600_NS6detail15normal_iteratorINSC_10device_ptrIKyEEEESI_EEEEESK_NSA_INS5_IJNSE_INSF_IyEEEESM_EEEEEPS7_SP_SP_NSC_11hip_rocprim7__merge17predicate_wrapperIyyNSC_4lessIyEEEEEE10hipError_tPvRmT0_T1_T2_T3_T4_T5_mmT6_P12ihipStream_tbEUlT_E0_NS1_11comp_targetILNS1_3genE5ELNS1_11target_archE942ELNS1_3gpuE9ELNS1_3repE0EEENS1_30default_config_static_selectorELNS0_4arch9wavefront6targetE0EEEvS10_,"axG",@progbits,_ZN7rocprim17ROCPRIM_400000_NS6detail17trampoline_kernelINS0_14default_configENS1_21merge_config_selectorINS0_5tupleIJyyEEENS0_10empty_typeEEEZNS1_10merge_implIS3_NS0_12zip_iteratorINS5_IJN6thrust23THRUST_200600_302600_NS6detail15normal_iteratorINSC_10device_ptrIKyEEEESI_EEEEESK_NSA_INS5_IJNSE_INSF_IyEEEESM_EEEEEPS7_SP_SP_NSC_11hip_rocprim7__merge17predicate_wrapperIyyNSC_4lessIyEEEEEE10hipError_tPvRmT0_T1_T2_T3_T4_T5_mmT6_P12ihipStream_tbEUlT_E0_NS1_11comp_targetILNS1_3genE5ELNS1_11target_archE942ELNS1_3gpuE9ELNS1_3repE0EEENS1_30default_config_static_selectorELNS0_4arch9wavefront6targetE0EEEvS10_,comdat
	.protected	_ZN7rocprim17ROCPRIM_400000_NS6detail17trampoline_kernelINS0_14default_configENS1_21merge_config_selectorINS0_5tupleIJyyEEENS0_10empty_typeEEEZNS1_10merge_implIS3_NS0_12zip_iteratorINS5_IJN6thrust23THRUST_200600_302600_NS6detail15normal_iteratorINSC_10device_ptrIKyEEEESI_EEEEESK_NSA_INS5_IJNSE_INSF_IyEEEESM_EEEEEPS7_SP_SP_NSC_11hip_rocprim7__merge17predicate_wrapperIyyNSC_4lessIyEEEEEE10hipError_tPvRmT0_T1_T2_T3_T4_T5_mmT6_P12ihipStream_tbEUlT_E0_NS1_11comp_targetILNS1_3genE5ELNS1_11target_archE942ELNS1_3gpuE9ELNS1_3repE0EEENS1_30default_config_static_selectorELNS0_4arch9wavefront6targetE0EEEvS10_ ; -- Begin function _ZN7rocprim17ROCPRIM_400000_NS6detail17trampoline_kernelINS0_14default_configENS1_21merge_config_selectorINS0_5tupleIJyyEEENS0_10empty_typeEEEZNS1_10merge_implIS3_NS0_12zip_iteratorINS5_IJN6thrust23THRUST_200600_302600_NS6detail15normal_iteratorINSC_10device_ptrIKyEEEESI_EEEEESK_NSA_INS5_IJNSE_INSF_IyEEEESM_EEEEEPS7_SP_SP_NSC_11hip_rocprim7__merge17predicate_wrapperIyyNSC_4lessIyEEEEEE10hipError_tPvRmT0_T1_T2_T3_T4_T5_mmT6_P12ihipStream_tbEUlT_E0_NS1_11comp_targetILNS1_3genE5ELNS1_11target_archE942ELNS1_3gpuE9ELNS1_3repE0EEENS1_30default_config_static_selectorELNS0_4arch9wavefront6targetE0EEEvS10_
	.globl	_ZN7rocprim17ROCPRIM_400000_NS6detail17trampoline_kernelINS0_14default_configENS1_21merge_config_selectorINS0_5tupleIJyyEEENS0_10empty_typeEEEZNS1_10merge_implIS3_NS0_12zip_iteratorINS5_IJN6thrust23THRUST_200600_302600_NS6detail15normal_iteratorINSC_10device_ptrIKyEEEESI_EEEEESK_NSA_INS5_IJNSE_INSF_IyEEEESM_EEEEEPS7_SP_SP_NSC_11hip_rocprim7__merge17predicate_wrapperIyyNSC_4lessIyEEEEEE10hipError_tPvRmT0_T1_T2_T3_T4_T5_mmT6_P12ihipStream_tbEUlT_E0_NS1_11comp_targetILNS1_3genE5ELNS1_11target_archE942ELNS1_3gpuE9ELNS1_3repE0EEENS1_30default_config_static_selectorELNS0_4arch9wavefront6targetE0EEEvS10_
	.p2align	8
	.type	_ZN7rocprim17ROCPRIM_400000_NS6detail17trampoline_kernelINS0_14default_configENS1_21merge_config_selectorINS0_5tupleIJyyEEENS0_10empty_typeEEEZNS1_10merge_implIS3_NS0_12zip_iteratorINS5_IJN6thrust23THRUST_200600_302600_NS6detail15normal_iteratorINSC_10device_ptrIKyEEEESI_EEEEESK_NSA_INS5_IJNSE_INSF_IyEEEESM_EEEEEPS7_SP_SP_NSC_11hip_rocprim7__merge17predicate_wrapperIyyNSC_4lessIyEEEEEE10hipError_tPvRmT0_T1_T2_T3_T4_T5_mmT6_P12ihipStream_tbEUlT_E0_NS1_11comp_targetILNS1_3genE5ELNS1_11target_archE942ELNS1_3gpuE9ELNS1_3repE0EEENS1_30default_config_static_selectorELNS0_4arch9wavefront6targetE0EEEvS10_,@function
_ZN7rocprim17ROCPRIM_400000_NS6detail17trampoline_kernelINS0_14default_configENS1_21merge_config_selectorINS0_5tupleIJyyEEENS0_10empty_typeEEEZNS1_10merge_implIS3_NS0_12zip_iteratorINS5_IJN6thrust23THRUST_200600_302600_NS6detail15normal_iteratorINSC_10device_ptrIKyEEEESI_EEEEESK_NSA_INS5_IJNSE_INSF_IyEEEESM_EEEEEPS7_SP_SP_NSC_11hip_rocprim7__merge17predicate_wrapperIyyNSC_4lessIyEEEEEE10hipError_tPvRmT0_T1_T2_T3_T4_T5_mmT6_P12ihipStream_tbEUlT_E0_NS1_11comp_targetILNS1_3genE5ELNS1_11target_archE942ELNS1_3gpuE9ELNS1_3repE0EEENS1_30default_config_static_selectorELNS0_4arch9wavefront6targetE0EEEvS10_: ; @_ZN7rocprim17ROCPRIM_400000_NS6detail17trampoline_kernelINS0_14default_configENS1_21merge_config_selectorINS0_5tupleIJyyEEENS0_10empty_typeEEEZNS1_10merge_implIS3_NS0_12zip_iteratorINS5_IJN6thrust23THRUST_200600_302600_NS6detail15normal_iteratorINSC_10device_ptrIKyEEEESI_EEEEESK_NSA_INS5_IJNSE_INSF_IyEEEESM_EEEEEPS7_SP_SP_NSC_11hip_rocprim7__merge17predicate_wrapperIyyNSC_4lessIyEEEEEE10hipError_tPvRmT0_T1_T2_T3_T4_T5_mmT6_P12ihipStream_tbEUlT_E0_NS1_11comp_targetILNS1_3genE5ELNS1_11target_archE942ELNS1_3gpuE9ELNS1_3repE0EEENS1_30default_config_static_selectorELNS0_4arch9wavefront6targetE0EEEvS10_
; %bb.0:
	.section	.rodata,"a",@progbits
	.p2align	6, 0x0
	.amdhsa_kernel _ZN7rocprim17ROCPRIM_400000_NS6detail17trampoline_kernelINS0_14default_configENS1_21merge_config_selectorINS0_5tupleIJyyEEENS0_10empty_typeEEEZNS1_10merge_implIS3_NS0_12zip_iteratorINS5_IJN6thrust23THRUST_200600_302600_NS6detail15normal_iteratorINSC_10device_ptrIKyEEEESI_EEEEESK_NSA_INS5_IJNSE_INSF_IyEEEESM_EEEEEPS7_SP_SP_NSC_11hip_rocprim7__merge17predicate_wrapperIyyNSC_4lessIyEEEEEE10hipError_tPvRmT0_T1_T2_T3_T4_T5_mmT6_P12ihipStream_tbEUlT_E0_NS1_11comp_targetILNS1_3genE5ELNS1_11target_archE942ELNS1_3gpuE9ELNS1_3repE0EEENS1_30default_config_static_selectorELNS0_4arch9wavefront6targetE0EEEvS10_
		.amdhsa_group_segment_fixed_size 0
		.amdhsa_private_segment_fixed_size 0
		.amdhsa_kernarg_size 112
		.amdhsa_user_sgpr_count 6
		.amdhsa_user_sgpr_private_segment_buffer 1
		.amdhsa_user_sgpr_dispatch_ptr 0
		.amdhsa_user_sgpr_queue_ptr 0
		.amdhsa_user_sgpr_kernarg_segment_ptr 1
		.amdhsa_user_sgpr_dispatch_id 0
		.amdhsa_user_sgpr_flat_scratch_init 0
		.amdhsa_user_sgpr_private_segment_size 0
		.amdhsa_wavefront_size32 1
		.amdhsa_uses_dynamic_stack 0
		.amdhsa_system_sgpr_private_segment_wavefront_offset 0
		.amdhsa_system_sgpr_workgroup_id_x 1
		.amdhsa_system_sgpr_workgroup_id_y 0
		.amdhsa_system_sgpr_workgroup_id_z 0
		.amdhsa_system_sgpr_workgroup_info 0
		.amdhsa_system_vgpr_workitem_id 0
		.amdhsa_next_free_vgpr 1
		.amdhsa_next_free_sgpr 1
		.amdhsa_reserve_vcc 0
		.amdhsa_reserve_flat_scratch 0
		.amdhsa_float_round_mode_32 0
		.amdhsa_float_round_mode_16_64 0
		.amdhsa_float_denorm_mode_32 3
		.amdhsa_float_denorm_mode_16_64 3
		.amdhsa_dx10_clamp 1
		.amdhsa_ieee_mode 1
		.amdhsa_fp16_overflow 0
		.amdhsa_workgroup_processor_mode 1
		.amdhsa_memory_ordered 1
		.amdhsa_forward_progress 1
		.amdhsa_shared_vgpr_count 0
		.amdhsa_exception_fp_ieee_invalid_op 0
		.amdhsa_exception_fp_denorm_src 0
		.amdhsa_exception_fp_ieee_div_zero 0
		.amdhsa_exception_fp_ieee_overflow 0
		.amdhsa_exception_fp_ieee_underflow 0
		.amdhsa_exception_fp_ieee_inexact 0
		.amdhsa_exception_int_div_zero 0
	.end_amdhsa_kernel
	.section	.text._ZN7rocprim17ROCPRIM_400000_NS6detail17trampoline_kernelINS0_14default_configENS1_21merge_config_selectorINS0_5tupleIJyyEEENS0_10empty_typeEEEZNS1_10merge_implIS3_NS0_12zip_iteratorINS5_IJN6thrust23THRUST_200600_302600_NS6detail15normal_iteratorINSC_10device_ptrIKyEEEESI_EEEEESK_NSA_INS5_IJNSE_INSF_IyEEEESM_EEEEEPS7_SP_SP_NSC_11hip_rocprim7__merge17predicate_wrapperIyyNSC_4lessIyEEEEEE10hipError_tPvRmT0_T1_T2_T3_T4_T5_mmT6_P12ihipStream_tbEUlT_E0_NS1_11comp_targetILNS1_3genE5ELNS1_11target_archE942ELNS1_3gpuE9ELNS1_3repE0EEENS1_30default_config_static_selectorELNS0_4arch9wavefront6targetE0EEEvS10_,"axG",@progbits,_ZN7rocprim17ROCPRIM_400000_NS6detail17trampoline_kernelINS0_14default_configENS1_21merge_config_selectorINS0_5tupleIJyyEEENS0_10empty_typeEEEZNS1_10merge_implIS3_NS0_12zip_iteratorINS5_IJN6thrust23THRUST_200600_302600_NS6detail15normal_iteratorINSC_10device_ptrIKyEEEESI_EEEEESK_NSA_INS5_IJNSE_INSF_IyEEEESM_EEEEEPS7_SP_SP_NSC_11hip_rocprim7__merge17predicate_wrapperIyyNSC_4lessIyEEEEEE10hipError_tPvRmT0_T1_T2_T3_T4_T5_mmT6_P12ihipStream_tbEUlT_E0_NS1_11comp_targetILNS1_3genE5ELNS1_11target_archE942ELNS1_3gpuE9ELNS1_3repE0EEENS1_30default_config_static_selectorELNS0_4arch9wavefront6targetE0EEEvS10_,comdat
.Lfunc_end106:
	.size	_ZN7rocprim17ROCPRIM_400000_NS6detail17trampoline_kernelINS0_14default_configENS1_21merge_config_selectorINS0_5tupleIJyyEEENS0_10empty_typeEEEZNS1_10merge_implIS3_NS0_12zip_iteratorINS5_IJN6thrust23THRUST_200600_302600_NS6detail15normal_iteratorINSC_10device_ptrIKyEEEESI_EEEEESK_NSA_INS5_IJNSE_INSF_IyEEEESM_EEEEEPS7_SP_SP_NSC_11hip_rocprim7__merge17predicate_wrapperIyyNSC_4lessIyEEEEEE10hipError_tPvRmT0_T1_T2_T3_T4_T5_mmT6_P12ihipStream_tbEUlT_E0_NS1_11comp_targetILNS1_3genE5ELNS1_11target_archE942ELNS1_3gpuE9ELNS1_3repE0EEENS1_30default_config_static_selectorELNS0_4arch9wavefront6targetE0EEEvS10_, .Lfunc_end106-_ZN7rocprim17ROCPRIM_400000_NS6detail17trampoline_kernelINS0_14default_configENS1_21merge_config_selectorINS0_5tupleIJyyEEENS0_10empty_typeEEEZNS1_10merge_implIS3_NS0_12zip_iteratorINS5_IJN6thrust23THRUST_200600_302600_NS6detail15normal_iteratorINSC_10device_ptrIKyEEEESI_EEEEESK_NSA_INS5_IJNSE_INSF_IyEEEESM_EEEEEPS7_SP_SP_NSC_11hip_rocprim7__merge17predicate_wrapperIyyNSC_4lessIyEEEEEE10hipError_tPvRmT0_T1_T2_T3_T4_T5_mmT6_P12ihipStream_tbEUlT_E0_NS1_11comp_targetILNS1_3genE5ELNS1_11target_archE942ELNS1_3gpuE9ELNS1_3repE0EEENS1_30default_config_static_selectorELNS0_4arch9wavefront6targetE0EEEvS10_
                                        ; -- End function
	.set _ZN7rocprim17ROCPRIM_400000_NS6detail17trampoline_kernelINS0_14default_configENS1_21merge_config_selectorINS0_5tupleIJyyEEENS0_10empty_typeEEEZNS1_10merge_implIS3_NS0_12zip_iteratorINS5_IJN6thrust23THRUST_200600_302600_NS6detail15normal_iteratorINSC_10device_ptrIKyEEEESI_EEEEESK_NSA_INS5_IJNSE_INSF_IyEEEESM_EEEEEPS7_SP_SP_NSC_11hip_rocprim7__merge17predicate_wrapperIyyNSC_4lessIyEEEEEE10hipError_tPvRmT0_T1_T2_T3_T4_T5_mmT6_P12ihipStream_tbEUlT_E0_NS1_11comp_targetILNS1_3genE5ELNS1_11target_archE942ELNS1_3gpuE9ELNS1_3repE0EEENS1_30default_config_static_selectorELNS0_4arch9wavefront6targetE0EEEvS10_.num_vgpr, 0
	.set _ZN7rocprim17ROCPRIM_400000_NS6detail17trampoline_kernelINS0_14default_configENS1_21merge_config_selectorINS0_5tupleIJyyEEENS0_10empty_typeEEEZNS1_10merge_implIS3_NS0_12zip_iteratorINS5_IJN6thrust23THRUST_200600_302600_NS6detail15normal_iteratorINSC_10device_ptrIKyEEEESI_EEEEESK_NSA_INS5_IJNSE_INSF_IyEEEESM_EEEEEPS7_SP_SP_NSC_11hip_rocprim7__merge17predicate_wrapperIyyNSC_4lessIyEEEEEE10hipError_tPvRmT0_T1_T2_T3_T4_T5_mmT6_P12ihipStream_tbEUlT_E0_NS1_11comp_targetILNS1_3genE5ELNS1_11target_archE942ELNS1_3gpuE9ELNS1_3repE0EEENS1_30default_config_static_selectorELNS0_4arch9wavefront6targetE0EEEvS10_.num_agpr, 0
	.set _ZN7rocprim17ROCPRIM_400000_NS6detail17trampoline_kernelINS0_14default_configENS1_21merge_config_selectorINS0_5tupleIJyyEEENS0_10empty_typeEEEZNS1_10merge_implIS3_NS0_12zip_iteratorINS5_IJN6thrust23THRUST_200600_302600_NS6detail15normal_iteratorINSC_10device_ptrIKyEEEESI_EEEEESK_NSA_INS5_IJNSE_INSF_IyEEEESM_EEEEEPS7_SP_SP_NSC_11hip_rocprim7__merge17predicate_wrapperIyyNSC_4lessIyEEEEEE10hipError_tPvRmT0_T1_T2_T3_T4_T5_mmT6_P12ihipStream_tbEUlT_E0_NS1_11comp_targetILNS1_3genE5ELNS1_11target_archE942ELNS1_3gpuE9ELNS1_3repE0EEENS1_30default_config_static_selectorELNS0_4arch9wavefront6targetE0EEEvS10_.numbered_sgpr, 0
	.set _ZN7rocprim17ROCPRIM_400000_NS6detail17trampoline_kernelINS0_14default_configENS1_21merge_config_selectorINS0_5tupleIJyyEEENS0_10empty_typeEEEZNS1_10merge_implIS3_NS0_12zip_iteratorINS5_IJN6thrust23THRUST_200600_302600_NS6detail15normal_iteratorINSC_10device_ptrIKyEEEESI_EEEEESK_NSA_INS5_IJNSE_INSF_IyEEEESM_EEEEEPS7_SP_SP_NSC_11hip_rocprim7__merge17predicate_wrapperIyyNSC_4lessIyEEEEEE10hipError_tPvRmT0_T1_T2_T3_T4_T5_mmT6_P12ihipStream_tbEUlT_E0_NS1_11comp_targetILNS1_3genE5ELNS1_11target_archE942ELNS1_3gpuE9ELNS1_3repE0EEENS1_30default_config_static_selectorELNS0_4arch9wavefront6targetE0EEEvS10_.num_named_barrier, 0
	.set _ZN7rocprim17ROCPRIM_400000_NS6detail17trampoline_kernelINS0_14default_configENS1_21merge_config_selectorINS0_5tupleIJyyEEENS0_10empty_typeEEEZNS1_10merge_implIS3_NS0_12zip_iteratorINS5_IJN6thrust23THRUST_200600_302600_NS6detail15normal_iteratorINSC_10device_ptrIKyEEEESI_EEEEESK_NSA_INS5_IJNSE_INSF_IyEEEESM_EEEEEPS7_SP_SP_NSC_11hip_rocprim7__merge17predicate_wrapperIyyNSC_4lessIyEEEEEE10hipError_tPvRmT0_T1_T2_T3_T4_T5_mmT6_P12ihipStream_tbEUlT_E0_NS1_11comp_targetILNS1_3genE5ELNS1_11target_archE942ELNS1_3gpuE9ELNS1_3repE0EEENS1_30default_config_static_selectorELNS0_4arch9wavefront6targetE0EEEvS10_.private_seg_size, 0
	.set _ZN7rocprim17ROCPRIM_400000_NS6detail17trampoline_kernelINS0_14default_configENS1_21merge_config_selectorINS0_5tupleIJyyEEENS0_10empty_typeEEEZNS1_10merge_implIS3_NS0_12zip_iteratorINS5_IJN6thrust23THRUST_200600_302600_NS6detail15normal_iteratorINSC_10device_ptrIKyEEEESI_EEEEESK_NSA_INS5_IJNSE_INSF_IyEEEESM_EEEEEPS7_SP_SP_NSC_11hip_rocprim7__merge17predicate_wrapperIyyNSC_4lessIyEEEEEE10hipError_tPvRmT0_T1_T2_T3_T4_T5_mmT6_P12ihipStream_tbEUlT_E0_NS1_11comp_targetILNS1_3genE5ELNS1_11target_archE942ELNS1_3gpuE9ELNS1_3repE0EEENS1_30default_config_static_selectorELNS0_4arch9wavefront6targetE0EEEvS10_.uses_vcc, 0
	.set _ZN7rocprim17ROCPRIM_400000_NS6detail17trampoline_kernelINS0_14default_configENS1_21merge_config_selectorINS0_5tupleIJyyEEENS0_10empty_typeEEEZNS1_10merge_implIS3_NS0_12zip_iteratorINS5_IJN6thrust23THRUST_200600_302600_NS6detail15normal_iteratorINSC_10device_ptrIKyEEEESI_EEEEESK_NSA_INS5_IJNSE_INSF_IyEEEESM_EEEEEPS7_SP_SP_NSC_11hip_rocprim7__merge17predicate_wrapperIyyNSC_4lessIyEEEEEE10hipError_tPvRmT0_T1_T2_T3_T4_T5_mmT6_P12ihipStream_tbEUlT_E0_NS1_11comp_targetILNS1_3genE5ELNS1_11target_archE942ELNS1_3gpuE9ELNS1_3repE0EEENS1_30default_config_static_selectorELNS0_4arch9wavefront6targetE0EEEvS10_.uses_flat_scratch, 0
	.set _ZN7rocprim17ROCPRIM_400000_NS6detail17trampoline_kernelINS0_14default_configENS1_21merge_config_selectorINS0_5tupleIJyyEEENS0_10empty_typeEEEZNS1_10merge_implIS3_NS0_12zip_iteratorINS5_IJN6thrust23THRUST_200600_302600_NS6detail15normal_iteratorINSC_10device_ptrIKyEEEESI_EEEEESK_NSA_INS5_IJNSE_INSF_IyEEEESM_EEEEEPS7_SP_SP_NSC_11hip_rocprim7__merge17predicate_wrapperIyyNSC_4lessIyEEEEEE10hipError_tPvRmT0_T1_T2_T3_T4_T5_mmT6_P12ihipStream_tbEUlT_E0_NS1_11comp_targetILNS1_3genE5ELNS1_11target_archE942ELNS1_3gpuE9ELNS1_3repE0EEENS1_30default_config_static_selectorELNS0_4arch9wavefront6targetE0EEEvS10_.has_dyn_sized_stack, 0
	.set _ZN7rocprim17ROCPRIM_400000_NS6detail17trampoline_kernelINS0_14default_configENS1_21merge_config_selectorINS0_5tupleIJyyEEENS0_10empty_typeEEEZNS1_10merge_implIS3_NS0_12zip_iteratorINS5_IJN6thrust23THRUST_200600_302600_NS6detail15normal_iteratorINSC_10device_ptrIKyEEEESI_EEEEESK_NSA_INS5_IJNSE_INSF_IyEEEESM_EEEEEPS7_SP_SP_NSC_11hip_rocprim7__merge17predicate_wrapperIyyNSC_4lessIyEEEEEE10hipError_tPvRmT0_T1_T2_T3_T4_T5_mmT6_P12ihipStream_tbEUlT_E0_NS1_11comp_targetILNS1_3genE5ELNS1_11target_archE942ELNS1_3gpuE9ELNS1_3repE0EEENS1_30default_config_static_selectorELNS0_4arch9wavefront6targetE0EEEvS10_.has_recursion, 0
	.set _ZN7rocprim17ROCPRIM_400000_NS6detail17trampoline_kernelINS0_14default_configENS1_21merge_config_selectorINS0_5tupleIJyyEEENS0_10empty_typeEEEZNS1_10merge_implIS3_NS0_12zip_iteratorINS5_IJN6thrust23THRUST_200600_302600_NS6detail15normal_iteratorINSC_10device_ptrIKyEEEESI_EEEEESK_NSA_INS5_IJNSE_INSF_IyEEEESM_EEEEEPS7_SP_SP_NSC_11hip_rocprim7__merge17predicate_wrapperIyyNSC_4lessIyEEEEEE10hipError_tPvRmT0_T1_T2_T3_T4_T5_mmT6_P12ihipStream_tbEUlT_E0_NS1_11comp_targetILNS1_3genE5ELNS1_11target_archE942ELNS1_3gpuE9ELNS1_3repE0EEENS1_30default_config_static_selectorELNS0_4arch9wavefront6targetE0EEEvS10_.has_indirect_call, 0
	.section	.AMDGPU.csdata,"",@progbits
; Kernel info:
; codeLenInByte = 0
; TotalNumSgprs: 0
; NumVgprs: 0
; ScratchSize: 0
; MemoryBound: 0
; FloatMode: 240
; IeeeMode: 1
; LDSByteSize: 0 bytes/workgroup (compile time only)
; SGPRBlocks: 0
; VGPRBlocks: 0
; NumSGPRsForWavesPerEU: 1
; NumVGPRsForWavesPerEU: 1
; Occupancy: 16
; WaveLimiterHint : 0
; COMPUTE_PGM_RSRC2:SCRATCH_EN: 0
; COMPUTE_PGM_RSRC2:USER_SGPR: 6
; COMPUTE_PGM_RSRC2:TRAP_HANDLER: 0
; COMPUTE_PGM_RSRC2:TGID_X_EN: 1
; COMPUTE_PGM_RSRC2:TGID_Y_EN: 0
; COMPUTE_PGM_RSRC2:TGID_Z_EN: 0
; COMPUTE_PGM_RSRC2:TIDIG_COMP_CNT: 0
	.section	.text._ZN7rocprim17ROCPRIM_400000_NS6detail17trampoline_kernelINS0_14default_configENS1_21merge_config_selectorINS0_5tupleIJyyEEENS0_10empty_typeEEEZNS1_10merge_implIS3_NS0_12zip_iteratorINS5_IJN6thrust23THRUST_200600_302600_NS6detail15normal_iteratorINSC_10device_ptrIKyEEEESI_EEEEESK_NSA_INS5_IJNSE_INSF_IyEEEESM_EEEEEPS7_SP_SP_NSC_11hip_rocprim7__merge17predicate_wrapperIyyNSC_4lessIyEEEEEE10hipError_tPvRmT0_T1_T2_T3_T4_T5_mmT6_P12ihipStream_tbEUlT_E0_NS1_11comp_targetILNS1_3genE4ELNS1_11target_archE910ELNS1_3gpuE8ELNS1_3repE0EEENS1_30default_config_static_selectorELNS0_4arch9wavefront6targetE0EEEvS10_,"axG",@progbits,_ZN7rocprim17ROCPRIM_400000_NS6detail17trampoline_kernelINS0_14default_configENS1_21merge_config_selectorINS0_5tupleIJyyEEENS0_10empty_typeEEEZNS1_10merge_implIS3_NS0_12zip_iteratorINS5_IJN6thrust23THRUST_200600_302600_NS6detail15normal_iteratorINSC_10device_ptrIKyEEEESI_EEEEESK_NSA_INS5_IJNSE_INSF_IyEEEESM_EEEEEPS7_SP_SP_NSC_11hip_rocprim7__merge17predicate_wrapperIyyNSC_4lessIyEEEEEE10hipError_tPvRmT0_T1_T2_T3_T4_T5_mmT6_P12ihipStream_tbEUlT_E0_NS1_11comp_targetILNS1_3genE4ELNS1_11target_archE910ELNS1_3gpuE8ELNS1_3repE0EEENS1_30default_config_static_selectorELNS0_4arch9wavefront6targetE0EEEvS10_,comdat
	.protected	_ZN7rocprim17ROCPRIM_400000_NS6detail17trampoline_kernelINS0_14default_configENS1_21merge_config_selectorINS0_5tupleIJyyEEENS0_10empty_typeEEEZNS1_10merge_implIS3_NS0_12zip_iteratorINS5_IJN6thrust23THRUST_200600_302600_NS6detail15normal_iteratorINSC_10device_ptrIKyEEEESI_EEEEESK_NSA_INS5_IJNSE_INSF_IyEEEESM_EEEEEPS7_SP_SP_NSC_11hip_rocprim7__merge17predicate_wrapperIyyNSC_4lessIyEEEEEE10hipError_tPvRmT0_T1_T2_T3_T4_T5_mmT6_P12ihipStream_tbEUlT_E0_NS1_11comp_targetILNS1_3genE4ELNS1_11target_archE910ELNS1_3gpuE8ELNS1_3repE0EEENS1_30default_config_static_selectorELNS0_4arch9wavefront6targetE0EEEvS10_ ; -- Begin function _ZN7rocprim17ROCPRIM_400000_NS6detail17trampoline_kernelINS0_14default_configENS1_21merge_config_selectorINS0_5tupleIJyyEEENS0_10empty_typeEEEZNS1_10merge_implIS3_NS0_12zip_iteratorINS5_IJN6thrust23THRUST_200600_302600_NS6detail15normal_iteratorINSC_10device_ptrIKyEEEESI_EEEEESK_NSA_INS5_IJNSE_INSF_IyEEEESM_EEEEEPS7_SP_SP_NSC_11hip_rocprim7__merge17predicate_wrapperIyyNSC_4lessIyEEEEEE10hipError_tPvRmT0_T1_T2_T3_T4_T5_mmT6_P12ihipStream_tbEUlT_E0_NS1_11comp_targetILNS1_3genE4ELNS1_11target_archE910ELNS1_3gpuE8ELNS1_3repE0EEENS1_30default_config_static_selectorELNS0_4arch9wavefront6targetE0EEEvS10_
	.globl	_ZN7rocprim17ROCPRIM_400000_NS6detail17trampoline_kernelINS0_14default_configENS1_21merge_config_selectorINS0_5tupleIJyyEEENS0_10empty_typeEEEZNS1_10merge_implIS3_NS0_12zip_iteratorINS5_IJN6thrust23THRUST_200600_302600_NS6detail15normal_iteratorINSC_10device_ptrIKyEEEESI_EEEEESK_NSA_INS5_IJNSE_INSF_IyEEEESM_EEEEEPS7_SP_SP_NSC_11hip_rocprim7__merge17predicate_wrapperIyyNSC_4lessIyEEEEEE10hipError_tPvRmT0_T1_T2_T3_T4_T5_mmT6_P12ihipStream_tbEUlT_E0_NS1_11comp_targetILNS1_3genE4ELNS1_11target_archE910ELNS1_3gpuE8ELNS1_3repE0EEENS1_30default_config_static_selectorELNS0_4arch9wavefront6targetE0EEEvS10_
	.p2align	8
	.type	_ZN7rocprim17ROCPRIM_400000_NS6detail17trampoline_kernelINS0_14default_configENS1_21merge_config_selectorINS0_5tupleIJyyEEENS0_10empty_typeEEEZNS1_10merge_implIS3_NS0_12zip_iteratorINS5_IJN6thrust23THRUST_200600_302600_NS6detail15normal_iteratorINSC_10device_ptrIKyEEEESI_EEEEESK_NSA_INS5_IJNSE_INSF_IyEEEESM_EEEEEPS7_SP_SP_NSC_11hip_rocprim7__merge17predicate_wrapperIyyNSC_4lessIyEEEEEE10hipError_tPvRmT0_T1_T2_T3_T4_T5_mmT6_P12ihipStream_tbEUlT_E0_NS1_11comp_targetILNS1_3genE4ELNS1_11target_archE910ELNS1_3gpuE8ELNS1_3repE0EEENS1_30default_config_static_selectorELNS0_4arch9wavefront6targetE0EEEvS10_,@function
_ZN7rocprim17ROCPRIM_400000_NS6detail17trampoline_kernelINS0_14default_configENS1_21merge_config_selectorINS0_5tupleIJyyEEENS0_10empty_typeEEEZNS1_10merge_implIS3_NS0_12zip_iteratorINS5_IJN6thrust23THRUST_200600_302600_NS6detail15normal_iteratorINSC_10device_ptrIKyEEEESI_EEEEESK_NSA_INS5_IJNSE_INSF_IyEEEESM_EEEEEPS7_SP_SP_NSC_11hip_rocprim7__merge17predicate_wrapperIyyNSC_4lessIyEEEEEE10hipError_tPvRmT0_T1_T2_T3_T4_T5_mmT6_P12ihipStream_tbEUlT_E0_NS1_11comp_targetILNS1_3genE4ELNS1_11target_archE910ELNS1_3gpuE8ELNS1_3repE0EEENS1_30default_config_static_selectorELNS0_4arch9wavefront6targetE0EEEvS10_: ; @_ZN7rocprim17ROCPRIM_400000_NS6detail17trampoline_kernelINS0_14default_configENS1_21merge_config_selectorINS0_5tupleIJyyEEENS0_10empty_typeEEEZNS1_10merge_implIS3_NS0_12zip_iteratorINS5_IJN6thrust23THRUST_200600_302600_NS6detail15normal_iteratorINSC_10device_ptrIKyEEEESI_EEEEESK_NSA_INS5_IJNSE_INSF_IyEEEESM_EEEEEPS7_SP_SP_NSC_11hip_rocprim7__merge17predicate_wrapperIyyNSC_4lessIyEEEEEE10hipError_tPvRmT0_T1_T2_T3_T4_T5_mmT6_P12ihipStream_tbEUlT_E0_NS1_11comp_targetILNS1_3genE4ELNS1_11target_archE910ELNS1_3gpuE8ELNS1_3repE0EEENS1_30default_config_static_selectorELNS0_4arch9wavefront6targetE0EEEvS10_
; %bb.0:
	.section	.rodata,"a",@progbits
	.p2align	6, 0x0
	.amdhsa_kernel _ZN7rocprim17ROCPRIM_400000_NS6detail17trampoline_kernelINS0_14default_configENS1_21merge_config_selectorINS0_5tupleIJyyEEENS0_10empty_typeEEEZNS1_10merge_implIS3_NS0_12zip_iteratorINS5_IJN6thrust23THRUST_200600_302600_NS6detail15normal_iteratorINSC_10device_ptrIKyEEEESI_EEEEESK_NSA_INS5_IJNSE_INSF_IyEEEESM_EEEEEPS7_SP_SP_NSC_11hip_rocprim7__merge17predicate_wrapperIyyNSC_4lessIyEEEEEE10hipError_tPvRmT0_T1_T2_T3_T4_T5_mmT6_P12ihipStream_tbEUlT_E0_NS1_11comp_targetILNS1_3genE4ELNS1_11target_archE910ELNS1_3gpuE8ELNS1_3repE0EEENS1_30default_config_static_selectorELNS0_4arch9wavefront6targetE0EEEvS10_
		.amdhsa_group_segment_fixed_size 0
		.amdhsa_private_segment_fixed_size 0
		.amdhsa_kernarg_size 112
		.amdhsa_user_sgpr_count 6
		.amdhsa_user_sgpr_private_segment_buffer 1
		.amdhsa_user_sgpr_dispatch_ptr 0
		.amdhsa_user_sgpr_queue_ptr 0
		.amdhsa_user_sgpr_kernarg_segment_ptr 1
		.amdhsa_user_sgpr_dispatch_id 0
		.amdhsa_user_sgpr_flat_scratch_init 0
		.amdhsa_user_sgpr_private_segment_size 0
		.amdhsa_wavefront_size32 1
		.amdhsa_uses_dynamic_stack 0
		.amdhsa_system_sgpr_private_segment_wavefront_offset 0
		.amdhsa_system_sgpr_workgroup_id_x 1
		.amdhsa_system_sgpr_workgroup_id_y 0
		.amdhsa_system_sgpr_workgroup_id_z 0
		.amdhsa_system_sgpr_workgroup_info 0
		.amdhsa_system_vgpr_workitem_id 0
		.amdhsa_next_free_vgpr 1
		.amdhsa_next_free_sgpr 1
		.amdhsa_reserve_vcc 0
		.amdhsa_reserve_flat_scratch 0
		.amdhsa_float_round_mode_32 0
		.amdhsa_float_round_mode_16_64 0
		.amdhsa_float_denorm_mode_32 3
		.amdhsa_float_denorm_mode_16_64 3
		.amdhsa_dx10_clamp 1
		.amdhsa_ieee_mode 1
		.amdhsa_fp16_overflow 0
		.amdhsa_workgroup_processor_mode 1
		.amdhsa_memory_ordered 1
		.amdhsa_forward_progress 1
		.amdhsa_shared_vgpr_count 0
		.amdhsa_exception_fp_ieee_invalid_op 0
		.amdhsa_exception_fp_denorm_src 0
		.amdhsa_exception_fp_ieee_div_zero 0
		.amdhsa_exception_fp_ieee_overflow 0
		.amdhsa_exception_fp_ieee_underflow 0
		.amdhsa_exception_fp_ieee_inexact 0
		.amdhsa_exception_int_div_zero 0
	.end_amdhsa_kernel
	.section	.text._ZN7rocprim17ROCPRIM_400000_NS6detail17trampoline_kernelINS0_14default_configENS1_21merge_config_selectorINS0_5tupleIJyyEEENS0_10empty_typeEEEZNS1_10merge_implIS3_NS0_12zip_iteratorINS5_IJN6thrust23THRUST_200600_302600_NS6detail15normal_iteratorINSC_10device_ptrIKyEEEESI_EEEEESK_NSA_INS5_IJNSE_INSF_IyEEEESM_EEEEEPS7_SP_SP_NSC_11hip_rocprim7__merge17predicate_wrapperIyyNSC_4lessIyEEEEEE10hipError_tPvRmT0_T1_T2_T3_T4_T5_mmT6_P12ihipStream_tbEUlT_E0_NS1_11comp_targetILNS1_3genE4ELNS1_11target_archE910ELNS1_3gpuE8ELNS1_3repE0EEENS1_30default_config_static_selectorELNS0_4arch9wavefront6targetE0EEEvS10_,"axG",@progbits,_ZN7rocprim17ROCPRIM_400000_NS6detail17trampoline_kernelINS0_14default_configENS1_21merge_config_selectorINS0_5tupleIJyyEEENS0_10empty_typeEEEZNS1_10merge_implIS3_NS0_12zip_iteratorINS5_IJN6thrust23THRUST_200600_302600_NS6detail15normal_iteratorINSC_10device_ptrIKyEEEESI_EEEEESK_NSA_INS5_IJNSE_INSF_IyEEEESM_EEEEEPS7_SP_SP_NSC_11hip_rocprim7__merge17predicate_wrapperIyyNSC_4lessIyEEEEEE10hipError_tPvRmT0_T1_T2_T3_T4_T5_mmT6_P12ihipStream_tbEUlT_E0_NS1_11comp_targetILNS1_3genE4ELNS1_11target_archE910ELNS1_3gpuE8ELNS1_3repE0EEENS1_30default_config_static_selectorELNS0_4arch9wavefront6targetE0EEEvS10_,comdat
.Lfunc_end107:
	.size	_ZN7rocprim17ROCPRIM_400000_NS6detail17trampoline_kernelINS0_14default_configENS1_21merge_config_selectorINS0_5tupleIJyyEEENS0_10empty_typeEEEZNS1_10merge_implIS3_NS0_12zip_iteratorINS5_IJN6thrust23THRUST_200600_302600_NS6detail15normal_iteratorINSC_10device_ptrIKyEEEESI_EEEEESK_NSA_INS5_IJNSE_INSF_IyEEEESM_EEEEEPS7_SP_SP_NSC_11hip_rocprim7__merge17predicate_wrapperIyyNSC_4lessIyEEEEEE10hipError_tPvRmT0_T1_T2_T3_T4_T5_mmT6_P12ihipStream_tbEUlT_E0_NS1_11comp_targetILNS1_3genE4ELNS1_11target_archE910ELNS1_3gpuE8ELNS1_3repE0EEENS1_30default_config_static_selectorELNS0_4arch9wavefront6targetE0EEEvS10_, .Lfunc_end107-_ZN7rocprim17ROCPRIM_400000_NS6detail17trampoline_kernelINS0_14default_configENS1_21merge_config_selectorINS0_5tupleIJyyEEENS0_10empty_typeEEEZNS1_10merge_implIS3_NS0_12zip_iteratorINS5_IJN6thrust23THRUST_200600_302600_NS6detail15normal_iteratorINSC_10device_ptrIKyEEEESI_EEEEESK_NSA_INS5_IJNSE_INSF_IyEEEESM_EEEEEPS7_SP_SP_NSC_11hip_rocprim7__merge17predicate_wrapperIyyNSC_4lessIyEEEEEE10hipError_tPvRmT0_T1_T2_T3_T4_T5_mmT6_P12ihipStream_tbEUlT_E0_NS1_11comp_targetILNS1_3genE4ELNS1_11target_archE910ELNS1_3gpuE8ELNS1_3repE0EEENS1_30default_config_static_selectorELNS0_4arch9wavefront6targetE0EEEvS10_
                                        ; -- End function
	.set _ZN7rocprim17ROCPRIM_400000_NS6detail17trampoline_kernelINS0_14default_configENS1_21merge_config_selectorINS0_5tupleIJyyEEENS0_10empty_typeEEEZNS1_10merge_implIS3_NS0_12zip_iteratorINS5_IJN6thrust23THRUST_200600_302600_NS6detail15normal_iteratorINSC_10device_ptrIKyEEEESI_EEEEESK_NSA_INS5_IJNSE_INSF_IyEEEESM_EEEEEPS7_SP_SP_NSC_11hip_rocprim7__merge17predicate_wrapperIyyNSC_4lessIyEEEEEE10hipError_tPvRmT0_T1_T2_T3_T4_T5_mmT6_P12ihipStream_tbEUlT_E0_NS1_11comp_targetILNS1_3genE4ELNS1_11target_archE910ELNS1_3gpuE8ELNS1_3repE0EEENS1_30default_config_static_selectorELNS0_4arch9wavefront6targetE0EEEvS10_.num_vgpr, 0
	.set _ZN7rocprim17ROCPRIM_400000_NS6detail17trampoline_kernelINS0_14default_configENS1_21merge_config_selectorINS0_5tupleIJyyEEENS0_10empty_typeEEEZNS1_10merge_implIS3_NS0_12zip_iteratorINS5_IJN6thrust23THRUST_200600_302600_NS6detail15normal_iteratorINSC_10device_ptrIKyEEEESI_EEEEESK_NSA_INS5_IJNSE_INSF_IyEEEESM_EEEEEPS7_SP_SP_NSC_11hip_rocprim7__merge17predicate_wrapperIyyNSC_4lessIyEEEEEE10hipError_tPvRmT0_T1_T2_T3_T4_T5_mmT6_P12ihipStream_tbEUlT_E0_NS1_11comp_targetILNS1_3genE4ELNS1_11target_archE910ELNS1_3gpuE8ELNS1_3repE0EEENS1_30default_config_static_selectorELNS0_4arch9wavefront6targetE0EEEvS10_.num_agpr, 0
	.set _ZN7rocprim17ROCPRIM_400000_NS6detail17trampoline_kernelINS0_14default_configENS1_21merge_config_selectorINS0_5tupleIJyyEEENS0_10empty_typeEEEZNS1_10merge_implIS3_NS0_12zip_iteratorINS5_IJN6thrust23THRUST_200600_302600_NS6detail15normal_iteratorINSC_10device_ptrIKyEEEESI_EEEEESK_NSA_INS5_IJNSE_INSF_IyEEEESM_EEEEEPS7_SP_SP_NSC_11hip_rocprim7__merge17predicate_wrapperIyyNSC_4lessIyEEEEEE10hipError_tPvRmT0_T1_T2_T3_T4_T5_mmT6_P12ihipStream_tbEUlT_E0_NS1_11comp_targetILNS1_3genE4ELNS1_11target_archE910ELNS1_3gpuE8ELNS1_3repE0EEENS1_30default_config_static_selectorELNS0_4arch9wavefront6targetE0EEEvS10_.numbered_sgpr, 0
	.set _ZN7rocprim17ROCPRIM_400000_NS6detail17trampoline_kernelINS0_14default_configENS1_21merge_config_selectorINS0_5tupleIJyyEEENS0_10empty_typeEEEZNS1_10merge_implIS3_NS0_12zip_iteratorINS5_IJN6thrust23THRUST_200600_302600_NS6detail15normal_iteratorINSC_10device_ptrIKyEEEESI_EEEEESK_NSA_INS5_IJNSE_INSF_IyEEEESM_EEEEEPS7_SP_SP_NSC_11hip_rocprim7__merge17predicate_wrapperIyyNSC_4lessIyEEEEEE10hipError_tPvRmT0_T1_T2_T3_T4_T5_mmT6_P12ihipStream_tbEUlT_E0_NS1_11comp_targetILNS1_3genE4ELNS1_11target_archE910ELNS1_3gpuE8ELNS1_3repE0EEENS1_30default_config_static_selectorELNS0_4arch9wavefront6targetE0EEEvS10_.num_named_barrier, 0
	.set _ZN7rocprim17ROCPRIM_400000_NS6detail17trampoline_kernelINS0_14default_configENS1_21merge_config_selectorINS0_5tupleIJyyEEENS0_10empty_typeEEEZNS1_10merge_implIS3_NS0_12zip_iteratorINS5_IJN6thrust23THRUST_200600_302600_NS6detail15normal_iteratorINSC_10device_ptrIKyEEEESI_EEEEESK_NSA_INS5_IJNSE_INSF_IyEEEESM_EEEEEPS7_SP_SP_NSC_11hip_rocprim7__merge17predicate_wrapperIyyNSC_4lessIyEEEEEE10hipError_tPvRmT0_T1_T2_T3_T4_T5_mmT6_P12ihipStream_tbEUlT_E0_NS1_11comp_targetILNS1_3genE4ELNS1_11target_archE910ELNS1_3gpuE8ELNS1_3repE0EEENS1_30default_config_static_selectorELNS0_4arch9wavefront6targetE0EEEvS10_.private_seg_size, 0
	.set _ZN7rocprim17ROCPRIM_400000_NS6detail17trampoline_kernelINS0_14default_configENS1_21merge_config_selectorINS0_5tupleIJyyEEENS0_10empty_typeEEEZNS1_10merge_implIS3_NS0_12zip_iteratorINS5_IJN6thrust23THRUST_200600_302600_NS6detail15normal_iteratorINSC_10device_ptrIKyEEEESI_EEEEESK_NSA_INS5_IJNSE_INSF_IyEEEESM_EEEEEPS7_SP_SP_NSC_11hip_rocprim7__merge17predicate_wrapperIyyNSC_4lessIyEEEEEE10hipError_tPvRmT0_T1_T2_T3_T4_T5_mmT6_P12ihipStream_tbEUlT_E0_NS1_11comp_targetILNS1_3genE4ELNS1_11target_archE910ELNS1_3gpuE8ELNS1_3repE0EEENS1_30default_config_static_selectorELNS0_4arch9wavefront6targetE0EEEvS10_.uses_vcc, 0
	.set _ZN7rocprim17ROCPRIM_400000_NS6detail17trampoline_kernelINS0_14default_configENS1_21merge_config_selectorINS0_5tupleIJyyEEENS0_10empty_typeEEEZNS1_10merge_implIS3_NS0_12zip_iteratorINS5_IJN6thrust23THRUST_200600_302600_NS6detail15normal_iteratorINSC_10device_ptrIKyEEEESI_EEEEESK_NSA_INS5_IJNSE_INSF_IyEEEESM_EEEEEPS7_SP_SP_NSC_11hip_rocprim7__merge17predicate_wrapperIyyNSC_4lessIyEEEEEE10hipError_tPvRmT0_T1_T2_T3_T4_T5_mmT6_P12ihipStream_tbEUlT_E0_NS1_11comp_targetILNS1_3genE4ELNS1_11target_archE910ELNS1_3gpuE8ELNS1_3repE0EEENS1_30default_config_static_selectorELNS0_4arch9wavefront6targetE0EEEvS10_.uses_flat_scratch, 0
	.set _ZN7rocprim17ROCPRIM_400000_NS6detail17trampoline_kernelINS0_14default_configENS1_21merge_config_selectorINS0_5tupleIJyyEEENS0_10empty_typeEEEZNS1_10merge_implIS3_NS0_12zip_iteratorINS5_IJN6thrust23THRUST_200600_302600_NS6detail15normal_iteratorINSC_10device_ptrIKyEEEESI_EEEEESK_NSA_INS5_IJNSE_INSF_IyEEEESM_EEEEEPS7_SP_SP_NSC_11hip_rocprim7__merge17predicate_wrapperIyyNSC_4lessIyEEEEEE10hipError_tPvRmT0_T1_T2_T3_T4_T5_mmT6_P12ihipStream_tbEUlT_E0_NS1_11comp_targetILNS1_3genE4ELNS1_11target_archE910ELNS1_3gpuE8ELNS1_3repE0EEENS1_30default_config_static_selectorELNS0_4arch9wavefront6targetE0EEEvS10_.has_dyn_sized_stack, 0
	.set _ZN7rocprim17ROCPRIM_400000_NS6detail17trampoline_kernelINS0_14default_configENS1_21merge_config_selectorINS0_5tupleIJyyEEENS0_10empty_typeEEEZNS1_10merge_implIS3_NS0_12zip_iteratorINS5_IJN6thrust23THRUST_200600_302600_NS6detail15normal_iteratorINSC_10device_ptrIKyEEEESI_EEEEESK_NSA_INS5_IJNSE_INSF_IyEEEESM_EEEEEPS7_SP_SP_NSC_11hip_rocprim7__merge17predicate_wrapperIyyNSC_4lessIyEEEEEE10hipError_tPvRmT0_T1_T2_T3_T4_T5_mmT6_P12ihipStream_tbEUlT_E0_NS1_11comp_targetILNS1_3genE4ELNS1_11target_archE910ELNS1_3gpuE8ELNS1_3repE0EEENS1_30default_config_static_selectorELNS0_4arch9wavefront6targetE0EEEvS10_.has_recursion, 0
	.set _ZN7rocprim17ROCPRIM_400000_NS6detail17trampoline_kernelINS0_14default_configENS1_21merge_config_selectorINS0_5tupleIJyyEEENS0_10empty_typeEEEZNS1_10merge_implIS3_NS0_12zip_iteratorINS5_IJN6thrust23THRUST_200600_302600_NS6detail15normal_iteratorINSC_10device_ptrIKyEEEESI_EEEEESK_NSA_INS5_IJNSE_INSF_IyEEEESM_EEEEEPS7_SP_SP_NSC_11hip_rocprim7__merge17predicate_wrapperIyyNSC_4lessIyEEEEEE10hipError_tPvRmT0_T1_T2_T3_T4_T5_mmT6_P12ihipStream_tbEUlT_E0_NS1_11comp_targetILNS1_3genE4ELNS1_11target_archE910ELNS1_3gpuE8ELNS1_3repE0EEENS1_30default_config_static_selectorELNS0_4arch9wavefront6targetE0EEEvS10_.has_indirect_call, 0
	.section	.AMDGPU.csdata,"",@progbits
; Kernel info:
; codeLenInByte = 0
; TotalNumSgprs: 0
; NumVgprs: 0
; ScratchSize: 0
; MemoryBound: 0
; FloatMode: 240
; IeeeMode: 1
; LDSByteSize: 0 bytes/workgroup (compile time only)
; SGPRBlocks: 0
; VGPRBlocks: 0
; NumSGPRsForWavesPerEU: 1
; NumVGPRsForWavesPerEU: 1
; Occupancy: 16
; WaveLimiterHint : 0
; COMPUTE_PGM_RSRC2:SCRATCH_EN: 0
; COMPUTE_PGM_RSRC2:USER_SGPR: 6
; COMPUTE_PGM_RSRC2:TRAP_HANDLER: 0
; COMPUTE_PGM_RSRC2:TGID_X_EN: 1
; COMPUTE_PGM_RSRC2:TGID_Y_EN: 0
; COMPUTE_PGM_RSRC2:TGID_Z_EN: 0
; COMPUTE_PGM_RSRC2:TIDIG_COMP_CNT: 0
	.section	.text._ZN7rocprim17ROCPRIM_400000_NS6detail17trampoline_kernelINS0_14default_configENS1_21merge_config_selectorINS0_5tupleIJyyEEENS0_10empty_typeEEEZNS1_10merge_implIS3_NS0_12zip_iteratorINS5_IJN6thrust23THRUST_200600_302600_NS6detail15normal_iteratorINSC_10device_ptrIKyEEEESI_EEEEESK_NSA_INS5_IJNSE_INSF_IyEEEESM_EEEEEPS7_SP_SP_NSC_11hip_rocprim7__merge17predicate_wrapperIyyNSC_4lessIyEEEEEE10hipError_tPvRmT0_T1_T2_T3_T4_T5_mmT6_P12ihipStream_tbEUlT_E0_NS1_11comp_targetILNS1_3genE3ELNS1_11target_archE908ELNS1_3gpuE7ELNS1_3repE0EEENS1_30default_config_static_selectorELNS0_4arch9wavefront6targetE0EEEvS10_,"axG",@progbits,_ZN7rocprim17ROCPRIM_400000_NS6detail17trampoline_kernelINS0_14default_configENS1_21merge_config_selectorINS0_5tupleIJyyEEENS0_10empty_typeEEEZNS1_10merge_implIS3_NS0_12zip_iteratorINS5_IJN6thrust23THRUST_200600_302600_NS6detail15normal_iteratorINSC_10device_ptrIKyEEEESI_EEEEESK_NSA_INS5_IJNSE_INSF_IyEEEESM_EEEEEPS7_SP_SP_NSC_11hip_rocprim7__merge17predicate_wrapperIyyNSC_4lessIyEEEEEE10hipError_tPvRmT0_T1_T2_T3_T4_T5_mmT6_P12ihipStream_tbEUlT_E0_NS1_11comp_targetILNS1_3genE3ELNS1_11target_archE908ELNS1_3gpuE7ELNS1_3repE0EEENS1_30default_config_static_selectorELNS0_4arch9wavefront6targetE0EEEvS10_,comdat
	.protected	_ZN7rocprim17ROCPRIM_400000_NS6detail17trampoline_kernelINS0_14default_configENS1_21merge_config_selectorINS0_5tupleIJyyEEENS0_10empty_typeEEEZNS1_10merge_implIS3_NS0_12zip_iteratorINS5_IJN6thrust23THRUST_200600_302600_NS6detail15normal_iteratorINSC_10device_ptrIKyEEEESI_EEEEESK_NSA_INS5_IJNSE_INSF_IyEEEESM_EEEEEPS7_SP_SP_NSC_11hip_rocprim7__merge17predicate_wrapperIyyNSC_4lessIyEEEEEE10hipError_tPvRmT0_T1_T2_T3_T4_T5_mmT6_P12ihipStream_tbEUlT_E0_NS1_11comp_targetILNS1_3genE3ELNS1_11target_archE908ELNS1_3gpuE7ELNS1_3repE0EEENS1_30default_config_static_selectorELNS0_4arch9wavefront6targetE0EEEvS10_ ; -- Begin function _ZN7rocprim17ROCPRIM_400000_NS6detail17trampoline_kernelINS0_14default_configENS1_21merge_config_selectorINS0_5tupleIJyyEEENS0_10empty_typeEEEZNS1_10merge_implIS3_NS0_12zip_iteratorINS5_IJN6thrust23THRUST_200600_302600_NS6detail15normal_iteratorINSC_10device_ptrIKyEEEESI_EEEEESK_NSA_INS5_IJNSE_INSF_IyEEEESM_EEEEEPS7_SP_SP_NSC_11hip_rocprim7__merge17predicate_wrapperIyyNSC_4lessIyEEEEEE10hipError_tPvRmT0_T1_T2_T3_T4_T5_mmT6_P12ihipStream_tbEUlT_E0_NS1_11comp_targetILNS1_3genE3ELNS1_11target_archE908ELNS1_3gpuE7ELNS1_3repE0EEENS1_30default_config_static_selectorELNS0_4arch9wavefront6targetE0EEEvS10_
	.globl	_ZN7rocprim17ROCPRIM_400000_NS6detail17trampoline_kernelINS0_14default_configENS1_21merge_config_selectorINS0_5tupleIJyyEEENS0_10empty_typeEEEZNS1_10merge_implIS3_NS0_12zip_iteratorINS5_IJN6thrust23THRUST_200600_302600_NS6detail15normal_iteratorINSC_10device_ptrIKyEEEESI_EEEEESK_NSA_INS5_IJNSE_INSF_IyEEEESM_EEEEEPS7_SP_SP_NSC_11hip_rocprim7__merge17predicate_wrapperIyyNSC_4lessIyEEEEEE10hipError_tPvRmT0_T1_T2_T3_T4_T5_mmT6_P12ihipStream_tbEUlT_E0_NS1_11comp_targetILNS1_3genE3ELNS1_11target_archE908ELNS1_3gpuE7ELNS1_3repE0EEENS1_30default_config_static_selectorELNS0_4arch9wavefront6targetE0EEEvS10_
	.p2align	8
	.type	_ZN7rocprim17ROCPRIM_400000_NS6detail17trampoline_kernelINS0_14default_configENS1_21merge_config_selectorINS0_5tupleIJyyEEENS0_10empty_typeEEEZNS1_10merge_implIS3_NS0_12zip_iteratorINS5_IJN6thrust23THRUST_200600_302600_NS6detail15normal_iteratorINSC_10device_ptrIKyEEEESI_EEEEESK_NSA_INS5_IJNSE_INSF_IyEEEESM_EEEEEPS7_SP_SP_NSC_11hip_rocprim7__merge17predicate_wrapperIyyNSC_4lessIyEEEEEE10hipError_tPvRmT0_T1_T2_T3_T4_T5_mmT6_P12ihipStream_tbEUlT_E0_NS1_11comp_targetILNS1_3genE3ELNS1_11target_archE908ELNS1_3gpuE7ELNS1_3repE0EEENS1_30default_config_static_selectorELNS0_4arch9wavefront6targetE0EEEvS10_,@function
_ZN7rocprim17ROCPRIM_400000_NS6detail17trampoline_kernelINS0_14default_configENS1_21merge_config_selectorINS0_5tupleIJyyEEENS0_10empty_typeEEEZNS1_10merge_implIS3_NS0_12zip_iteratorINS5_IJN6thrust23THRUST_200600_302600_NS6detail15normal_iteratorINSC_10device_ptrIKyEEEESI_EEEEESK_NSA_INS5_IJNSE_INSF_IyEEEESM_EEEEEPS7_SP_SP_NSC_11hip_rocprim7__merge17predicate_wrapperIyyNSC_4lessIyEEEEEE10hipError_tPvRmT0_T1_T2_T3_T4_T5_mmT6_P12ihipStream_tbEUlT_E0_NS1_11comp_targetILNS1_3genE3ELNS1_11target_archE908ELNS1_3gpuE7ELNS1_3repE0EEENS1_30default_config_static_selectorELNS0_4arch9wavefront6targetE0EEEvS10_: ; @_ZN7rocprim17ROCPRIM_400000_NS6detail17trampoline_kernelINS0_14default_configENS1_21merge_config_selectorINS0_5tupleIJyyEEENS0_10empty_typeEEEZNS1_10merge_implIS3_NS0_12zip_iteratorINS5_IJN6thrust23THRUST_200600_302600_NS6detail15normal_iteratorINSC_10device_ptrIKyEEEESI_EEEEESK_NSA_INS5_IJNSE_INSF_IyEEEESM_EEEEEPS7_SP_SP_NSC_11hip_rocprim7__merge17predicate_wrapperIyyNSC_4lessIyEEEEEE10hipError_tPvRmT0_T1_T2_T3_T4_T5_mmT6_P12ihipStream_tbEUlT_E0_NS1_11comp_targetILNS1_3genE3ELNS1_11target_archE908ELNS1_3gpuE7ELNS1_3repE0EEENS1_30default_config_static_selectorELNS0_4arch9wavefront6targetE0EEEvS10_
; %bb.0:
	.section	.rodata,"a",@progbits
	.p2align	6, 0x0
	.amdhsa_kernel _ZN7rocprim17ROCPRIM_400000_NS6detail17trampoline_kernelINS0_14default_configENS1_21merge_config_selectorINS0_5tupleIJyyEEENS0_10empty_typeEEEZNS1_10merge_implIS3_NS0_12zip_iteratorINS5_IJN6thrust23THRUST_200600_302600_NS6detail15normal_iteratorINSC_10device_ptrIKyEEEESI_EEEEESK_NSA_INS5_IJNSE_INSF_IyEEEESM_EEEEEPS7_SP_SP_NSC_11hip_rocprim7__merge17predicate_wrapperIyyNSC_4lessIyEEEEEE10hipError_tPvRmT0_T1_T2_T3_T4_T5_mmT6_P12ihipStream_tbEUlT_E0_NS1_11comp_targetILNS1_3genE3ELNS1_11target_archE908ELNS1_3gpuE7ELNS1_3repE0EEENS1_30default_config_static_selectorELNS0_4arch9wavefront6targetE0EEEvS10_
		.amdhsa_group_segment_fixed_size 0
		.amdhsa_private_segment_fixed_size 0
		.amdhsa_kernarg_size 112
		.amdhsa_user_sgpr_count 6
		.amdhsa_user_sgpr_private_segment_buffer 1
		.amdhsa_user_sgpr_dispatch_ptr 0
		.amdhsa_user_sgpr_queue_ptr 0
		.amdhsa_user_sgpr_kernarg_segment_ptr 1
		.amdhsa_user_sgpr_dispatch_id 0
		.amdhsa_user_sgpr_flat_scratch_init 0
		.amdhsa_user_sgpr_private_segment_size 0
		.amdhsa_wavefront_size32 1
		.amdhsa_uses_dynamic_stack 0
		.amdhsa_system_sgpr_private_segment_wavefront_offset 0
		.amdhsa_system_sgpr_workgroup_id_x 1
		.amdhsa_system_sgpr_workgroup_id_y 0
		.amdhsa_system_sgpr_workgroup_id_z 0
		.amdhsa_system_sgpr_workgroup_info 0
		.amdhsa_system_vgpr_workitem_id 0
		.amdhsa_next_free_vgpr 1
		.amdhsa_next_free_sgpr 1
		.amdhsa_reserve_vcc 0
		.amdhsa_reserve_flat_scratch 0
		.amdhsa_float_round_mode_32 0
		.amdhsa_float_round_mode_16_64 0
		.amdhsa_float_denorm_mode_32 3
		.amdhsa_float_denorm_mode_16_64 3
		.amdhsa_dx10_clamp 1
		.amdhsa_ieee_mode 1
		.amdhsa_fp16_overflow 0
		.amdhsa_workgroup_processor_mode 1
		.amdhsa_memory_ordered 1
		.amdhsa_forward_progress 1
		.amdhsa_shared_vgpr_count 0
		.amdhsa_exception_fp_ieee_invalid_op 0
		.amdhsa_exception_fp_denorm_src 0
		.amdhsa_exception_fp_ieee_div_zero 0
		.amdhsa_exception_fp_ieee_overflow 0
		.amdhsa_exception_fp_ieee_underflow 0
		.amdhsa_exception_fp_ieee_inexact 0
		.amdhsa_exception_int_div_zero 0
	.end_amdhsa_kernel
	.section	.text._ZN7rocprim17ROCPRIM_400000_NS6detail17trampoline_kernelINS0_14default_configENS1_21merge_config_selectorINS0_5tupleIJyyEEENS0_10empty_typeEEEZNS1_10merge_implIS3_NS0_12zip_iteratorINS5_IJN6thrust23THRUST_200600_302600_NS6detail15normal_iteratorINSC_10device_ptrIKyEEEESI_EEEEESK_NSA_INS5_IJNSE_INSF_IyEEEESM_EEEEEPS7_SP_SP_NSC_11hip_rocprim7__merge17predicate_wrapperIyyNSC_4lessIyEEEEEE10hipError_tPvRmT0_T1_T2_T3_T4_T5_mmT6_P12ihipStream_tbEUlT_E0_NS1_11comp_targetILNS1_3genE3ELNS1_11target_archE908ELNS1_3gpuE7ELNS1_3repE0EEENS1_30default_config_static_selectorELNS0_4arch9wavefront6targetE0EEEvS10_,"axG",@progbits,_ZN7rocprim17ROCPRIM_400000_NS6detail17trampoline_kernelINS0_14default_configENS1_21merge_config_selectorINS0_5tupleIJyyEEENS0_10empty_typeEEEZNS1_10merge_implIS3_NS0_12zip_iteratorINS5_IJN6thrust23THRUST_200600_302600_NS6detail15normal_iteratorINSC_10device_ptrIKyEEEESI_EEEEESK_NSA_INS5_IJNSE_INSF_IyEEEESM_EEEEEPS7_SP_SP_NSC_11hip_rocprim7__merge17predicate_wrapperIyyNSC_4lessIyEEEEEE10hipError_tPvRmT0_T1_T2_T3_T4_T5_mmT6_P12ihipStream_tbEUlT_E0_NS1_11comp_targetILNS1_3genE3ELNS1_11target_archE908ELNS1_3gpuE7ELNS1_3repE0EEENS1_30default_config_static_selectorELNS0_4arch9wavefront6targetE0EEEvS10_,comdat
.Lfunc_end108:
	.size	_ZN7rocprim17ROCPRIM_400000_NS6detail17trampoline_kernelINS0_14default_configENS1_21merge_config_selectorINS0_5tupleIJyyEEENS0_10empty_typeEEEZNS1_10merge_implIS3_NS0_12zip_iteratorINS5_IJN6thrust23THRUST_200600_302600_NS6detail15normal_iteratorINSC_10device_ptrIKyEEEESI_EEEEESK_NSA_INS5_IJNSE_INSF_IyEEEESM_EEEEEPS7_SP_SP_NSC_11hip_rocprim7__merge17predicate_wrapperIyyNSC_4lessIyEEEEEE10hipError_tPvRmT0_T1_T2_T3_T4_T5_mmT6_P12ihipStream_tbEUlT_E0_NS1_11comp_targetILNS1_3genE3ELNS1_11target_archE908ELNS1_3gpuE7ELNS1_3repE0EEENS1_30default_config_static_selectorELNS0_4arch9wavefront6targetE0EEEvS10_, .Lfunc_end108-_ZN7rocprim17ROCPRIM_400000_NS6detail17trampoline_kernelINS0_14default_configENS1_21merge_config_selectorINS0_5tupleIJyyEEENS0_10empty_typeEEEZNS1_10merge_implIS3_NS0_12zip_iteratorINS5_IJN6thrust23THRUST_200600_302600_NS6detail15normal_iteratorINSC_10device_ptrIKyEEEESI_EEEEESK_NSA_INS5_IJNSE_INSF_IyEEEESM_EEEEEPS7_SP_SP_NSC_11hip_rocprim7__merge17predicate_wrapperIyyNSC_4lessIyEEEEEE10hipError_tPvRmT0_T1_T2_T3_T4_T5_mmT6_P12ihipStream_tbEUlT_E0_NS1_11comp_targetILNS1_3genE3ELNS1_11target_archE908ELNS1_3gpuE7ELNS1_3repE0EEENS1_30default_config_static_selectorELNS0_4arch9wavefront6targetE0EEEvS10_
                                        ; -- End function
	.set _ZN7rocprim17ROCPRIM_400000_NS6detail17trampoline_kernelINS0_14default_configENS1_21merge_config_selectorINS0_5tupleIJyyEEENS0_10empty_typeEEEZNS1_10merge_implIS3_NS0_12zip_iteratorINS5_IJN6thrust23THRUST_200600_302600_NS6detail15normal_iteratorINSC_10device_ptrIKyEEEESI_EEEEESK_NSA_INS5_IJNSE_INSF_IyEEEESM_EEEEEPS7_SP_SP_NSC_11hip_rocprim7__merge17predicate_wrapperIyyNSC_4lessIyEEEEEE10hipError_tPvRmT0_T1_T2_T3_T4_T5_mmT6_P12ihipStream_tbEUlT_E0_NS1_11comp_targetILNS1_3genE3ELNS1_11target_archE908ELNS1_3gpuE7ELNS1_3repE0EEENS1_30default_config_static_selectorELNS0_4arch9wavefront6targetE0EEEvS10_.num_vgpr, 0
	.set _ZN7rocprim17ROCPRIM_400000_NS6detail17trampoline_kernelINS0_14default_configENS1_21merge_config_selectorINS0_5tupleIJyyEEENS0_10empty_typeEEEZNS1_10merge_implIS3_NS0_12zip_iteratorINS5_IJN6thrust23THRUST_200600_302600_NS6detail15normal_iteratorINSC_10device_ptrIKyEEEESI_EEEEESK_NSA_INS5_IJNSE_INSF_IyEEEESM_EEEEEPS7_SP_SP_NSC_11hip_rocprim7__merge17predicate_wrapperIyyNSC_4lessIyEEEEEE10hipError_tPvRmT0_T1_T2_T3_T4_T5_mmT6_P12ihipStream_tbEUlT_E0_NS1_11comp_targetILNS1_3genE3ELNS1_11target_archE908ELNS1_3gpuE7ELNS1_3repE0EEENS1_30default_config_static_selectorELNS0_4arch9wavefront6targetE0EEEvS10_.num_agpr, 0
	.set _ZN7rocprim17ROCPRIM_400000_NS6detail17trampoline_kernelINS0_14default_configENS1_21merge_config_selectorINS0_5tupleIJyyEEENS0_10empty_typeEEEZNS1_10merge_implIS3_NS0_12zip_iteratorINS5_IJN6thrust23THRUST_200600_302600_NS6detail15normal_iteratorINSC_10device_ptrIKyEEEESI_EEEEESK_NSA_INS5_IJNSE_INSF_IyEEEESM_EEEEEPS7_SP_SP_NSC_11hip_rocprim7__merge17predicate_wrapperIyyNSC_4lessIyEEEEEE10hipError_tPvRmT0_T1_T2_T3_T4_T5_mmT6_P12ihipStream_tbEUlT_E0_NS1_11comp_targetILNS1_3genE3ELNS1_11target_archE908ELNS1_3gpuE7ELNS1_3repE0EEENS1_30default_config_static_selectorELNS0_4arch9wavefront6targetE0EEEvS10_.numbered_sgpr, 0
	.set _ZN7rocprim17ROCPRIM_400000_NS6detail17trampoline_kernelINS0_14default_configENS1_21merge_config_selectorINS0_5tupleIJyyEEENS0_10empty_typeEEEZNS1_10merge_implIS3_NS0_12zip_iteratorINS5_IJN6thrust23THRUST_200600_302600_NS6detail15normal_iteratorINSC_10device_ptrIKyEEEESI_EEEEESK_NSA_INS5_IJNSE_INSF_IyEEEESM_EEEEEPS7_SP_SP_NSC_11hip_rocprim7__merge17predicate_wrapperIyyNSC_4lessIyEEEEEE10hipError_tPvRmT0_T1_T2_T3_T4_T5_mmT6_P12ihipStream_tbEUlT_E0_NS1_11comp_targetILNS1_3genE3ELNS1_11target_archE908ELNS1_3gpuE7ELNS1_3repE0EEENS1_30default_config_static_selectorELNS0_4arch9wavefront6targetE0EEEvS10_.num_named_barrier, 0
	.set _ZN7rocprim17ROCPRIM_400000_NS6detail17trampoline_kernelINS0_14default_configENS1_21merge_config_selectorINS0_5tupleIJyyEEENS0_10empty_typeEEEZNS1_10merge_implIS3_NS0_12zip_iteratorINS5_IJN6thrust23THRUST_200600_302600_NS6detail15normal_iteratorINSC_10device_ptrIKyEEEESI_EEEEESK_NSA_INS5_IJNSE_INSF_IyEEEESM_EEEEEPS7_SP_SP_NSC_11hip_rocprim7__merge17predicate_wrapperIyyNSC_4lessIyEEEEEE10hipError_tPvRmT0_T1_T2_T3_T4_T5_mmT6_P12ihipStream_tbEUlT_E0_NS1_11comp_targetILNS1_3genE3ELNS1_11target_archE908ELNS1_3gpuE7ELNS1_3repE0EEENS1_30default_config_static_selectorELNS0_4arch9wavefront6targetE0EEEvS10_.private_seg_size, 0
	.set _ZN7rocprim17ROCPRIM_400000_NS6detail17trampoline_kernelINS0_14default_configENS1_21merge_config_selectorINS0_5tupleIJyyEEENS0_10empty_typeEEEZNS1_10merge_implIS3_NS0_12zip_iteratorINS5_IJN6thrust23THRUST_200600_302600_NS6detail15normal_iteratorINSC_10device_ptrIKyEEEESI_EEEEESK_NSA_INS5_IJNSE_INSF_IyEEEESM_EEEEEPS7_SP_SP_NSC_11hip_rocprim7__merge17predicate_wrapperIyyNSC_4lessIyEEEEEE10hipError_tPvRmT0_T1_T2_T3_T4_T5_mmT6_P12ihipStream_tbEUlT_E0_NS1_11comp_targetILNS1_3genE3ELNS1_11target_archE908ELNS1_3gpuE7ELNS1_3repE0EEENS1_30default_config_static_selectorELNS0_4arch9wavefront6targetE0EEEvS10_.uses_vcc, 0
	.set _ZN7rocprim17ROCPRIM_400000_NS6detail17trampoline_kernelINS0_14default_configENS1_21merge_config_selectorINS0_5tupleIJyyEEENS0_10empty_typeEEEZNS1_10merge_implIS3_NS0_12zip_iteratorINS5_IJN6thrust23THRUST_200600_302600_NS6detail15normal_iteratorINSC_10device_ptrIKyEEEESI_EEEEESK_NSA_INS5_IJNSE_INSF_IyEEEESM_EEEEEPS7_SP_SP_NSC_11hip_rocprim7__merge17predicate_wrapperIyyNSC_4lessIyEEEEEE10hipError_tPvRmT0_T1_T2_T3_T4_T5_mmT6_P12ihipStream_tbEUlT_E0_NS1_11comp_targetILNS1_3genE3ELNS1_11target_archE908ELNS1_3gpuE7ELNS1_3repE0EEENS1_30default_config_static_selectorELNS0_4arch9wavefront6targetE0EEEvS10_.uses_flat_scratch, 0
	.set _ZN7rocprim17ROCPRIM_400000_NS6detail17trampoline_kernelINS0_14default_configENS1_21merge_config_selectorINS0_5tupleIJyyEEENS0_10empty_typeEEEZNS1_10merge_implIS3_NS0_12zip_iteratorINS5_IJN6thrust23THRUST_200600_302600_NS6detail15normal_iteratorINSC_10device_ptrIKyEEEESI_EEEEESK_NSA_INS5_IJNSE_INSF_IyEEEESM_EEEEEPS7_SP_SP_NSC_11hip_rocprim7__merge17predicate_wrapperIyyNSC_4lessIyEEEEEE10hipError_tPvRmT0_T1_T2_T3_T4_T5_mmT6_P12ihipStream_tbEUlT_E0_NS1_11comp_targetILNS1_3genE3ELNS1_11target_archE908ELNS1_3gpuE7ELNS1_3repE0EEENS1_30default_config_static_selectorELNS0_4arch9wavefront6targetE0EEEvS10_.has_dyn_sized_stack, 0
	.set _ZN7rocprim17ROCPRIM_400000_NS6detail17trampoline_kernelINS0_14default_configENS1_21merge_config_selectorINS0_5tupleIJyyEEENS0_10empty_typeEEEZNS1_10merge_implIS3_NS0_12zip_iteratorINS5_IJN6thrust23THRUST_200600_302600_NS6detail15normal_iteratorINSC_10device_ptrIKyEEEESI_EEEEESK_NSA_INS5_IJNSE_INSF_IyEEEESM_EEEEEPS7_SP_SP_NSC_11hip_rocprim7__merge17predicate_wrapperIyyNSC_4lessIyEEEEEE10hipError_tPvRmT0_T1_T2_T3_T4_T5_mmT6_P12ihipStream_tbEUlT_E0_NS1_11comp_targetILNS1_3genE3ELNS1_11target_archE908ELNS1_3gpuE7ELNS1_3repE0EEENS1_30default_config_static_selectorELNS0_4arch9wavefront6targetE0EEEvS10_.has_recursion, 0
	.set _ZN7rocprim17ROCPRIM_400000_NS6detail17trampoline_kernelINS0_14default_configENS1_21merge_config_selectorINS0_5tupleIJyyEEENS0_10empty_typeEEEZNS1_10merge_implIS3_NS0_12zip_iteratorINS5_IJN6thrust23THRUST_200600_302600_NS6detail15normal_iteratorINSC_10device_ptrIKyEEEESI_EEEEESK_NSA_INS5_IJNSE_INSF_IyEEEESM_EEEEEPS7_SP_SP_NSC_11hip_rocprim7__merge17predicate_wrapperIyyNSC_4lessIyEEEEEE10hipError_tPvRmT0_T1_T2_T3_T4_T5_mmT6_P12ihipStream_tbEUlT_E0_NS1_11comp_targetILNS1_3genE3ELNS1_11target_archE908ELNS1_3gpuE7ELNS1_3repE0EEENS1_30default_config_static_selectorELNS0_4arch9wavefront6targetE0EEEvS10_.has_indirect_call, 0
	.section	.AMDGPU.csdata,"",@progbits
; Kernel info:
; codeLenInByte = 0
; TotalNumSgprs: 0
; NumVgprs: 0
; ScratchSize: 0
; MemoryBound: 0
; FloatMode: 240
; IeeeMode: 1
; LDSByteSize: 0 bytes/workgroup (compile time only)
; SGPRBlocks: 0
; VGPRBlocks: 0
; NumSGPRsForWavesPerEU: 1
; NumVGPRsForWavesPerEU: 1
; Occupancy: 16
; WaveLimiterHint : 0
; COMPUTE_PGM_RSRC2:SCRATCH_EN: 0
; COMPUTE_PGM_RSRC2:USER_SGPR: 6
; COMPUTE_PGM_RSRC2:TRAP_HANDLER: 0
; COMPUTE_PGM_RSRC2:TGID_X_EN: 1
; COMPUTE_PGM_RSRC2:TGID_Y_EN: 0
; COMPUTE_PGM_RSRC2:TGID_Z_EN: 0
; COMPUTE_PGM_RSRC2:TIDIG_COMP_CNT: 0
	.section	.text._ZN7rocprim17ROCPRIM_400000_NS6detail17trampoline_kernelINS0_14default_configENS1_21merge_config_selectorINS0_5tupleIJyyEEENS0_10empty_typeEEEZNS1_10merge_implIS3_NS0_12zip_iteratorINS5_IJN6thrust23THRUST_200600_302600_NS6detail15normal_iteratorINSC_10device_ptrIKyEEEESI_EEEEESK_NSA_INS5_IJNSE_INSF_IyEEEESM_EEEEEPS7_SP_SP_NSC_11hip_rocprim7__merge17predicate_wrapperIyyNSC_4lessIyEEEEEE10hipError_tPvRmT0_T1_T2_T3_T4_T5_mmT6_P12ihipStream_tbEUlT_E0_NS1_11comp_targetILNS1_3genE2ELNS1_11target_archE906ELNS1_3gpuE6ELNS1_3repE0EEENS1_30default_config_static_selectorELNS0_4arch9wavefront6targetE0EEEvS10_,"axG",@progbits,_ZN7rocprim17ROCPRIM_400000_NS6detail17trampoline_kernelINS0_14default_configENS1_21merge_config_selectorINS0_5tupleIJyyEEENS0_10empty_typeEEEZNS1_10merge_implIS3_NS0_12zip_iteratorINS5_IJN6thrust23THRUST_200600_302600_NS6detail15normal_iteratorINSC_10device_ptrIKyEEEESI_EEEEESK_NSA_INS5_IJNSE_INSF_IyEEEESM_EEEEEPS7_SP_SP_NSC_11hip_rocprim7__merge17predicate_wrapperIyyNSC_4lessIyEEEEEE10hipError_tPvRmT0_T1_T2_T3_T4_T5_mmT6_P12ihipStream_tbEUlT_E0_NS1_11comp_targetILNS1_3genE2ELNS1_11target_archE906ELNS1_3gpuE6ELNS1_3repE0EEENS1_30default_config_static_selectorELNS0_4arch9wavefront6targetE0EEEvS10_,comdat
	.protected	_ZN7rocprim17ROCPRIM_400000_NS6detail17trampoline_kernelINS0_14default_configENS1_21merge_config_selectorINS0_5tupleIJyyEEENS0_10empty_typeEEEZNS1_10merge_implIS3_NS0_12zip_iteratorINS5_IJN6thrust23THRUST_200600_302600_NS6detail15normal_iteratorINSC_10device_ptrIKyEEEESI_EEEEESK_NSA_INS5_IJNSE_INSF_IyEEEESM_EEEEEPS7_SP_SP_NSC_11hip_rocprim7__merge17predicate_wrapperIyyNSC_4lessIyEEEEEE10hipError_tPvRmT0_T1_T2_T3_T4_T5_mmT6_P12ihipStream_tbEUlT_E0_NS1_11comp_targetILNS1_3genE2ELNS1_11target_archE906ELNS1_3gpuE6ELNS1_3repE0EEENS1_30default_config_static_selectorELNS0_4arch9wavefront6targetE0EEEvS10_ ; -- Begin function _ZN7rocprim17ROCPRIM_400000_NS6detail17trampoline_kernelINS0_14default_configENS1_21merge_config_selectorINS0_5tupleIJyyEEENS0_10empty_typeEEEZNS1_10merge_implIS3_NS0_12zip_iteratorINS5_IJN6thrust23THRUST_200600_302600_NS6detail15normal_iteratorINSC_10device_ptrIKyEEEESI_EEEEESK_NSA_INS5_IJNSE_INSF_IyEEEESM_EEEEEPS7_SP_SP_NSC_11hip_rocprim7__merge17predicate_wrapperIyyNSC_4lessIyEEEEEE10hipError_tPvRmT0_T1_T2_T3_T4_T5_mmT6_P12ihipStream_tbEUlT_E0_NS1_11comp_targetILNS1_3genE2ELNS1_11target_archE906ELNS1_3gpuE6ELNS1_3repE0EEENS1_30default_config_static_selectorELNS0_4arch9wavefront6targetE0EEEvS10_
	.globl	_ZN7rocprim17ROCPRIM_400000_NS6detail17trampoline_kernelINS0_14default_configENS1_21merge_config_selectorINS0_5tupleIJyyEEENS0_10empty_typeEEEZNS1_10merge_implIS3_NS0_12zip_iteratorINS5_IJN6thrust23THRUST_200600_302600_NS6detail15normal_iteratorINSC_10device_ptrIKyEEEESI_EEEEESK_NSA_INS5_IJNSE_INSF_IyEEEESM_EEEEEPS7_SP_SP_NSC_11hip_rocprim7__merge17predicate_wrapperIyyNSC_4lessIyEEEEEE10hipError_tPvRmT0_T1_T2_T3_T4_T5_mmT6_P12ihipStream_tbEUlT_E0_NS1_11comp_targetILNS1_3genE2ELNS1_11target_archE906ELNS1_3gpuE6ELNS1_3repE0EEENS1_30default_config_static_selectorELNS0_4arch9wavefront6targetE0EEEvS10_
	.p2align	8
	.type	_ZN7rocprim17ROCPRIM_400000_NS6detail17trampoline_kernelINS0_14default_configENS1_21merge_config_selectorINS0_5tupleIJyyEEENS0_10empty_typeEEEZNS1_10merge_implIS3_NS0_12zip_iteratorINS5_IJN6thrust23THRUST_200600_302600_NS6detail15normal_iteratorINSC_10device_ptrIKyEEEESI_EEEEESK_NSA_INS5_IJNSE_INSF_IyEEEESM_EEEEEPS7_SP_SP_NSC_11hip_rocprim7__merge17predicate_wrapperIyyNSC_4lessIyEEEEEE10hipError_tPvRmT0_T1_T2_T3_T4_T5_mmT6_P12ihipStream_tbEUlT_E0_NS1_11comp_targetILNS1_3genE2ELNS1_11target_archE906ELNS1_3gpuE6ELNS1_3repE0EEENS1_30default_config_static_selectorELNS0_4arch9wavefront6targetE0EEEvS10_,@function
_ZN7rocprim17ROCPRIM_400000_NS6detail17trampoline_kernelINS0_14default_configENS1_21merge_config_selectorINS0_5tupleIJyyEEENS0_10empty_typeEEEZNS1_10merge_implIS3_NS0_12zip_iteratorINS5_IJN6thrust23THRUST_200600_302600_NS6detail15normal_iteratorINSC_10device_ptrIKyEEEESI_EEEEESK_NSA_INS5_IJNSE_INSF_IyEEEESM_EEEEEPS7_SP_SP_NSC_11hip_rocprim7__merge17predicate_wrapperIyyNSC_4lessIyEEEEEE10hipError_tPvRmT0_T1_T2_T3_T4_T5_mmT6_P12ihipStream_tbEUlT_E0_NS1_11comp_targetILNS1_3genE2ELNS1_11target_archE906ELNS1_3gpuE6ELNS1_3repE0EEENS1_30default_config_static_selectorELNS0_4arch9wavefront6targetE0EEEvS10_: ; @_ZN7rocprim17ROCPRIM_400000_NS6detail17trampoline_kernelINS0_14default_configENS1_21merge_config_selectorINS0_5tupleIJyyEEENS0_10empty_typeEEEZNS1_10merge_implIS3_NS0_12zip_iteratorINS5_IJN6thrust23THRUST_200600_302600_NS6detail15normal_iteratorINSC_10device_ptrIKyEEEESI_EEEEESK_NSA_INS5_IJNSE_INSF_IyEEEESM_EEEEEPS7_SP_SP_NSC_11hip_rocprim7__merge17predicate_wrapperIyyNSC_4lessIyEEEEEE10hipError_tPvRmT0_T1_T2_T3_T4_T5_mmT6_P12ihipStream_tbEUlT_E0_NS1_11comp_targetILNS1_3genE2ELNS1_11target_archE906ELNS1_3gpuE6ELNS1_3repE0EEENS1_30default_config_static_selectorELNS0_4arch9wavefront6targetE0EEEvS10_
; %bb.0:
	.section	.rodata,"a",@progbits
	.p2align	6, 0x0
	.amdhsa_kernel _ZN7rocprim17ROCPRIM_400000_NS6detail17trampoline_kernelINS0_14default_configENS1_21merge_config_selectorINS0_5tupleIJyyEEENS0_10empty_typeEEEZNS1_10merge_implIS3_NS0_12zip_iteratorINS5_IJN6thrust23THRUST_200600_302600_NS6detail15normal_iteratorINSC_10device_ptrIKyEEEESI_EEEEESK_NSA_INS5_IJNSE_INSF_IyEEEESM_EEEEEPS7_SP_SP_NSC_11hip_rocprim7__merge17predicate_wrapperIyyNSC_4lessIyEEEEEE10hipError_tPvRmT0_T1_T2_T3_T4_T5_mmT6_P12ihipStream_tbEUlT_E0_NS1_11comp_targetILNS1_3genE2ELNS1_11target_archE906ELNS1_3gpuE6ELNS1_3repE0EEENS1_30default_config_static_selectorELNS0_4arch9wavefront6targetE0EEEvS10_
		.amdhsa_group_segment_fixed_size 0
		.amdhsa_private_segment_fixed_size 0
		.amdhsa_kernarg_size 112
		.amdhsa_user_sgpr_count 6
		.amdhsa_user_sgpr_private_segment_buffer 1
		.amdhsa_user_sgpr_dispatch_ptr 0
		.amdhsa_user_sgpr_queue_ptr 0
		.amdhsa_user_sgpr_kernarg_segment_ptr 1
		.amdhsa_user_sgpr_dispatch_id 0
		.amdhsa_user_sgpr_flat_scratch_init 0
		.amdhsa_user_sgpr_private_segment_size 0
		.amdhsa_wavefront_size32 1
		.amdhsa_uses_dynamic_stack 0
		.amdhsa_system_sgpr_private_segment_wavefront_offset 0
		.amdhsa_system_sgpr_workgroup_id_x 1
		.amdhsa_system_sgpr_workgroup_id_y 0
		.amdhsa_system_sgpr_workgroup_id_z 0
		.amdhsa_system_sgpr_workgroup_info 0
		.amdhsa_system_vgpr_workitem_id 0
		.amdhsa_next_free_vgpr 1
		.amdhsa_next_free_sgpr 1
		.amdhsa_reserve_vcc 0
		.amdhsa_reserve_flat_scratch 0
		.amdhsa_float_round_mode_32 0
		.amdhsa_float_round_mode_16_64 0
		.amdhsa_float_denorm_mode_32 3
		.amdhsa_float_denorm_mode_16_64 3
		.amdhsa_dx10_clamp 1
		.amdhsa_ieee_mode 1
		.amdhsa_fp16_overflow 0
		.amdhsa_workgroup_processor_mode 1
		.amdhsa_memory_ordered 1
		.amdhsa_forward_progress 1
		.amdhsa_shared_vgpr_count 0
		.amdhsa_exception_fp_ieee_invalid_op 0
		.amdhsa_exception_fp_denorm_src 0
		.amdhsa_exception_fp_ieee_div_zero 0
		.amdhsa_exception_fp_ieee_overflow 0
		.amdhsa_exception_fp_ieee_underflow 0
		.amdhsa_exception_fp_ieee_inexact 0
		.amdhsa_exception_int_div_zero 0
	.end_amdhsa_kernel
	.section	.text._ZN7rocprim17ROCPRIM_400000_NS6detail17trampoline_kernelINS0_14default_configENS1_21merge_config_selectorINS0_5tupleIJyyEEENS0_10empty_typeEEEZNS1_10merge_implIS3_NS0_12zip_iteratorINS5_IJN6thrust23THRUST_200600_302600_NS6detail15normal_iteratorINSC_10device_ptrIKyEEEESI_EEEEESK_NSA_INS5_IJNSE_INSF_IyEEEESM_EEEEEPS7_SP_SP_NSC_11hip_rocprim7__merge17predicate_wrapperIyyNSC_4lessIyEEEEEE10hipError_tPvRmT0_T1_T2_T3_T4_T5_mmT6_P12ihipStream_tbEUlT_E0_NS1_11comp_targetILNS1_3genE2ELNS1_11target_archE906ELNS1_3gpuE6ELNS1_3repE0EEENS1_30default_config_static_selectorELNS0_4arch9wavefront6targetE0EEEvS10_,"axG",@progbits,_ZN7rocprim17ROCPRIM_400000_NS6detail17trampoline_kernelINS0_14default_configENS1_21merge_config_selectorINS0_5tupleIJyyEEENS0_10empty_typeEEEZNS1_10merge_implIS3_NS0_12zip_iteratorINS5_IJN6thrust23THRUST_200600_302600_NS6detail15normal_iteratorINSC_10device_ptrIKyEEEESI_EEEEESK_NSA_INS5_IJNSE_INSF_IyEEEESM_EEEEEPS7_SP_SP_NSC_11hip_rocprim7__merge17predicate_wrapperIyyNSC_4lessIyEEEEEE10hipError_tPvRmT0_T1_T2_T3_T4_T5_mmT6_P12ihipStream_tbEUlT_E0_NS1_11comp_targetILNS1_3genE2ELNS1_11target_archE906ELNS1_3gpuE6ELNS1_3repE0EEENS1_30default_config_static_selectorELNS0_4arch9wavefront6targetE0EEEvS10_,comdat
.Lfunc_end109:
	.size	_ZN7rocprim17ROCPRIM_400000_NS6detail17trampoline_kernelINS0_14default_configENS1_21merge_config_selectorINS0_5tupleIJyyEEENS0_10empty_typeEEEZNS1_10merge_implIS3_NS0_12zip_iteratorINS5_IJN6thrust23THRUST_200600_302600_NS6detail15normal_iteratorINSC_10device_ptrIKyEEEESI_EEEEESK_NSA_INS5_IJNSE_INSF_IyEEEESM_EEEEEPS7_SP_SP_NSC_11hip_rocprim7__merge17predicate_wrapperIyyNSC_4lessIyEEEEEE10hipError_tPvRmT0_T1_T2_T3_T4_T5_mmT6_P12ihipStream_tbEUlT_E0_NS1_11comp_targetILNS1_3genE2ELNS1_11target_archE906ELNS1_3gpuE6ELNS1_3repE0EEENS1_30default_config_static_selectorELNS0_4arch9wavefront6targetE0EEEvS10_, .Lfunc_end109-_ZN7rocprim17ROCPRIM_400000_NS6detail17trampoline_kernelINS0_14default_configENS1_21merge_config_selectorINS0_5tupleIJyyEEENS0_10empty_typeEEEZNS1_10merge_implIS3_NS0_12zip_iteratorINS5_IJN6thrust23THRUST_200600_302600_NS6detail15normal_iteratorINSC_10device_ptrIKyEEEESI_EEEEESK_NSA_INS5_IJNSE_INSF_IyEEEESM_EEEEEPS7_SP_SP_NSC_11hip_rocprim7__merge17predicate_wrapperIyyNSC_4lessIyEEEEEE10hipError_tPvRmT0_T1_T2_T3_T4_T5_mmT6_P12ihipStream_tbEUlT_E0_NS1_11comp_targetILNS1_3genE2ELNS1_11target_archE906ELNS1_3gpuE6ELNS1_3repE0EEENS1_30default_config_static_selectorELNS0_4arch9wavefront6targetE0EEEvS10_
                                        ; -- End function
	.set _ZN7rocprim17ROCPRIM_400000_NS6detail17trampoline_kernelINS0_14default_configENS1_21merge_config_selectorINS0_5tupleIJyyEEENS0_10empty_typeEEEZNS1_10merge_implIS3_NS0_12zip_iteratorINS5_IJN6thrust23THRUST_200600_302600_NS6detail15normal_iteratorINSC_10device_ptrIKyEEEESI_EEEEESK_NSA_INS5_IJNSE_INSF_IyEEEESM_EEEEEPS7_SP_SP_NSC_11hip_rocprim7__merge17predicate_wrapperIyyNSC_4lessIyEEEEEE10hipError_tPvRmT0_T1_T2_T3_T4_T5_mmT6_P12ihipStream_tbEUlT_E0_NS1_11comp_targetILNS1_3genE2ELNS1_11target_archE906ELNS1_3gpuE6ELNS1_3repE0EEENS1_30default_config_static_selectorELNS0_4arch9wavefront6targetE0EEEvS10_.num_vgpr, 0
	.set _ZN7rocprim17ROCPRIM_400000_NS6detail17trampoline_kernelINS0_14default_configENS1_21merge_config_selectorINS0_5tupleIJyyEEENS0_10empty_typeEEEZNS1_10merge_implIS3_NS0_12zip_iteratorINS5_IJN6thrust23THRUST_200600_302600_NS6detail15normal_iteratorINSC_10device_ptrIKyEEEESI_EEEEESK_NSA_INS5_IJNSE_INSF_IyEEEESM_EEEEEPS7_SP_SP_NSC_11hip_rocprim7__merge17predicate_wrapperIyyNSC_4lessIyEEEEEE10hipError_tPvRmT0_T1_T2_T3_T4_T5_mmT6_P12ihipStream_tbEUlT_E0_NS1_11comp_targetILNS1_3genE2ELNS1_11target_archE906ELNS1_3gpuE6ELNS1_3repE0EEENS1_30default_config_static_selectorELNS0_4arch9wavefront6targetE0EEEvS10_.num_agpr, 0
	.set _ZN7rocprim17ROCPRIM_400000_NS6detail17trampoline_kernelINS0_14default_configENS1_21merge_config_selectorINS0_5tupleIJyyEEENS0_10empty_typeEEEZNS1_10merge_implIS3_NS0_12zip_iteratorINS5_IJN6thrust23THRUST_200600_302600_NS6detail15normal_iteratorINSC_10device_ptrIKyEEEESI_EEEEESK_NSA_INS5_IJNSE_INSF_IyEEEESM_EEEEEPS7_SP_SP_NSC_11hip_rocprim7__merge17predicate_wrapperIyyNSC_4lessIyEEEEEE10hipError_tPvRmT0_T1_T2_T3_T4_T5_mmT6_P12ihipStream_tbEUlT_E0_NS1_11comp_targetILNS1_3genE2ELNS1_11target_archE906ELNS1_3gpuE6ELNS1_3repE0EEENS1_30default_config_static_selectorELNS0_4arch9wavefront6targetE0EEEvS10_.numbered_sgpr, 0
	.set _ZN7rocprim17ROCPRIM_400000_NS6detail17trampoline_kernelINS0_14default_configENS1_21merge_config_selectorINS0_5tupleIJyyEEENS0_10empty_typeEEEZNS1_10merge_implIS3_NS0_12zip_iteratorINS5_IJN6thrust23THRUST_200600_302600_NS6detail15normal_iteratorINSC_10device_ptrIKyEEEESI_EEEEESK_NSA_INS5_IJNSE_INSF_IyEEEESM_EEEEEPS7_SP_SP_NSC_11hip_rocprim7__merge17predicate_wrapperIyyNSC_4lessIyEEEEEE10hipError_tPvRmT0_T1_T2_T3_T4_T5_mmT6_P12ihipStream_tbEUlT_E0_NS1_11comp_targetILNS1_3genE2ELNS1_11target_archE906ELNS1_3gpuE6ELNS1_3repE0EEENS1_30default_config_static_selectorELNS0_4arch9wavefront6targetE0EEEvS10_.num_named_barrier, 0
	.set _ZN7rocprim17ROCPRIM_400000_NS6detail17trampoline_kernelINS0_14default_configENS1_21merge_config_selectorINS0_5tupleIJyyEEENS0_10empty_typeEEEZNS1_10merge_implIS3_NS0_12zip_iteratorINS5_IJN6thrust23THRUST_200600_302600_NS6detail15normal_iteratorINSC_10device_ptrIKyEEEESI_EEEEESK_NSA_INS5_IJNSE_INSF_IyEEEESM_EEEEEPS7_SP_SP_NSC_11hip_rocprim7__merge17predicate_wrapperIyyNSC_4lessIyEEEEEE10hipError_tPvRmT0_T1_T2_T3_T4_T5_mmT6_P12ihipStream_tbEUlT_E0_NS1_11comp_targetILNS1_3genE2ELNS1_11target_archE906ELNS1_3gpuE6ELNS1_3repE0EEENS1_30default_config_static_selectorELNS0_4arch9wavefront6targetE0EEEvS10_.private_seg_size, 0
	.set _ZN7rocprim17ROCPRIM_400000_NS6detail17trampoline_kernelINS0_14default_configENS1_21merge_config_selectorINS0_5tupleIJyyEEENS0_10empty_typeEEEZNS1_10merge_implIS3_NS0_12zip_iteratorINS5_IJN6thrust23THRUST_200600_302600_NS6detail15normal_iteratorINSC_10device_ptrIKyEEEESI_EEEEESK_NSA_INS5_IJNSE_INSF_IyEEEESM_EEEEEPS7_SP_SP_NSC_11hip_rocprim7__merge17predicate_wrapperIyyNSC_4lessIyEEEEEE10hipError_tPvRmT0_T1_T2_T3_T4_T5_mmT6_P12ihipStream_tbEUlT_E0_NS1_11comp_targetILNS1_3genE2ELNS1_11target_archE906ELNS1_3gpuE6ELNS1_3repE0EEENS1_30default_config_static_selectorELNS0_4arch9wavefront6targetE0EEEvS10_.uses_vcc, 0
	.set _ZN7rocprim17ROCPRIM_400000_NS6detail17trampoline_kernelINS0_14default_configENS1_21merge_config_selectorINS0_5tupleIJyyEEENS0_10empty_typeEEEZNS1_10merge_implIS3_NS0_12zip_iteratorINS5_IJN6thrust23THRUST_200600_302600_NS6detail15normal_iteratorINSC_10device_ptrIKyEEEESI_EEEEESK_NSA_INS5_IJNSE_INSF_IyEEEESM_EEEEEPS7_SP_SP_NSC_11hip_rocprim7__merge17predicate_wrapperIyyNSC_4lessIyEEEEEE10hipError_tPvRmT0_T1_T2_T3_T4_T5_mmT6_P12ihipStream_tbEUlT_E0_NS1_11comp_targetILNS1_3genE2ELNS1_11target_archE906ELNS1_3gpuE6ELNS1_3repE0EEENS1_30default_config_static_selectorELNS0_4arch9wavefront6targetE0EEEvS10_.uses_flat_scratch, 0
	.set _ZN7rocprim17ROCPRIM_400000_NS6detail17trampoline_kernelINS0_14default_configENS1_21merge_config_selectorINS0_5tupleIJyyEEENS0_10empty_typeEEEZNS1_10merge_implIS3_NS0_12zip_iteratorINS5_IJN6thrust23THRUST_200600_302600_NS6detail15normal_iteratorINSC_10device_ptrIKyEEEESI_EEEEESK_NSA_INS5_IJNSE_INSF_IyEEEESM_EEEEEPS7_SP_SP_NSC_11hip_rocprim7__merge17predicate_wrapperIyyNSC_4lessIyEEEEEE10hipError_tPvRmT0_T1_T2_T3_T4_T5_mmT6_P12ihipStream_tbEUlT_E0_NS1_11comp_targetILNS1_3genE2ELNS1_11target_archE906ELNS1_3gpuE6ELNS1_3repE0EEENS1_30default_config_static_selectorELNS0_4arch9wavefront6targetE0EEEvS10_.has_dyn_sized_stack, 0
	.set _ZN7rocprim17ROCPRIM_400000_NS6detail17trampoline_kernelINS0_14default_configENS1_21merge_config_selectorINS0_5tupleIJyyEEENS0_10empty_typeEEEZNS1_10merge_implIS3_NS0_12zip_iteratorINS5_IJN6thrust23THRUST_200600_302600_NS6detail15normal_iteratorINSC_10device_ptrIKyEEEESI_EEEEESK_NSA_INS5_IJNSE_INSF_IyEEEESM_EEEEEPS7_SP_SP_NSC_11hip_rocprim7__merge17predicate_wrapperIyyNSC_4lessIyEEEEEE10hipError_tPvRmT0_T1_T2_T3_T4_T5_mmT6_P12ihipStream_tbEUlT_E0_NS1_11comp_targetILNS1_3genE2ELNS1_11target_archE906ELNS1_3gpuE6ELNS1_3repE0EEENS1_30default_config_static_selectorELNS0_4arch9wavefront6targetE0EEEvS10_.has_recursion, 0
	.set _ZN7rocprim17ROCPRIM_400000_NS6detail17trampoline_kernelINS0_14default_configENS1_21merge_config_selectorINS0_5tupleIJyyEEENS0_10empty_typeEEEZNS1_10merge_implIS3_NS0_12zip_iteratorINS5_IJN6thrust23THRUST_200600_302600_NS6detail15normal_iteratorINSC_10device_ptrIKyEEEESI_EEEEESK_NSA_INS5_IJNSE_INSF_IyEEEESM_EEEEEPS7_SP_SP_NSC_11hip_rocprim7__merge17predicate_wrapperIyyNSC_4lessIyEEEEEE10hipError_tPvRmT0_T1_T2_T3_T4_T5_mmT6_P12ihipStream_tbEUlT_E0_NS1_11comp_targetILNS1_3genE2ELNS1_11target_archE906ELNS1_3gpuE6ELNS1_3repE0EEENS1_30default_config_static_selectorELNS0_4arch9wavefront6targetE0EEEvS10_.has_indirect_call, 0
	.section	.AMDGPU.csdata,"",@progbits
; Kernel info:
; codeLenInByte = 0
; TotalNumSgprs: 0
; NumVgprs: 0
; ScratchSize: 0
; MemoryBound: 0
; FloatMode: 240
; IeeeMode: 1
; LDSByteSize: 0 bytes/workgroup (compile time only)
; SGPRBlocks: 0
; VGPRBlocks: 0
; NumSGPRsForWavesPerEU: 1
; NumVGPRsForWavesPerEU: 1
; Occupancy: 16
; WaveLimiterHint : 0
; COMPUTE_PGM_RSRC2:SCRATCH_EN: 0
; COMPUTE_PGM_RSRC2:USER_SGPR: 6
; COMPUTE_PGM_RSRC2:TRAP_HANDLER: 0
; COMPUTE_PGM_RSRC2:TGID_X_EN: 1
; COMPUTE_PGM_RSRC2:TGID_Y_EN: 0
; COMPUTE_PGM_RSRC2:TGID_Z_EN: 0
; COMPUTE_PGM_RSRC2:TIDIG_COMP_CNT: 0
	.section	.text._ZN7rocprim17ROCPRIM_400000_NS6detail17trampoline_kernelINS0_14default_configENS1_21merge_config_selectorINS0_5tupleIJyyEEENS0_10empty_typeEEEZNS1_10merge_implIS3_NS0_12zip_iteratorINS5_IJN6thrust23THRUST_200600_302600_NS6detail15normal_iteratorINSC_10device_ptrIKyEEEESI_EEEEESK_NSA_INS5_IJNSE_INSF_IyEEEESM_EEEEEPS7_SP_SP_NSC_11hip_rocprim7__merge17predicate_wrapperIyyNSC_4lessIyEEEEEE10hipError_tPvRmT0_T1_T2_T3_T4_T5_mmT6_P12ihipStream_tbEUlT_E0_NS1_11comp_targetILNS1_3genE10ELNS1_11target_archE1201ELNS1_3gpuE5ELNS1_3repE0EEENS1_30default_config_static_selectorELNS0_4arch9wavefront6targetE0EEEvS10_,"axG",@progbits,_ZN7rocprim17ROCPRIM_400000_NS6detail17trampoline_kernelINS0_14default_configENS1_21merge_config_selectorINS0_5tupleIJyyEEENS0_10empty_typeEEEZNS1_10merge_implIS3_NS0_12zip_iteratorINS5_IJN6thrust23THRUST_200600_302600_NS6detail15normal_iteratorINSC_10device_ptrIKyEEEESI_EEEEESK_NSA_INS5_IJNSE_INSF_IyEEEESM_EEEEEPS7_SP_SP_NSC_11hip_rocprim7__merge17predicate_wrapperIyyNSC_4lessIyEEEEEE10hipError_tPvRmT0_T1_T2_T3_T4_T5_mmT6_P12ihipStream_tbEUlT_E0_NS1_11comp_targetILNS1_3genE10ELNS1_11target_archE1201ELNS1_3gpuE5ELNS1_3repE0EEENS1_30default_config_static_selectorELNS0_4arch9wavefront6targetE0EEEvS10_,comdat
	.protected	_ZN7rocprim17ROCPRIM_400000_NS6detail17trampoline_kernelINS0_14default_configENS1_21merge_config_selectorINS0_5tupleIJyyEEENS0_10empty_typeEEEZNS1_10merge_implIS3_NS0_12zip_iteratorINS5_IJN6thrust23THRUST_200600_302600_NS6detail15normal_iteratorINSC_10device_ptrIKyEEEESI_EEEEESK_NSA_INS5_IJNSE_INSF_IyEEEESM_EEEEEPS7_SP_SP_NSC_11hip_rocprim7__merge17predicate_wrapperIyyNSC_4lessIyEEEEEE10hipError_tPvRmT0_T1_T2_T3_T4_T5_mmT6_P12ihipStream_tbEUlT_E0_NS1_11comp_targetILNS1_3genE10ELNS1_11target_archE1201ELNS1_3gpuE5ELNS1_3repE0EEENS1_30default_config_static_selectorELNS0_4arch9wavefront6targetE0EEEvS10_ ; -- Begin function _ZN7rocprim17ROCPRIM_400000_NS6detail17trampoline_kernelINS0_14default_configENS1_21merge_config_selectorINS0_5tupleIJyyEEENS0_10empty_typeEEEZNS1_10merge_implIS3_NS0_12zip_iteratorINS5_IJN6thrust23THRUST_200600_302600_NS6detail15normal_iteratorINSC_10device_ptrIKyEEEESI_EEEEESK_NSA_INS5_IJNSE_INSF_IyEEEESM_EEEEEPS7_SP_SP_NSC_11hip_rocprim7__merge17predicate_wrapperIyyNSC_4lessIyEEEEEE10hipError_tPvRmT0_T1_T2_T3_T4_T5_mmT6_P12ihipStream_tbEUlT_E0_NS1_11comp_targetILNS1_3genE10ELNS1_11target_archE1201ELNS1_3gpuE5ELNS1_3repE0EEENS1_30default_config_static_selectorELNS0_4arch9wavefront6targetE0EEEvS10_
	.globl	_ZN7rocprim17ROCPRIM_400000_NS6detail17trampoline_kernelINS0_14default_configENS1_21merge_config_selectorINS0_5tupleIJyyEEENS0_10empty_typeEEEZNS1_10merge_implIS3_NS0_12zip_iteratorINS5_IJN6thrust23THRUST_200600_302600_NS6detail15normal_iteratorINSC_10device_ptrIKyEEEESI_EEEEESK_NSA_INS5_IJNSE_INSF_IyEEEESM_EEEEEPS7_SP_SP_NSC_11hip_rocprim7__merge17predicate_wrapperIyyNSC_4lessIyEEEEEE10hipError_tPvRmT0_T1_T2_T3_T4_T5_mmT6_P12ihipStream_tbEUlT_E0_NS1_11comp_targetILNS1_3genE10ELNS1_11target_archE1201ELNS1_3gpuE5ELNS1_3repE0EEENS1_30default_config_static_selectorELNS0_4arch9wavefront6targetE0EEEvS10_
	.p2align	8
	.type	_ZN7rocprim17ROCPRIM_400000_NS6detail17trampoline_kernelINS0_14default_configENS1_21merge_config_selectorINS0_5tupleIJyyEEENS0_10empty_typeEEEZNS1_10merge_implIS3_NS0_12zip_iteratorINS5_IJN6thrust23THRUST_200600_302600_NS6detail15normal_iteratorINSC_10device_ptrIKyEEEESI_EEEEESK_NSA_INS5_IJNSE_INSF_IyEEEESM_EEEEEPS7_SP_SP_NSC_11hip_rocprim7__merge17predicate_wrapperIyyNSC_4lessIyEEEEEE10hipError_tPvRmT0_T1_T2_T3_T4_T5_mmT6_P12ihipStream_tbEUlT_E0_NS1_11comp_targetILNS1_3genE10ELNS1_11target_archE1201ELNS1_3gpuE5ELNS1_3repE0EEENS1_30default_config_static_selectorELNS0_4arch9wavefront6targetE0EEEvS10_,@function
_ZN7rocprim17ROCPRIM_400000_NS6detail17trampoline_kernelINS0_14default_configENS1_21merge_config_selectorINS0_5tupleIJyyEEENS0_10empty_typeEEEZNS1_10merge_implIS3_NS0_12zip_iteratorINS5_IJN6thrust23THRUST_200600_302600_NS6detail15normal_iteratorINSC_10device_ptrIKyEEEESI_EEEEESK_NSA_INS5_IJNSE_INSF_IyEEEESM_EEEEEPS7_SP_SP_NSC_11hip_rocprim7__merge17predicate_wrapperIyyNSC_4lessIyEEEEEE10hipError_tPvRmT0_T1_T2_T3_T4_T5_mmT6_P12ihipStream_tbEUlT_E0_NS1_11comp_targetILNS1_3genE10ELNS1_11target_archE1201ELNS1_3gpuE5ELNS1_3repE0EEENS1_30default_config_static_selectorELNS0_4arch9wavefront6targetE0EEEvS10_: ; @_ZN7rocprim17ROCPRIM_400000_NS6detail17trampoline_kernelINS0_14default_configENS1_21merge_config_selectorINS0_5tupleIJyyEEENS0_10empty_typeEEEZNS1_10merge_implIS3_NS0_12zip_iteratorINS5_IJN6thrust23THRUST_200600_302600_NS6detail15normal_iteratorINSC_10device_ptrIKyEEEESI_EEEEESK_NSA_INS5_IJNSE_INSF_IyEEEESM_EEEEEPS7_SP_SP_NSC_11hip_rocprim7__merge17predicate_wrapperIyyNSC_4lessIyEEEEEE10hipError_tPvRmT0_T1_T2_T3_T4_T5_mmT6_P12ihipStream_tbEUlT_E0_NS1_11comp_targetILNS1_3genE10ELNS1_11target_archE1201ELNS1_3gpuE5ELNS1_3repE0EEENS1_30default_config_static_selectorELNS0_4arch9wavefront6targetE0EEEvS10_
; %bb.0:
	.section	.rodata,"a",@progbits
	.p2align	6, 0x0
	.amdhsa_kernel _ZN7rocprim17ROCPRIM_400000_NS6detail17trampoline_kernelINS0_14default_configENS1_21merge_config_selectorINS0_5tupleIJyyEEENS0_10empty_typeEEEZNS1_10merge_implIS3_NS0_12zip_iteratorINS5_IJN6thrust23THRUST_200600_302600_NS6detail15normal_iteratorINSC_10device_ptrIKyEEEESI_EEEEESK_NSA_INS5_IJNSE_INSF_IyEEEESM_EEEEEPS7_SP_SP_NSC_11hip_rocprim7__merge17predicate_wrapperIyyNSC_4lessIyEEEEEE10hipError_tPvRmT0_T1_T2_T3_T4_T5_mmT6_P12ihipStream_tbEUlT_E0_NS1_11comp_targetILNS1_3genE10ELNS1_11target_archE1201ELNS1_3gpuE5ELNS1_3repE0EEENS1_30default_config_static_selectorELNS0_4arch9wavefront6targetE0EEEvS10_
		.amdhsa_group_segment_fixed_size 0
		.amdhsa_private_segment_fixed_size 0
		.amdhsa_kernarg_size 112
		.amdhsa_user_sgpr_count 6
		.amdhsa_user_sgpr_private_segment_buffer 1
		.amdhsa_user_sgpr_dispatch_ptr 0
		.amdhsa_user_sgpr_queue_ptr 0
		.amdhsa_user_sgpr_kernarg_segment_ptr 1
		.amdhsa_user_sgpr_dispatch_id 0
		.amdhsa_user_sgpr_flat_scratch_init 0
		.amdhsa_user_sgpr_private_segment_size 0
		.amdhsa_wavefront_size32 1
		.amdhsa_uses_dynamic_stack 0
		.amdhsa_system_sgpr_private_segment_wavefront_offset 0
		.amdhsa_system_sgpr_workgroup_id_x 1
		.amdhsa_system_sgpr_workgroup_id_y 0
		.amdhsa_system_sgpr_workgroup_id_z 0
		.amdhsa_system_sgpr_workgroup_info 0
		.amdhsa_system_vgpr_workitem_id 0
		.amdhsa_next_free_vgpr 1
		.amdhsa_next_free_sgpr 1
		.amdhsa_reserve_vcc 0
		.amdhsa_reserve_flat_scratch 0
		.amdhsa_float_round_mode_32 0
		.amdhsa_float_round_mode_16_64 0
		.amdhsa_float_denorm_mode_32 3
		.amdhsa_float_denorm_mode_16_64 3
		.amdhsa_dx10_clamp 1
		.amdhsa_ieee_mode 1
		.amdhsa_fp16_overflow 0
		.amdhsa_workgroup_processor_mode 1
		.amdhsa_memory_ordered 1
		.amdhsa_forward_progress 1
		.amdhsa_shared_vgpr_count 0
		.amdhsa_exception_fp_ieee_invalid_op 0
		.amdhsa_exception_fp_denorm_src 0
		.amdhsa_exception_fp_ieee_div_zero 0
		.amdhsa_exception_fp_ieee_overflow 0
		.amdhsa_exception_fp_ieee_underflow 0
		.amdhsa_exception_fp_ieee_inexact 0
		.amdhsa_exception_int_div_zero 0
	.end_amdhsa_kernel
	.section	.text._ZN7rocprim17ROCPRIM_400000_NS6detail17trampoline_kernelINS0_14default_configENS1_21merge_config_selectorINS0_5tupleIJyyEEENS0_10empty_typeEEEZNS1_10merge_implIS3_NS0_12zip_iteratorINS5_IJN6thrust23THRUST_200600_302600_NS6detail15normal_iteratorINSC_10device_ptrIKyEEEESI_EEEEESK_NSA_INS5_IJNSE_INSF_IyEEEESM_EEEEEPS7_SP_SP_NSC_11hip_rocprim7__merge17predicate_wrapperIyyNSC_4lessIyEEEEEE10hipError_tPvRmT0_T1_T2_T3_T4_T5_mmT6_P12ihipStream_tbEUlT_E0_NS1_11comp_targetILNS1_3genE10ELNS1_11target_archE1201ELNS1_3gpuE5ELNS1_3repE0EEENS1_30default_config_static_selectorELNS0_4arch9wavefront6targetE0EEEvS10_,"axG",@progbits,_ZN7rocprim17ROCPRIM_400000_NS6detail17trampoline_kernelINS0_14default_configENS1_21merge_config_selectorINS0_5tupleIJyyEEENS0_10empty_typeEEEZNS1_10merge_implIS3_NS0_12zip_iteratorINS5_IJN6thrust23THRUST_200600_302600_NS6detail15normal_iteratorINSC_10device_ptrIKyEEEESI_EEEEESK_NSA_INS5_IJNSE_INSF_IyEEEESM_EEEEEPS7_SP_SP_NSC_11hip_rocprim7__merge17predicate_wrapperIyyNSC_4lessIyEEEEEE10hipError_tPvRmT0_T1_T2_T3_T4_T5_mmT6_P12ihipStream_tbEUlT_E0_NS1_11comp_targetILNS1_3genE10ELNS1_11target_archE1201ELNS1_3gpuE5ELNS1_3repE0EEENS1_30default_config_static_selectorELNS0_4arch9wavefront6targetE0EEEvS10_,comdat
.Lfunc_end110:
	.size	_ZN7rocprim17ROCPRIM_400000_NS6detail17trampoline_kernelINS0_14default_configENS1_21merge_config_selectorINS0_5tupleIJyyEEENS0_10empty_typeEEEZNS1_10merge_implIS3_NS0_12zip_iteratorINS5_IJN6thrust23THRUST_200600_302600_NS6detail15normal_iteratorINSC_10device_ptrIKyEEEESI_EEEEESK_NSA_INS5_IJNSE_INSF_IyEEEESM_EEEEEPS7_SP_SP_NSC_11hip_rocprim7__merge17predicate_wrapperIyyNSC_4lessIyEEEEEE10hipError_tPvRmT0_T1_T2_T3_T4_T5_mmT6_P12ihipStream_tbEUlT_E0_NS1_11comp_targetILNS1_3genE10ELNS1_11target_archE1201ELNS1_3gpuE5ELNS1_3repE0EEENS1_30default_config_static_selectorELNS0_4arch9wavefront6targetE0EEEvS10_, .Lfunc_end110-_ZN7rocprim17ROCPRIM_400000_NS6detail17trampoline_kernelINS0_14default_configENS1_21merge_config_selectorINS0_5tupleIJyyEEENS0_10empty_typeEEEZNS1_10merge_implIS3_NS0_12zip_iteratorINS5_IJN6thrust23THRUST_200600_302600_NS6detail15normal_iteratorINSC_10device_ptrIKyEEEESI_EEEEESK_NSA_INS5_IJNSE_INSF_IyEEEESM_EEEEEPS7_SP_SP_NSC_11hip_rocprim7__merge17predicate_wrapperIyyNSC_4lessIyEEEEEE10hipError_tPvRmT0_T1_T2_T3_T4_T5_mmT6_P12ihipStream_tbEUlT_E0_NS1_11comp_targetILNS1_3genE10ELNS1_11target_archE1201ELNS1_3gpuE5ELNS1_3repE0EEENS1_30default_config_static_selectorELNS0_4arch9wavefront6targetE0EEEvS10_
                                        ; -- End function
	.set _ZN7rocprim17ROCPRIM_400000_NS6detail17trampoline_kernelINS0_14default_configENS1_21merge_config_selectorINS0_5tupleIJyyEEENS0_10empty_typeEEEZNS1_10merge_implIS3_NS0_12zip_iteratorINS5_IJN6thrust23THRUST_200600_302600_NS6detail15normal_iteratorINSC_10device_ptrIKyEEEESI_EEEEESK_NSA_INS5_IJNSE_INSF_IyEEEESM_EEEEEPS7_SP_SP_NSC_11hip_rocprim7__merge17predicate_wrapperIyyNSC_4lessIyEEEEEE10hipError_tPvRmT0_T1_T2_T3_T4_T5_mmT6_P12ihipStream_tbEUlT_E0_NS1_11comp_targetILNS1_3genE10ELNS1_11target_archE1201ELNS1_3gpuE5ELNS1_3repE0EEENS1_30default_config_static_selectorELNS0_4arch9wavefront6targetE0EEEvS10_.num_vgpr, 0
	.set _ZN7rocprim17ROCPRIM_400000_NS6detail17trampoline_kernelINS0_14default_configENS1_21merge_config_selectorINS0_5tupleIJyyEEENS0_10empty_typeEEEZNS1_10merge_implIS3_NS0_12zip_iteratorINS5_IJN6thrust23THRUST_200600_302600_NS6detail15normal_iteratorINSC_10device_ptrIKyEEEESI_EEEEESK_NSA_INS5_IJNSE_INSF_IyEEEESM_EEEEEPS7_SP_SP_NSC_11hip_rocprim7__merge17predicate_wrapperIyyNSC_4lessIyEEEEEE10hipError_tPvRmT0_T1_T2_T3_T4_T5_mmT6_P12ihipStream_tbEUlT_E0_NS1_11comp_targetILNS1_3genE10ELNS1_11target_archE1201ELNS1_3gpuE5ELNS1_3repE0EEENS1_30default_config_static_selectorELNS0_4arch9wavefront6targetE0EEEvS10_.num_agpr, 0
	.set _ZN7rocprim17ROCPRIM_400000_NS6detail17trampoline_kernelINS0_14default_configENS1_21merge_config_selectorINS0_5tupleIJyyEEENS0_10empty_typeEEEZNS1_10merge_implIS3_NS0_12zip_iteratorINS5_IJN6thrust23THRUST_200600_302600_NS6detail15normal_iteratorINSC_10device_ptrIKyEEEESI_EEEEESK_NSA_INS5_IJNSE_INSF_IyEEEESM_EEEEEPS7_SP_SP_NSC_11hip_rocprim7__merge17predicate_wrapperIyyNSC_4lessIyEEEEEE10hipError_tPvRmT0_T1_T2_T3_T4_T5_mmT6_P12ihipStream_tbEUlT_E0_NS1_11comp_targetILNS1_3genE10ELNS1_11target_archE1201ELNS1_3gpuE5ELNS1_3repE0EEENS1_30default_config_static_selectorELNS0_4arch9wavefront6targetE0EEEvS10_.numbered_sgpr, 0
	.set _ZN7rocprim17ROCPRIM_400000_NS6detail17trampoline_kernelINS0_14default_configENS1_21merge_config_selectorINS0_5tupleIJyyEEENS0_10empty_typeEEEZNS1_10merge_implIS3_NS0_12zip_iteratorINS5_IJN6thrust23THRUST_200600_302600_NS6detail15normal_iteratorINSC_10device_ptrIKyEEEESI_EEEEESK_NSA_INS5_IJNSE_INSF_IyEEEESM_EEEEEPS7_SP_SP_NSC_11hip_rocprim7__merge17predicate_wrapperIyyNSC_4lessIyEEEEEE10hipError_tPvRmT0_T1_T2_T3_T4_T5_mmT6_P12ihipStream_tbEUlT_E0_NS1_11comp_targetILNS1_3genE10ELNS1_11target_archE1201ELNS1_3gpuE5ELNS1_3repE0EEENS1_30default_config_static_selectorELNS0_4arch9wavefront6targetE0EEEvS10_.num_named_barrier, 0
	.set _ZN7rocprim17ROCPRIM_400000_NS6detail17trampoline_kernelINS0_14default_configENS1_21merge_config_selectorINS0_5tupleIJyyEEENS0_10empty_typeEEEZNS1_10merge_implIS3_NS0_12zip_iteratorINS5_IJN6thrust23THRUST_200600_302600_NS6detail15normal_iteratorINSC_10device_ptrIKyEEEESI_EEEEESK_NSA_INS5_IJNSE_INSF_IyEEEESM_EEEEEPS7_SP_SP_NSC_11hip_rocprim7__merge17predicate_wrapperIyyNSC_4lessIyEEEEEE10hipError_tPvRmT0_T1_T2_T3_T4_T5_mmT6_P12ihipStream_tbEUlT_E0_NS1_11comp_targetILNS1_3genE10ELNS1_11target_archE1201ELNS1_3gpuE5ELNS1_3repE0EEENS1_30default_config_static_selectorELNS0_4arch9wavefront6targetE0EEEvS10_.private_seg_size, 0
	.set _ZN7rocprim17ROCPRIM_400000_NS6detail17trampoline_kernelINS0_14default_configENS1_21merge_config_selectorINS0_5tupleIJyyEEENS0_10empty_typeEEEZNS1_10merge_implIS3_NS0_12zip_iteratorINS5_IJN6thrust23THRUST_200600_302600_NS6detail15normal_iteratorINSC_10device_ptrIKyEEEESI_EEEEESK_NSA_INS5_IJNSE_INSF_IyEEEESM_EEEEEPS7_SP_SP_NSC_11hip_rocprim7__merge17predicate_wrapperIyyNSC_4lessIyEEEEEE10hipError_tPvRmT0_T1_T2_T3_T4_T5_mmT6_P12ihipStream_tbEUlT_E0_NS1_11comp_targetILNS1_3genE10ELNS1_11target_archE1201ELNS1_3gpuE5ELNS1_3repE0EEENS1_30default_config_static_selectorELNS0_4arch9wavefront6targetE0EEEvS10_.uses_vcc, 0
	.set _ZN7rocprim17ROCPRIM_400000_NS6detail17trampoline_kernelINS0_14default_configENS1_21merge_config_selectorINS0_5tupleIJyyEEENS0_10empty_typeEEEZNS1_10merge_implIS3_NS0_12zip_iteratorINS5_IJN6thrust23THRUST_200600_302600_NS6detail15normal_iteratorINSC_10device_ptrIKyEEEESI_EEEEESK_NSA_INS5_IJNSE_INSF_IyEEEESM_EEEEEPS7_SP_SP_NSC_11hip_rocprim7__merge17predicate_wrapperIyyNSC_4lessIyEEEEEE10hipError_tPvRmT0_T1_T2_T3_T4_T5_mmT6_P12ihipStream_tbEUlT_E0_NS1_11comp_targetILNS1_3genE10ELNS1_11target_archE1201ELNS1_3gpuE5ELNS1_3repE0EEENS1_30default_config_static_selectorELNS0_4arch9wavefront6targetE0EEEvS10_.uses_flat_scratch, 0
	.set _ZN7rocprim17ROCPRIM_400000_NS6detail17trampoline_kernelINS0_14default_configENS1_21merge_config_selectorINS0_5tupleIJyyEEENS0_10empty_typeEEEZNS1_10merge_implIS3_NS0_12zip_iteratorINS5_IJN6thrust23THRUST_200600_302600_NS6detail15normal_iteratorINSC_10device_ptrIKyEEEESI_EEEEESK_NSA_INS5_IJNSE_INSF_IyEEEESM_EEEEEPS7_SP_SP_NSC_11hip_rocprim7__merge17predicate_wrapperIyyNSC_4lessIyEEEEEE10hipError_tPvRmT0_T1_T2_T3_T4_T5_mmT6_P12ihipStream_tbEUlT_E0_NS1_11comp_targetILNS1_3genE10ELNS1_11target_archE1201ELNS1_3gpuE5ELNS1_3repE0EEENS1_30default_config_static_selectorELNS0_4arch9wavefront6targetE0EEEvS10_.has_dyn_sized_stack, 0
	.set _ZN7rocprim17ROCPRIM_400000_NS6detail17trampoline_kernelINS0_14default_configENS1_21merge_config_selectorINS0_5tupleIJyyEEENS0_10empty_typeEEEZNS1_10merge_implIS3_NS0_12zip_iteratorINS5_IJN6thrust23THRUST_200600_302600_NS6detail15normal_iteratorINSC_10device_ptrIKyEEEESI_EEEEESK_NSA_INS5_IJNSE_INSF_IyEEEESM_EEEEEPS7_SP_SP_NSC_11hip_rocprim7__merge17predicate_wrapperIyyNSC_4lessIyEEEEEE10hipError_tPvRmT0_T1_T2_T3_T4_T5_mmT6_P12ihipStream_tbEUlT_E0_NS1_11comp_targetILNS1_3genE10ELNS1_11target_archE1201ELNS1_3gpuE5ELNS1_3repE0EEENS1_30default_config_static_selectorELNS0_4arch9wavefront6targetE0EEEvS10_.has_recursion, 0
	.set _ZN7rocprim17ROCPRIM_400000_NS6detail17trampoline_kernelINS0_14default_configENS1_21merge_config_selectorINS0_5tupleIJyyEEENS0_10empty_typeEEEZNS1_10merge_implIS3_NS0_12zip_iteratorINS5_IJN6thrust23THRUST_200600_302600_NS6detail15normal_iteratorINSC_10device_ptrIKyEEEESI_EEEEESK_NSA_INS5_IJNSE_INSF_IyEEEESM_EEEEEPS7_SP_SP_NSC_11hip_rocprim7__merge17predicate_wrapperIyyNSC_4lessIyEEEEEE10hipError_tPvRmT0_T1_T2_T3_T4_T5_mmT6_P12ihipStream_tbEUlT_E0_NS1_11comp_targetILNS1_3genE10ELNS1_11target_archE1201ELNS1_3gpuE5ELNS1_3repE0EEENS1_30default_config_static_selectorELNS0_4arch9wavefront6targetE0EEEvS10_.has_indirect_call, 0
	.section	.AMDGPU.csdata,"",@progbits
; Kernel info:
; codeLenInByte = 0
; TotalNumSgprs: 0
; NumVgprs: 0
; ScratchSize: 0
; MemoryBound: 0
; FloatMode: 240
; IeeeMode: 1
; LDSByteSize: 0 bytes/workgroup (compile time only)
; SGPRBlocks: 0
; VGPRBlocks: 0
; NumSGPRsForWavesPerEU: 1
; NumVGPRsForWavesPerEU: 1
; Occupancy: 16
; WaveLimiterHint : 0
; COMPUTE_PGM_RSRC2:SCRATCH_EN: 0
; COMPUTE_PGM_RSRC2:USER_SGPR: 6
; COMPUTE_PGM_RSRC2:TRAP_HANDLER: 0
; COMPUTE_PGM_RSRC2:TGID_X_EN: 1
; COMPUTE_PGM_RSRC2:TGID_Y_EN: 0
; COMPUTE_PGM_RSRC2:TGID_Z_EN: 0
; COMPUTE_PGM_RSRC2:TIDIG_COMP_CNT: 0
	.section	.text._ZN7rocprim17ROCPRIM_400000_NS6detail17trampoline_kernelINS0_14default_configENS1_21merge_config_selectorINS0_5tupleIJyyEEENS0_10empty_typeEEEZNS1_10merge_implIS3_NS0_12zip_iteratorINS5_IJN6thrust23THRUST_200600_302600_NS6detail15normal_iteratorINSC_10device_ptrIKyEEEESI_EEEEESK_NSA_INS5_IJNSE_INSF_IyEEEESM_EEEEEPS7_SP_SP_NSC_11hip_rocprim7__merge17predicate_wrapperIyyNSC_4lessIyEEEEEE10hipError_tPvRmT0_T1_T2_T3_T4_T5_mmT6_P12ihipStream_tbEUlT_E0_NS1_11comp_targetILNS1_3genE10ELNS1_11target_archE1200ELNS1_3gpuE4ELNS1_3repE0EEENS1_30default_config_static_selectorELNS0_4arch9wavefront6targetE0EEEvS10_,"axG",@progbits,_ZN7rocprim17ROCPRIM_400000_NS6detail17trampoline_kernelINS0_14default_configENS1_21merge_config_selectorINS0_5tupleIJyyEEENS0_10empty_typeEEEZNS1_10merge_implIS3_NS0_12zip_iteratorINS5_IJN6thrust23THRUST_200600_302600_NS6detail15normal_iteratorINSC_10device_ptrIKyEEEESI_EEEEESK_NSA_INS5_IJNSE_INSF_IyEEEESM_EEEEEPS7_SP_SP_NSC_11hip_rocprim7__merge17predicate_wrapperIyyNSC_4lessIyEEEEEE10hipError_tPvRmT0_T1_T2_T3_T4_T5_mmT6_P12ihipStream_tbEUlT_E0_NS1_11comp_targetILNS1_3genE10ELNS1_11target_archE1200ELNS1_3gpuE4ELNS1_3repE0EEENS1_30default_config_static_selectorELNS0_4arch9wavefront6targetE0EEEvS10_,comdat
	.protected	_ZN7rocprim17ROCPRIM_400000_NS6detail17trampoline_kernelINS0_14default_configENS1_21merge_config_selectorINS0_5tupleIJyyEEENS0_10empty_typeEEEZNS1_10merge_implIS3_NS0_12zip_iteratorINS5_IJN6thrust23THRUST_200600_302600_NS6detail15normal_iteratorINSC_10device_ptrIKyEEEESI_EEEEESK_NSA_INS5_IJNSE_INSF_IyEEEESM_EEEEEPS7_SP_SP_NSC_11hip_rocprim7__merge17predicate_wrapperIyyNSC_4lessIyEEEEEE10hipError_tPvRmT0_T1_T2_T3_T4_T5_mmT6_P12ihipStream_tbEUlT_E0_NS1_11comp_targetILNS1_3genE10ELNS1_11target_archE1200ELNS1_3gpuE4ELNS1_3repE0EEENS1_30default_config_static_selectorELNS0_4arch9wavefront6targetE0EEEvS10_ ; -- Begin function _ZN7rocprim17ROCPRIM_400000_NS6detail17trampoline_kernelINS0_14default_configENS1_21merge_config_selectorINS0_5tupleIJyyEEENS0_10empty_typeEEEZNS1_10merge_implIS3_NS0_12zip_iteratorINS5_IJN6thrust23THRUST_200600_302600_NS6detail15normal_iteratorINSC_10device_ptrIKyEEEESI_EEEEESK_NSA_INS5_IJNSE_INSF_IyEEEESM_EEEEEPS7_SP_SP_NSC_11hip_rocprim7__merge17predicate_wrapperIyyNSC_4lessIyEEEEEE10hipError_tPvRmT0_T1_T2_T3_T4_T5_mmT6_P12ihipStream_tbEUlT_E0_NS1_11comp_targetILNS1_3genE10ELNS1_11target_archE1200ELNS1_3gpuE4ELNS1_3repE0EEENS1_30default_config_static_selectorELNS0_4arch9wavefront6targetE0EEEvS10_
	.globl	_ZN7rocprim17ROCPRIM_400000_NS6detail17trampoline_kernelINS0_14default_configENS1_21merge_config_selectorINS0_5tupleIJyyEEENS0_10empty_typeEEEZNS1_10merge_implIS3_NS0_12zip_iteratorINS5_IJN6thrust23THRUST_200600_302600_NS6detail15normal_iteratorINSC_10device_ptrIKyEEEESI_EEEEESK_NSA_INS5_IJNSE_INSF_IyEEEESM_EEEEEPS7_SP_SP_NSC_11hip_rocprim7__merge17predicate_wrapperIyyNSC_4lessIyEEEEEE10hipError_tPvRmT0_T1_T2_T3_T4_T5_mmT6_P12ihipStream_tbEUlT_E0_NS1_11comp_targetILNS1_3genE10ELNS1_11target_archE1200ELNS1_3gpuE4ELNS1_3repE0EEENS1_30default_config_static_selectorELNS0_4arch9wavefront6targetE0EEEvS10_
	.p2align	8
	.type	_ZN7rocprim17ROCPRIM_400000_NS6detail17trampoline_kernelINS0_14default_configENS1_21merge_config_selectorINS0_5tupleIJyyEEENS0_10empty_typeEEEZNS1_10merge_implIS3_NS0_12zip_iteratorINS5_IJN6thrust23THRUST_200600_302600_NS6detail15normal_iteratorINSC_10device_ptrIKyEEEESI_EEEEESK_NSA_INS5_IJNSE_INSF_IyEEEESM_EEEEEPS7_SP_SP_NSC_11hip_rocprim7__merge17predicate_wrapperIyyNSC_4lessIyEEEEEE10hipError_tPvRmT0_T1_T2_T3_T4_T5_mmT6_P12ihipStream_tbEUlT_E0_NS1_11comp_targetILNS1_3genE10ELNS1_11target_archE1200ELNS1_3gpuE4ELNS1_3repE0EEENS1_30default_config_static_selectorELNS0_4arch9wavefront6targetE0EEEvS10_,@function
_ZN7rocprim17ROCPRIM_400000_NS6detail17trampoline_kernelINS0_14default_configENS1_21merge_config_selectorINS0_5tupleIJyyEEENS0_10empty_typeEEEZNS1_10merge_implIS3_NS0_12zip_iteratorINS5_IJN6thrust23THRUST_200600_302600_NS6detail15normal_iteratorINSC_10device_ptrIKyEEEESI_EEEEESK_NSA_INS5_IJNSE_INSF_IyEEEESM_EEEEEPS7_SP_SP_NSC_11hip_rocprim7__merge17predicate_wrapperIyyNSC_4lessIyEEEEEE10hipError_tPvRmT0_T1_T2_T3_T4_T5_mmT6_P12ihipStream_tbEUlT_E0_NS1_11comp_targetILNS1_3genE10ELNS1_11target_archE1200ELNS1_3gpuE4ELNS1_3repE0EEENS1_30default_config_static_selectorELNS0_4arch9wavefront6targetE0EEEvS10_: ; @_ZN7rocprim17ROCPRIM_400000_NS6detail17trampoline_kernelINS0_14default_configENS1_21merge_config_selectorINS0_5tupleIJyyEEENS0_10empty_typeEEEZNS1_10merge_implIS3_NS0_12zip_iteratorINS5_IJN6thrust23THRUST_200600_302600_NS6detail15normal_iteratorINSC_10device_ptrIKyEEEESI_EEEEESK_NSA_INS5_IJNSE_INSF_IyEEEESM_EEEEEPS7_SP_SP_NSC_11hip_rocprim7__merge17predicate_wrapperIyyNSC_4lessIyEEEEEE10hipError_tPvRmT0_T1_T2_T3_T4_T5_mmT6_P12ihipStream_tbEUlT_E0_NS1_11comp_targetILNS1_3genE10ELNS1_11target_archE1200ELNS1_3gpuE4ELNS1_3repE0EEENS1_30default_config_static_selectorELNS0_4arch9wavefront6targetE0EEEvS10_
; %bb.0:
	.section	.rodata,"a",@progbits
	.p2align	6, 0x0
	.amdhsa_kernel _ZN7rocprim17ROCPRIM_400000_NS6detail17trampoline_kernelINS0_14default_configENS1_21merge_config_selectorINS0_5tupleIJyyEEENS0_10empty_typeEEEZNS1_10merge_implIS3_NS0_12zip_iteratorINS5_IJN6thrust23THRUST_200600_302600_NS6detail15normal_iteratorINSC_10device_ptrIKyEEEESI_EEEEESK_NSA_INS5_IJNSE_INSF_IyEEEESM_EEEEEPS7_SP_SP_NSC_11hip_rocprim7__merge17predicate_wrapperIyyNSC_4lessIyEEEEEE10hipError_tPvRmT0_T1_T2_T3_T4_T5_mmT6_P12ihipStream_tbEUlT_E0_NS1_11comp_targetILNS1_3genE10ELNS1_11target_archE1200ELNS1_3gpuE4ELNS1_3repE0EEENS1_30default_config_static_selectorELNS0_4arch9wavefront6targetE0EEEvS10_
		.amdhsa_group_segment_fixed_size 0
		.amdhsa_private_segment_fixed_size 0
		.amdhsa_kernarg_size 112
		.amdhsa_user_sgpr_count 6
		.amdhsa_user_sgpr_private_segment_buffer 1
		.amdhsa_user_sgpr_dispatch_ptr 0
		.amdhsa_user_sgpr_queue_ptr 0
		.amdhsa_user_sgpr_kernarg_segment_ptr 1
		.amdhsa_user_sgpr_dispatch_id 0
		.amdhsa_user_sgpr_flat_scratch_init 0
		.amdhsa_user_sgpr_private_segment_size 0
		.amdhsa_wavefront_size32 1
		.amdhsa_uses_dynamic_stack 0
		.amdhsa_system_sgpr_private_segment_wavefront_offset 0
		.amdhsa_system_sgpr_workgroup_id_x 1
		.amdhsa_system_sgpr_workgroup_id_y 0
		.amdhsa_system_sgpr_workgroup_id_z 0
		.amdhsa_system_sgpr_workgroup_info 0
		.amdhsa_system_vgpr_workitem_id 0
		.amdhsa_next_free_vgpr 1
		.amdhsa_next_free_sgpr 1
		.amdhsa_reserve_vcc 0
		.amdhsa_reserve_flat_scratch 0
		.amdhsa_float_round_mode_32 0
		.amdhsa_float_round_mode_16_64 0
		.amdhsa_float_denorm_mode_32 3
		.amdhsa_float_denorm_mode_16_64 3
		.amdhsa_dx10_clamp 1
		.amdhsa_ieee_mode 1
		.amdhsa_fp16_overflow 0
		.amdhsa_workgroup_processor_mode 1
		.amdhsa_memory_ordered 1
		.amdhsa_forward_progress 1
		.amdhsa_shared_vgpr_count 0
		.amdhsa_exception_fp_ieee_invalid_op 0
		.amdhsa_exception_fp_denorm_src 0
		.amdhsa_exception_fp_ieee_div_zero 0
		.amdhsa_exception_fp_ieee_overflow 0
		.amdhsa_exception_fp_ieee_underflow 0
		.amdhsa_exception_fp_ieee_inexact 0
		.amdhsa_exception_int_div_zero 0
	.end_amdhsa_kernel
	.section	.text._ZN7rocprim17ROCPRIM_400000_NS6detail17trampoline_kernelINS0_14default_configENS1_21merge_config_selectorINS0_5tupleIJyyEEENS0_10empty_typeEEEZNS1_10merge_implIS3_NS0_12zip_iteratorINS5_IJN6thrust23THRUST_200600_302600_NS6detail15normal_iteratorINSC_10device_ptrIKyEEEESI_EEEEESK_NSA_INS5_IJNSE_INSF_IyEEEESM_EEEEEPS7_SP_SP_NSC_11hip_rocprim7__merge17predicate_wrapperIyyNSC_4lessIyEEEEEE10hipError_tPvRmT0_T1_T2_T3_T4_T5_mmT6_P12ihipStream_tbEUlT_E0_NS1_11comp_targetILNS1_3genE10ELNS1_11target_archE1200ELNS1_3gpuE4ELNS1_3repE0EEENS1_30default_config_static_selectorELNS0_4arch9wavefront6targetE0EEEvS10_,"axG",@progbits,_ZN7rocprim17ROCPRIM_400000_NS6detail17trampoline_kernelINS0_14default_configENS1_21merge_config_selectorINS0_5tupleIJyyEEENS0_10empty_typeEEEZNS1_10merge_implIS3_NS0_12zip_iteratorINS5_IJN6thrust23THRUST_200600_302600_NS6detail15normal_iteratorINSC_10device_ptrIKyEEEESI_EEEEESK_NSA_INS5_IJNSE_INSF_IyEEEESM_EEEEEPS7_SP_SP_NSC_11hip_rocprim7__merge17predicate_wrapperIyyNSC_4lessIyEEEEEE10hipError_tPvRmT0_T1_T2_T3_T4_T5_mmT6_P12ihipStream_tbEUlT_E0_NS1_11comp_targetILNS1_3genE10ELNS1_11target_archE1200ELNS1_3gpuE4ELNS1_3repE0EEENS1_30default_config_static_selectorELNS0_4arch9wavefront6targetE0EEEvS10_,comdat
.Lfunc_end111:
	.size	_ZN7rocprim17ROCPRIM_400000_NS6detail17trampoline_kernelINS0_14default_configENS1_21merge_config_selectorINS0_5tupleIJyyEEENS0_10empty_typeEEEZNS1_10merge_implIS3_NS0_12zip_iteratorINS5_IJN6thrust23THRUST_200600_302600_NS6detail15normal_iteratorINSC_10device_ptrIKyEEEESI_EEEEESK_NSA_INS5_IJNSE_INSF_IyEEEESM_EEEEEPS7_SP_SP_NSC_11hip_rocprim7__merge17predicate_wrapperIyyNSC_4lessIyEEEEEE10hipError_tPvRmT0_T1_T2_T3_T4_T5_mmT6_P12ihipStream_tbEUlT_E0_NS1_11comp_targetILNS1_3genE10ELNS1_11target_archE1200ELNS1_3gpuE4ELNS1_3repE0EEENS1_30default_config_static_selectorELNS0_4arch9wavefront6targetE0EEEvS10_, .Lfunc_end111-_ZN7rocprim17ROCPRIM_400000_NS6detail17trampoline_kernelINS0_14default_configENS1_21merge_config_selectorINS0_5tupleIJyyEEENS0_10empty_typeEEEZNS1_10merge_implIS3_NS0_12zip_iteratorINS5_IJN6thrust23THRUST_200600_302600_NS6detail15normal_iteratorINSC_10device_ptrIKyEEEESI_EEEEESK_NSA_INS5_IJNSE_INSF_IyEEEESM_EEEEEPS7_SP_SP_NSC_11hip_rocprim7__merge17predicate_wrapperIyyNSC_4lessIyEEEEEE10hipError_tPvRmT0_T1_T2_T3_T4_T5_mmT6_P12ihipStream_tbEUlT_E0_NS1_11comp_targetILNS1_3genE10ELNS1_11target_archE1200ELNS1_3gpuE4ELNS1_3repE0EEENS1_30default_config_static_selectorELNS0_4arch9wavefront6targetE0EEEvS10_
                                        ; -- End function
	.set _ZN7rocprim17ROCPRIM_400000_NS6detail17trampoline_kernelINS0_14default_configENS1_21merge_config_selectorINS0_5tupleIJyyEEENS0_10empty_typeEEEZNS1_10merge_implIS3_NS0_12zip_iteratorINS5_IJN6thrust23THRUST_200600_302600_NS6detail15normal_iteratorINSC_10device_ptrIKyEEEESI_EEEEESK_NSA_INS5_IJNSE_INSF_IyEEEESM_EEEEEPS7_SP_SP_NSC_11hip_rocprim7__merge17predicate_wrapperIyyNSC_4lessIyEEEEEE10hipError_tPvRmT0_T1_T2_T3_T4_T5_mmT6_P12ihipStream_tbEUlT_E0_NS1_11comp_targetILNS1_3genE10ELNS1_11target_archE1200ELNS1_3gpuE4ELNS1_3repE0EEENS1_30default_config_static_selectorELNS0_4arch9wavefront6targetE0EEEvS10_.num_vgpr, 0
	.set _ZN7rocprim17ROCPRIM_400000_NS6detail17trampoline_kernelINS0_14default_configENS1_21merge_config_selectorINS0_5tupleIJyyEEENS0_10empty_typeEEEZNS1_10merge_implIS3_NS0_12zip_iteratorINS5_IJN6thrust23THRUST_200600_302600_NS6detail15normal_iteratorINSC_10device_ptrIKyEEEESI_EEEEESK_NSA_INS5_IJNSE_INSF_IyEEEESM_EEEEEPS7_SP_SP_NSC_11hip_rocprim7__merge17predicate_wrapperIyyNSC_4lessIyEEEEEE10hipError_tPvRmT0_T1_T2_T3_T4_T5_mmT6_P12ihipStream_tbEUlT_E0_NS1_11comp_targetILNS1_3genE10ELNS1_11target_archE1200ELNS1_3gpuE4ELNS1_3repE0EEENS1_30default_config_static_selectorELNS0_4arch9wavefront6targetE0EEEvS10_.num_agpr, 0
	.set _ZN7rocprim17ROCPRIM_400000_NS6detail17trampoline_kernelINS0_14default_configENS1_21merge_config_selectorINS0_5tupleIJyyEEENS0_10empty_typeEEEZNS1_10merge_implIS3_NS0_12zip_iteratorINS5_IJN6thrust23THRUST_200600_302600_NS6detail15normal_iteratorINSC_10device_ptrIKyEEEESI_EEEEESK_NSA_INS5_IJNSE_INSF_IyEEEESM_EEEEEPS7_SP_SP_NSC_11hip_rocprim7__merge17predicate_wrapperIyyNSC_4lessIyEEEEEE10hipError_tPvRmT0_T1_T2_T3_T4_T5_mmT6_P12ihipStream_tbEUlT_E0_NS1_11comp_targetILNS1_3genE10ELNS1_11target_archE1200ELNS1_3gpuE4ELNS1_3repE0EEENS1_30default_config_static_selectorELNS0_4arch9wavefront6targetE0EEEvS10_.numbered_sgpr, 0
	.set _ZN7rocprim17ROCPRIM_400000_NS6detail17trampoline_kernelINS0_14default_configENS1_21merge_config_selectorINS0_5tupleIJyyEEENS0_10empty_typeEEEZNS1_10merge_implIS3_NS0_12zip_iteratorINS5_IJN6thrust23THRUST_200600_302600_NS6detail15normal_iteratorINSC_10device_ptrIKyEEEESI_EEEEESK_NSA_INS5_IJNSE_INSF_IyEEEESM_EEEEEPS7_SP_SP_NSC_11hip_rocprim7__merge17predicate_wrapperIyyNSC_4lessIyEEEEEE10hipError_tPvRmT0_T1_T2_T3_T4_T5_mmT6_P12ihipStream_tbEUlT_E0_NS1_11comp_targetILNS1_3genE10ELNS1_11target_archE1200ELNS1_3gpuE4ELNS1_3repE0EEENS1_30default_config_static_selectorELNS0_4arch9wavefront6targetE0EEEvS10_.num_named_barrier, 0
	.set _ZN7rocprim17ROCPRIM_400000_NS6detail17trampoline_kernelINS0_14default_configENS1_21merge_config_selectorINS0_5tupleIJyyEEENS0_10empty_typeEEEZNS1_10merge_implIS3_NS0_12zip_iteratorINS5_IJN6thrust23THRUST_200600_302600_NS6detail15normal_iteratorINSC_10device_ptrIKyEEEESI_EEEEESK_NSA_INS5_IJNSE_INSF_IyEEEESM_EEEEEPS7_SP_SP_NSC_11hip_rocprim7__merge17predicate_wrapperIyyNSC_4lessIyEEEEEE10hipError_tPvRmT0_T1_T2_T3_T4_T5_mmT6_P12ihipStream_tbEUlT_E0_NS1_11comp_targetILNS1_3genE10ELNS1_11target_archE1200ELNS1_3gpuE4ELNS1_3repE0EEENS1_30default_config_static_selectorELNS0_4arch9wavefront6targetE0EEEvS10_.private_seg_size, 0
	.set _ZN7rocprim17ROCPRIM_400000_NS6detail17trampoline_kernelINS0_14default_configENS1_21merge_config_selectorINS0_5tupleIJyyEEENS0_10empty_typeEEEZNS1_10merge_implIS3_NS0_12zip_iteratorINS5_IJN6thrust23THRUST_200600_302600_NS6detail15normal_iteratorINSC_10device_ptrIKyEEEESI_EEEEESK_NSA_INS5_IJNSE_INSF_IyEEEESM_EEEEEPS7_SP_SP_NSC_11hip_rocprim7__merge17predicate_wrapperIyyNSC_4lessIyEEEEEE10hipError_tPvRmT0_T1_T2_T3_T4_T5_mmT6_P12ihipStream_tbEUlT_E0_NS1_11comp_targetILNS1_3genE10ELNS1_11target_archE1200ELNS1_3gpuE4ELNS1_3repE0EEENS1_30default_config_static_selectorELNS0_4arch9wavefront6targetE0EEEvS10_.uses_vcc, 0
	.set _ZN7rocprim17ROCPRIM_400000_NS6detail17trampoline_kernelINS0_14default_configENS1_21merge_config_selectorINS0_5tupleIJyyEEENS0_10empty_typeEEEZNS1_10merge_implIS3_NS0_12zip_iteratorINS5_IJN6thrust23THRUST_200600_302600_NS6detail15normal_iteratorINSC_10device_ptrIKyEEEESI_EEEEESK_NSA_INS5_IJNSE_INSF_IyEEEESM_EEEEEPS7_SP_SP_NSC_11hip_rocprim7__merge17predicate_wrapperIyyNSC_4lessIyEEEEEE10hipError_tPvRmT0_T1_T2_T3_T4_T5_mmT6_P12ihipStream_tbEUlT_E0_NS1_11comp_targetILNS1_3genE10ELNS1_11target_archE1200ELNS1_3gpuE4ELNS1_3repE0EEENS1_30default_config_static_selectorELNS0_4arch9wavefront6targetE0EEEvS10_.uses_flat_scratch, 0
	.set _ZN7rocprim17ROCPRIM_400000_NS6detail17trampoline_kernelINS0_14default_configENS1_21merge_config_selectorINS0_5tupleIJyyEEENS0_10empty_typeEEEZNS1_10merge_implIS3_NS0_12zip_iteratorINS5_IJN6thrust23THRUST_200600_302600_NS6detail15normal_iteratorINSC_10device_ptrIKyEEEESI_EEEEESK_NSA_INS5_IJNSE_INSF_IyEEEESM_EEEEEPS7_SP_SP_NSC_11hip_rocprim7__merge17predicate_wrapperIyyNSC_4lessIyEEEEEE10hipError_tPvRmT0_T1_T2_T3_T4_T5_mmT6_P12ihipStream_tbEUlT_E0_NS1_11comp_targetILNS1_3genE10ELNS1_11target_archE1200ELNS1_3gpuE4ELNS1_3repE0EEENS1_30default_config_static_selectorELNS0_4arch9wavefront6targetE0EEEvS10_.has_dyn_sized_stack, 0
	.set _ZN7rocprim17ROCPRIM_400000_NS6detail17trampoline_kernelINS0_14default_configENS1_21merge_config_selectorINS0_5tupleIJyyEEENS0_10empty_typeEEEZNS1_10merge_implIS3_NS0_12zip_iteratorINS5_IJN6thrust23THRUST_200600_302600_NS6detail15normal_iteratorINSC_10device_ptrIKyEEEESI_EEEEESK_NSA_INS5_IJNSE_INSF_IyEEEESM_EEEEEPS7_SP_SP_NSC_11hip_rocprim7__merge17predicate_wrapperIyyNSC_4lessIyEEEEEE10hipError_tPvRmT0_T1_T2_T3_T4_T5_mmT6_P12ihipStream_tbEUlT_E0_NS1_11comp_targetILNS1_3genE10ELNS1_11target_archE1200ELNS1_3gpuE4ELNS1_3repE0EEENS1_30default_config_static_selectorELNS0_4arch9wavefront6targetE0EEEvS10_.has_recursion, 0
	.set _ZN7rocprim17ROCPRIM_400000_NS6detail17trampoline_kernelINS0_14default_configENS1_21merge_config_selectorINS0_5tupleIJyyEEENS0_10empty_typeEEEZNS1_10merge_implIS3_NS0_12zip_iteratorINS5_IJN6thrust23THRUST_200600_302600_NS6detail15normal_iteratorINSC_10device_ptrIKyEEEESI_EEEEESK_NSA_INS5_IJNSE_INSF_IyEEEESM_EEEEEPS7_SP_SP_NSC_11hip_rocprim7__merge17predicate_wrapperIyyNSC_4lessIyEEEEEE10hipError_tPvRmT0_T1_T2_T3_T4_T5_mmT6_P12ihipStream_tbEUlT_E0_NS1_11comp_targetILNS1_3genE10ELNS1_11target_archE1200ELNS1_3gpuE4ELNS1_3repE0EEENS1_30default_config_static_selectorELNS0_4arch9wavefront6targetE0EEEvS10_.has_indirect_call, 0
	.section	.AMDGPU.csdata,"",@progbits
; Kernel info:
; codeLenInByte = 0
; TotalNumSgprs: 0
; NumVgprs: 0
; ScratchSize: 0
; MemoryBound: 0
; FloatMode: 240
; IeeeMode: 1
; LDSByteSize: 0 bytes/workgroup (compile time only)
; SGPRBlocks: 0
; VGPRBlocks: 0
; NumSGPRsForWavesPerEU: 1
; NumVGPRsForWavesPerEU: 1
; Occupancy: 16
; WaveLimiterHint : 0
; COMPUTE_PGM_RSRC2:SCRATCH_EN: 0
; COMPUTE_PGM_RSRC2:USER_SGPR: 6
; COMPUTE_PGM_RSRC2:TRAP_HANDLER: 0
; COMPUTE_PGM_RSRC2:TGID_X_EN: 1
; COMPUTE_PGM_RSRC2:TGID_Y_EN: 0
; COMPUTE_PGM_RSRC2:TGID_Z_EN: 0
; COMPUTE_PGM_RSRC2:TIDIG_COMP_CNT: 0
	.section	.text._ZN7rocprim17ROCPRIM_400000_NS6detail17trampoline_kernelINS0_14default_configENS1_21merge_config_selectorINS0_5tupleIJyyEEENS0_10empty_typeEEEZNS1_10merge_implIS3_NS0_12zip_iteratorINS5_IJN6thrust23THRUST_200600_302600_NS6detail15normal_iteratorINSC_10device_ptrIKyEEEESI_EEEEESK_NSA_INS5_IJNSE_INSF_IyEEEESM_EEEEEPS7_SP_SP_NSC_11hip_rocprim7__merge17predicate_wrapperIyyNSC_4lessIyEEEEEE10hipError_tPvRmT0_T1_T2_T3_T4_T5_mmT6_P12ihipStream_tbEUlT_E0_NS1_11comp_targetILNS1_3genE9ELNS1_11target_archE1100ELNS1_3gpuE3ELNS1_3repE0EEENS1_30default_config_static_selectorELNS0_4arch9wavefront6targetE0EEEvS10_,"axG",@progbits,_ZN7rocprim17ROCPRIM_400000_NS6detail17trampoline_kernelINS0_14default_configENS1_21merge_config_selectorINS0_5tupleIJyyEEENS0_10empty_typeEEEZNS1_10merge_implIS3_NS0_12zip_iteratorINS5_IJN6thrust23THRUST_200600_302600_NS6detail15normal_iteratorINSC_10device_ptrIKyEEEESI_EEEEESK_NSA_INS5_IJNSE_INSF_IyEEEESM_EEEEEPS7_SP_SP_NSC_11hip_rocprim7__merge17predicate_wrapperIyyNSC_4lessIyEEEEEE10hipError_tPvRmT0_T1_T2_T3_T4_T5_mmT6_P12ihipStream_tbEUlT_E0_NS1_11comp_targetILNS1_3genE9ELNS1_11target_archE1100ELNS1_3gpuE3ELNS1_3repE0EEENS1_30default_config_static_selectorELNS0_4arch9wavefront6targetE0EEEvS10_,comdat
	.protected	_ZN7rocprim17ROCPRIM_400000_NS6detail17trampoline_kernelINS0_14default_configENS1_21merge_config_selectorINS0_5tupleIJyyEEENS0_10empty_typeEEEZNS1_10merge_implIS3_NS0_12zip_iteratorINS5_IJN6thrust23THRUST_200600_302600_NS6detail15normal_iteratorINSC_10device_ptrIKyEEEESI_EEEEESK_NSA_INS5_IJNSE_INSF_IyEEEESM_EEEEEPS7_SP_SP_NSC_11hip_rocprim7__merge17predicate_wrapperIyyNSC_4lessIyEEEEEE10hipError_tPvRmT0_T1_T2_T3_T4_T5_mmT6_P12ihipStream_tbEUlT_E0_NS1_11comp_targetILNS1_3genE9ELNS1_11target_archE1100ELNS1_3gpuE3ELNS1_3repE0EEENS1_30default_config_static_selectorELNS0_4arch9wavefront6targetE0EEEvS10_ ; -- Begin function _ZN7rocprim17ROCPRIM_400000_NS6detail17trampoline_kernelINS0_14default_configENS1_21merge_config_selectorINS0_5tupleIJyyEEENS0_10empty_typeEEEZNS1_10merge_implIS3_NS0_12zip_iteratorINS5_IJN6thrust23THRUST_200600_302600_NS6detail15normal_iteratorINSC_10device_ptrIKyEEEESI_EEEEESK_NSA_INS5_IJNSE_INSF_IyEEEESM_EEEEEPS7_SP_SP_NSC_11hip_rocprim7__merge17predicate_wrapperIyyNSC_4lessIyEEEEEE10hipError_tPvRmT0_T1_T2_T3_T4_T5_mmT6_P12ihipStream_tbEUlT_E0_NS1_11comp_targetILNS1_3genE9ELNS1_11target_archE1100ELNS1_3gpuE3ELNS1_3repE0EEENS1_30default_config_static_selectorELNS0_4arch9wavefront6targetE0EEEvS10_
	.globl	_ZN7rocprim17ROCPRIM_400000_NS6detail17trampoline_kernelINS0_14default_configENS1_21merge_config_selectorINS0_5tupleIJyyEEENS0_10empty_typeEEEZNS1_10merge_implIS3_NS0_12zip_iteratorINS5_IJN6thrust23THRUST_200600_302600_NS6detail15normal_iteratorINSC_10device_ptrIKyEEEESI_EEEEESK_NSA_INS5_IJNSE_INSF_IyEEEESM_EEEEEPS7_SP_SP_NSC_11hip_rocprim7__merge17predicate_wrapperIyyNSC_4lessIyEEEEEE10hipError_tPvRmT0_T1_T2_T3_T4_T5_mmT6_P12ihipStream_tbEUlT_E0_NS1_11comp_targetILNS1_3genE9ELNS1_11target_archE1100ELNS1_3gpuE3ELNS1_3repE0EEENS1_30default_config_static_selectorELNS0_4arch9wavefront6targetE0EEEvS10_
	.p2align	8
	.type	_ZN7rocprim17ROCPRIM_400000_NS6detail17trampoline_kernelINS0_14default_configENS1_21merge_config_selectorINS0_5tupleIJyyEEENS0_10empty_typeEEEZNS1_10merge_implIS3_NS0_12zip_iteratorINS5_IJN6thrust23THRUST_200600_302600_NS6detail15normal_iteratorINSC_10device_ptrIKyEEEESI_EEEEESK_NSA_INS5_IJNSE_INSF_IyEEEESM_EEEEEPS7_SP_SP_NSC_11hip_rocprim7__merge17predicate_wrapperIyyNSC_4lessIyEEEEEE10hipError_tPvRmT0_T1_T2_T3_T4_T5_mmT6_P12ihipStream_tbEUlT_E0_NS1_11comp_targetILNS1_3genE9ELNS1_11target_archE1100ELNS1_3gpuE3ELNS1_3repE0EEENS1_30default_config_static_selectorELNS0_4arch9wavefront6targetE0EEEvS10_,@function
_ZN7rocprim17ROCPRIM_400000_NS6detail17trampoline_kernelINS0_14default_configENS1_21merge_config_selectorINS0_5tupleIJyyEEENS0_10empty_typeEEEZNS1_10merge_implIS3_NS0_12zip_iteratorINS5_IJN6thrust23THRUST_200600_302600_NS6detail15normal_iteratorINSC_10device_ptrIKyEEEESI_EEEEESK_NSA_INS5_IJNSE_INSF_IyEEEESM_EEEEEPS7_SP_SP_NSC_11hip_rocprim7__merge17predicate_wrapperIyyNSC_4lessIyEEEEEE10hipError_tPvRmT0_T1_T2_T3_T4_T5_mmT6_P12ihipStream_tbEUlT_E0_NS1_11comp_targetILNS1_3genE9ELNS1_11target_archE1100ELNS1_3gpuE3ELNS1_3repE0EEENS1_30default_config_static_selectorELNS0_4arch9wavefront6targetE0EEEvS10_: ; @_ZN7rocprim17ROCPRIM_400000_NS6detail17trampoline_kernelINS0_14default_configENS1_21merge_config_selectorINS0_5tupleIJyyEEENS0_10empty_typeEEEZNS1_10merge_implIS3_NS0_12zip_iteratorINS5_IJN6thrust23THRUST_200600_302600_NS6detail15normal_iteratorINSC_10device_ptrIKyEEEESI_EEEEESK_NSA_INS5_IJNSE_INSF_IyEEEESM_EEEEEPS7_SP_SP_NSC_11hip_rocprim7__merge17predicate_wrapperIyyNSC_4lessIyEEEEEE10hipError_tPvRmT0_T1_T2_T3_T4_T5_mmT6_P12ihipStream_tbEUlT_E0_NS1_11comp_targetILNS1_3genE9ELNS1_11target_archE1100ELNS1_3gpuE3ELNS1_3repE0EEENS1_30default_config_static_selectorELNS0_4arch9wavefront6targetE0EEEvS10_
; %bb.0:
	.section	.rodata,"a",@progbits
	.p2align	6, 0x0
	.amdhsa_kernel _ZN7rocprim17ROCPRIM_400000_NS6detail17trampoline_kernelINS0_14default_configENS1_21merge_config_selectorINS0_5tupleIJyyEEENS0_10empty_typeEEEZNS1_10merge_implIS3_NS0_12zip_iteratorINS5_IJN6thrust23THRUST_200600_302600_NS6detail15normal_iteratorINSC_10device_ptrIKyEEEESI_EEEEESK_NSA_INS5_IJNSE_INSF_IyEEEESM_EEEEEPS7_SP_SP_NSC_11hip_rocprim7__merge17predicate_wrapperIyyNSC_4lessIyEEEEEE10hipError_tPvRmT0_T1_T2_T3_T4_T5_mmT6_P12ihipStream_tbEUlT_E0_NS1_11comp_targetILNS1_3genE9ELNS1_11target_archE1100ELNS1_3gpuE3ELNS1_3repE0EEENS1_30default_config_static_selectorELNS0_4arch9wavefront6targetE0EEEvS10_
		.amdhsa_group_segment_fixed_size 0
		.amdhsa_private_segment_fixed_size 0
		.amdhsa_kernarg_size 112
		.amdhsa_user_sgpr_count 6
		.amdhsa_user_sgpr_private_segment_buffer 1
		.amdhsa_user_sgpr_dispatch_ptr 0
		.amdhsa_user_sgpr_queue_ptr 0
		.amdhsa_user_sgpr_kernarg_segment_ptr 1
		.amdhsa_user_sgpr_dispatch_id 0
		.amdhsa_user_sgpr_flat_scratch_init 0
		.amdhsa_user_sgpr_private_segment_size 0
		.amdhsa_wavefront_size32 1
		.amdhsa_uses_dynamic_stack 0
		.amdhsa_system_sgpr_private_segment_wavefront_offset 0
		.amdhsa_system_sgpr_workgroup_id_x 1
		.amdhsa_system_sgpr_workgroup_id_y 0
		.amdhsa_system_sgpr_workgroup_id_z 0
		.amdhsa_system_sgpr_workgroup_info 0
		.amdhsa_system_vgpr_workitem_id 0
		.amdhsa_next_free_vgpr 1
		.amdhsa_next_free_sgpr 1
		.amdhsa_reserve_vcc 0
		.amdhsa_reserve_flat_scratch 0
		.amdhsa_float_round_mode_32 0
		.amdhsa_float_round_mode_16_64 0
		.amdhsa_float_denorm_mode_32 3
		.amdhsa_float_denorm_mode_16_64 3
		.amdhsa_dx10_clamp 1
		.amdhsa_ieee_mode 1
		.amdhsa_fp16_overflow 0
		.amdhsa_workgroup_processor_mode 1
		.amdhsa_memory_ordered 1
		.amdhsa_forward_progress 1
		.amdhsa_shared_vgpr_count 0
		.amdhsa_exception_fp_ieee_invalid_op 0
		.amdhsa_exception_fp_denorm_src 0
		.amdhsa_exception_fp_ieee_div_zero 0
		.amdhsa_exception_fp_ieee_overflow 0
		.amdhsa_exception_fp_ieee_underflow 0
		.amdhsa_exception_fp_ieee_inexact 0
		.amdhsa_exception_int_div_zero 0
	.end_amdhsa_kernel
	.section	.text._ZN7rocprim17ROCPRIM_400000_NS6detail17trampoline_kernelINS0_14default_configENS1_21merge_config_selectorINS0_5tupleIJyyEEENS0_10empty_typeEEEZNS1_10merge_implIS3_NS0_12zip_iteratorINS5_IJN6thrust23THRUST_200600_302600_NS6detail15normal_iteratorINSC_10device_ptrIKyEEEESI_EEEEESK_NSA_INS5_IJNSE_INSF_IyEEEESM_EEEEEPS7_SP_SP_NSC_11hip_rocprim7__merge17predicate_wrapperIyyNSC_4lessIyEEEEEE10hipError_tPvRmT0_T1_T2_T3_T4_T5_mmT6_P12ihipStream_tbEUlT_E0_NS1_11comp_targetILNS1_3genE9ELNS1_11target_archE1100ELNS1_3gpuE3ELNS1_3repE0EEENS1_30default_config_static_selectorELNS0_4arch9wavefront6targetE0EEEvS10_,"axG",@progbits,_ZN7rocprim17ROCPRIM_400000_NS6detail17trampoline_kernelINS0_14default_configENS1_21merge_config_selectorINS0_5tupleIJyyEEENS0_10empty_typeEEEZNS1_10merge_implIS3_NS0_12zip_iteratorINS5_IJN6thrust23THRUST_200600_302600_NS6detail15normal_iteratorINSC_10device_ptrIKyEEEESI_EEEEESK_NSA_INS5_IJNSE_INSF_IyEEEESM_EEEEEPS7_SP_SP_NSC_11hip_rocprim7__merge17predicate_wrapperIyyNSC_4lessIyEEEEEE10hipError_tPvRmT0_T1_T2_T3_T4_T5_mmT6_P12ihipStream_tbEUlT_E0_NS1_11comp_targetILNS1_3genE9ELNS1_11target_archE1100ELNS1_3gpuE3ELNS1_3repE0EEENS1_30default_config_static_selectorELNS0_4arch9wavefront6targetE0EEEvS10_,comdat
.Lfunc_end112:
	.size	_ZN7rocprim17ROCPRIM_400000_NS6detail17trampoline_kernelINS0_14default_configENS1_21merge_config_selectorINS0_5tupleIJyyEEENS0_10empty_typeEEEZNS1_10merge_implIS3_NS0_12zip_iteratorINS5_IJN6thrust23THRUST_200600_302600_NS6detail15normal_iteratorINSC_10device_ptrIKyEEEESI_EEEEESK_NSA_INS5_IJNSE_INSF_IyEEEESM_EEEEEPS7_SP_SP_NSC_11hip_rocprim7__merge17predicate_wrapperIyyNSC_4lessIyEEEEEE10hipError_tPvRmT0_T1_T2_T3_T4_T5_mmT6_P12ihipStream_tbEUlT_E0_NS1_11comp_targetILNS1_3genE9ELNS1_11target_archE1100ELNS1_3gpuE3ELNS1_3repE0EEENS1_30default_config_static_selectorELNS0_4arch9wavefront6targetE0EEEvS10_, .Lfunc_end112-_ZN7rocprim17ROCPRIM_400000_NS6detail17trampoline_kernelINS0_14default_configENS1_21merge_config_selectorINS0_5tupleIJyyEEENS0_10empty_typeEEEZNS1_10merge_implIS3_NS0_12zip_iteratorINS5_IJN6thrust23THRUST_200600_302600_NS6detail15normal_iteratorINSC_10device_ptrIKyEEEESI_EEEEESK_NSA_INS5_IJNSE_INSF_IyEEEESM_EEEEEPS7_SP_SP_NSC_11hip_rocprim7__merge17predicate_wrapperIyyNSC_4lessIyEEEEEE10hipError_tPvRmT0_T1_T2_T3_T4_T5_mmT6_P12ihipStream_tbEUlT_E0_NS1_11comp_targetILNS1_3genE9ELNS1_11target_archE1100ELNS1_3gpuE3ELNS1_3repE0EEENS1_30default_config_static_selectorELNS0_4arch9wavefront6targetE0EEEvS10_
                                        ; -- End function
	.set _ZN7rocprim17ROCPRIM_400000_NS6detail17trampoline_kernelINS0_14default_configENS1_21merge_config_selectorINS0_5tupleIJyyEEENS0_10empty_typeEEEZNS1_10merge_implIS3_NS0_12zip_iteratorINS5_IJN6thrust23THRUST_200600_302600_NS6detail15normal_iteratorINSC_10device_ptrIKyEEEESI_EEEEESK_NSA_INS5_IJNSE_INSF_IyEEEESM_EEEEEPS7_SP_SP_NSC_11hip_rocprim7__merge17predicate_wrapperIyyNSC_4lessIyEEEEEE10hipError_tPvRmT0_T1_T2_T3_T4_T5_mmT6_P12ihipStream_tbEUlT_E0_NS1_11comp_targetILNS1_3genE9ELNS1_11target_archE1100ELNS1_3gpuE3ELNS1_3repE0EEENS1_30default_config_static_selectorELNS0_4arch9wavefront6targetE0EEEvS10_.num_vgpr, 0
	.set _ZN7rocprim17ROCPRIM_400000_NS6detail17trampoline_kernelINS0_14default_configENS1_21merge_config_selectorINS0_5tupleIJyyEEENS0_10empty_typeEEEZNS1_10merge_implIS3_NS0_12zip_iteratorINS5_IJN6thrust23THRUST_200600_302600_NS6detail15normal_iteratorINSC_10device_ptrIKyEEEESI_EEEEESK_NSA_INS5_IJNSE_INSF_IyEEEESM_EEEEEPS7_SP_SP_NSC_11hip_rocprim7__merge17predicate_wrapperIyyNSC_4lessIyEEEEEE10hipError_tPvRmT0_T1_T2_T3_T4_T5_mmT6_P12ihipStream_tbEUlT_E0_NS1_11comp_targetILNS1_3genE9ELNS1_11target_archE1100ELNS1_3gpuE3ELNS1_3repE0EEENS1_30default_config_static_selectorELNS0_4arch9wavefront6targetE0EEEvS10_.num_agpr, 0
	.set _ZN7rocprim17ROCPRIM_400000_NS6detail17trampoline_kernelINS0_14default_configENS1_21merge_config_selectorINS0_5tupleIJyyEEENS0_10empty_typeEEEZNS1_10merge_implIS3_NS0_12zip_iteratorINS5_IJN6thrust23THRUST_200600_302600_NS6detail15normal_iteratorINSC_10device_ptrIKyEEEESI_EEEEESK_NSA_INS5_IJNSE_INSF_IyEEEESM_EEEEEPS7_SP_SP_NSC_11hip_rocprim7__merge17predicate_wrapperIyyNSC_4lessIyEEEEEE10hipError_tPvRmT0_T1_T2_T3_T4_T5_mmT6_P12ihipStream_tbEUlT_E0_NS1_11comp_targetILNS1_3genE9ELNS1_11target_archE1100ELNS1_3gpuE3ELNS1_3repE0EEENS1_30default_config_static_selectorELNS0_4arch9wavefront6targetE0EEEvS10_.numbered_sgpr, 0
	.set _ZN7rocprim17ROCPRIM_400000_NS6detail17trampoline_kernelINS0_14default_configENS1_21merge_config_selectorINS0_5tupleIJyyEEENS0_10empty_typeEEEZNS1_10merge_implIS3_NS0_12zip_iteratorINS5_IJN6thrust23THRUST_200600_302600_NS6detail15normal_iteratorINSC_10device_ptrIKyEEEESI_EEEEESK_NSA_INS5_IJNSE_INSF_IyEEEESM_EEEEEPS7_SP_SP_NSC_11hip_rocprim7__merge17predicate_wrapperIyyNSC_4lessIyEEEEEE10hipError_tPvRmT0_T1_T2_T3_T4_T5_mmT6_P12ihipStream_tbEUlT_E0_NS1_11comp_targetILNS1_3genE9ELNS1_11target_archE1100ELNS1_3gpuE3ELNS1_3repE0EEENS1_30default_config_static_selectorELNS0_4arch9wavefront6targetE0EEEvS10_.num_named_barrier, 0
	.set _ZN7rocprim17ROCPRIM_400000_NS6detail17trampoline_kernelINS0_14default_configENS1_21merge_config_selectorINS0_5tupleIJyyEEENS0_10empty_typeEEEZNS1_10merge_implIS3_NS0_12zip_iteratorINS5_IJN6thrust23THRUST_200600_302600_NS6detail15normal_iteratorINSC_10device_ptrIKyEEEESI_EEEEESK_NSA_INS5_IJNSE_INSF_IyEEEESM_EEEEEPS7_SP_SP_NSC_11hip_rocprim7__merge17predicate_wrapperIyyNSC_4lessIyEEEEEE10hipError_tPvRmT0_T1_T2_T3_T4_T5_mmT6_P12ihipStream_tbEUlT_E0_NS1_11comp_targetILNS1_3genE9ELNS1_11target_archE1100ELNS1_3gpuE3ELNS1_3repE0EEENS1_30default_config_static_selectorELNS0_4arch9wavefront6targetE0EEEvS10_.private_seg_size, 0
	.set _ZN7rocprim17ROCPRIM_400000_NS6detail17trampoline_kernelINS0_14default_configENS1_21merge_config_selectorINS0_5tupleIJyyEEENS0_10empty_typeEEEZNS1_10merge_implIS3_NS0_12zip_iteratorINS5_IJN6thrust23THRUST_200600_302600_NS6detail15normal_iteratorINSC_10device_ptrIKyEEEESI_EEEEESK_NSA_INS5_IJNSE_INSF_IyEEEESM_EEEEEPS7_SP_SP_NSC_11hip_rocprim7__merge17predicate_wrapperIyyNSC_4lessIyEEEEEE10hipError_tPvRmT0_T1_T2_T3_T4_T5_mmT6_P12ihipStream_tbEUlT_E0_NS1_11comp_targetILNS1_3genE9ELNS1_11target_archE1100ELNS1_3gpuE3ELNS1_3repE0EEENS1_30default_config_static_selectorELNS0_4arch9wavefront6targetE0EEEvS10_.uses_vcc, 0
	.set _ZN7rocprim17ROCPRIM_400000_NS6detail17trampoline_kernelINS0_14default_configENS1_21merge_config_selectorINS0_5tupleIJyyEEENS0_10empty_typeEEEZNS1_10merge_implIS3_NS0_12zip_iteratorINS5_IJN6thrust23THRUST_200600_302600_NS6detail15normal_iteratorINSC_10device_ptrIKyEEEESI_EEEEESK_NSA_INS5_IJNSE_INSF_IyEEEESM_EEEEEPS7_SP_SP_NSC_11hip_rocprim7__merge17predicate_wrapperIyyNSC_4lessIyEEEEEE10hipError_tPvRmT0_T1_T2_T3_T4_T5_mmT6_P12ihipStream_tbEUlT_E0_NS1_11comp_targetILNS1_3genE9ELNS1_11target_archE1100ELNS1_3gpuE3ELNS1_3repE0EEENS1_30default_config_static_selectorELNS0_4arch9wavefront6targetE0EEEvS10_.uses_flat_scratch, 0
	.set _ZN7rocprim17ROCPRIM_400000_NS6detail17trampoline_kernelINS0_14default_configENS1_21merge_config_selectorINS0_5tupleIJyyEEENS0_10empty_typeEEEZNS1_10merge_implIS3_NS0_12zip_iteratorINS5_IJN6thrust23THRUST_200600_302600_NS6detail15normal_iteratorINSC_10device_ptrIKyEEEESI_EEEEESK_NSA_INS5_IJNSE_INSF_IyEEEESM_EEEEEPS7_SP_SP_NSC_11hip_rocprim7__merge17predicate_wrapperIyyNSC_4lessIyEEEEEE10hipError_tPvRmT0_T1_T2_T3_T4_T5_mmT6_P12ihipStream_tbEUlT_E0_NS1_11comp_targetILNS1_3genE9ELNS1_11target_archE1100ELNS1_3gpuE3ELNS1_3repE0EEENS1_30default_config_static_selectorELNS0_4arch9wavefront6targetE0EEEvS10_.has_dyn_sized_stack, 0
	.set _ZN7rocprim17ROCPRIM_400000_NS6detail17trampoline_kernelINS0_14default_configENS1_21merge_config_selectorINS0_5tupleIJyyEEENS0_10empty_typeEEEZNS1_10merge_implIS3_NS0_12zip_iteratorINS5_IJN6thrust23THRUST_200600_302600_NS6detail15normal_iteratorINSC_10device_ptrIKyEEEESI_EEEEESK_NSA_INS5_IJNSE_INSF_IyEEEESM_EEEEEPS7_SP_SP_NSC_11hip_rocprim7__merge17predicate_wrapperIyyNSC_4lessIyEEEEEE10hipError_tPvRmT0_T1_T2_T3_T4_T5_mmT6_P12ihipStream_tbEUlT_E0_NS1_11comp_targetILNS1_3genE9ELNS1_11target_archE1100ELNS1_3gpuE3ELNS1_3repE0EEENS1_30default_config_static_selectorELNS0_4arch9wavefront6targetE0EEEvS10_.has_recursion, 0
	.set _ZN7rocprim17ROCPRIM_400000_NS6detail17trampoline_kernelINS0_14default_configENS1_21merge_config_selectorINS0_5tupleIJyyEEENS0_10empty_typeEEEZNS1_10merge_implIS3_NS0_12zip_iteratorINS5_IJN6thrust23THRUST_200600_302600_NS6detail15normal_iteratorINSC_10device_ptrIKyEEEESI_EEEEESK_NSA_INS5_IJNSE_INSF_IyEEEESM_EEEEEPS7_SP_SP_NSC_11hip_rocprim7__merge17predicate_wrapperIyyNSC_4lessIyEEEEEE10hipError_tPvRmT0_T1_T2_T3_T4_T5_mmT6_P12ihipStream_tbEUlT_E0_NS1_11comp_targetILNS1_3genE9ELNS1_11target_archE1100ELNS1_3gpuE3ELNS1_3repE0EEENS1_30default_config_static_selectorELNS0_4arch9wavefront6targetE0EEEvS10_.has_indirect_call, 0
	.section	.AMDGPU.csdata,"",@progbits
; Kernel info:
; codeLenInByte = 0
; TotalNumSgprs: 0
; NumVgprs: 0
; ScratchSize: 0
; MemoryBound: 0
; FloatMode: 240
; IeeeMode: 1
; LDSByteSize: 0 bytes/workgroup (compile time only)
; SGPRBlocks: 0
; VGPRBlocks: 0
; NumSGPRsForWavesPerEU: 1
; NumVGPRsForWavesPerEU: 1
; Occupancy: 16
; WaveLimiterHint : 0
; COMPUTE_PGM_RSRC2:SCRATCH_EN: 0
; COMPUTE_PGM_RSRC2:USER_SGPR: 6
; COMPUTE_PGM_RSRC2:TRAP_HANDLER: 0
; COMPUTE_PGM_RSRC2:TGID_X_EN: 1
; COMPUTE_PGM_RSRC2:TGID_Y_EN: 0
; COMPUTE_PGM_RSRC2:TGID_Z_EN: 0
; COMPUTE_PGM_RSRC2:TIDIG_COMP_CNT: 0
	.section	.text._ZN7rocprim17ROCPRIM_400000_NS6detail17trampoline_kernelINS0_14default_configENS1_21merge_config_selectorINS0_5tupleIJyyEEENS0_10empty_typeEEEZNS1_10merge_implIS3_NS0_12zip_iteratorINS5_IJN6thrust23THRUST_200600_302600_NS6detail15normal_iteratorINSC_10device_ptrIKyEEEESI_EEEEESK_NSA_INS5_IJNSE_INSF_IyEEEESM_EEEEEPS7_SP_SP_NSC_11hip_rocprim7__merge17predicate_wrapperIyyNSC_4lessIyEEEEEE10hipError_tPvRmT0_T1_T2_T3_T4_T5_mmT6_P12ihipStream_tbEUlT_E0_NS1_11comp_targetILNS1_3genE8ELNS1_11target_archE1030ELNS1_3gpuE2ELNS1_3repE0EEENS1_30default_config_static_selectorELNS0_4arch9wavefront6targetE0EEEvS10_,"axG",@progbits,_ZN7rocprim17ROCPRIM_400000_NS6detail17trampoline_kernelINS0_14default_configENS1_21merge_config_selectorINS0_5tupleIJyyEEENS0_10empty_typeEEEZNS1_10merge_implIS3_NS0_12zip_iteratorINS5_IJN6thrust23THRUST_200600_302600_NS6detail15normal_iteratorINSC_10device_ptrIKyEEEESI_EEEEESK_NSA_INS5_IJNSE_INSF_IyEEEESM_EEEEEPS7_SP_SP_NSC_11hip_rocprim7__merge17predicate_wrapperIyyNSC_4lessIyEEEEEE10hipError_tPvRmT0_T1_T2_T3_T4_T5_mmT6_P12ihipStream_tbEUlT_E0_NS1_11comp_targetILNS1_3genE8ELNS1_11target_archE1030ELNS1_3gpuE2ELNS1_3repE0EEENS1_30default_config_static_selectorELNS0_4arch9wavefront6targetE0EEEvS10_,comdat
	.protected	_ZN7rocprim17ROCPRIM_400000_NS6detail17trampoline_kernelINS0_14default_configENS1_21merge_config_selectorINS0_5tupleIJyyEEENS0_10empty_typeEEEZNS1_10merge_implIS3_NS0_12zip_iteratorINS5_IJN6thrust23THRUST_200600_302600_NS6detail15normal_iteratorINSC_10device_ptrIKyEEEESI_EEEEESK_NSA_INS5_IJNSE_INSF_IyEEEESM_EEEEEPS7_SP_SP_NSC_11hip_rocprim7__merge17predicate_wrapperIyyNSC_4lessIyEEEEEE10hipError_tPvRmT0_T1_T2_T3_T4_T5_mmT6_P12ihipStream_tbEUlT_E0_NS1_11comp_targetILNS1_3genE8ELNS1_11target_archE1030ELNS1_3gpuE2ELNS1_3repE0EEENS1_30default_config_static_selectorELNS0_4arch9wavefront6targetE0EEEvS10_ ; -- Begin function _ZN7rocprim17ROCPRIM_400000_NS6detail17trampoline_kernelINS0_14default_configENS1_21merge_config_selectorINS0_5tupleIJyyEEENS0_10empty_typeEEEZNS1_10merge_implIS3_NS0_12zip_iteratorINS5_IJN6thrust23THRUST_200600_302600_NS6detail15normal_iteratorINSC_10device_ptrIKyEEEESI_EEEEESK_NSA_INS5_IJNSE_INSF_IyEEEESM_EEEEEPS7_SP_SP_NSC_11hip_rocprim7__merge17predicate_wrapperIyyNSC_4lessIyEEEEEE10hipError_tPvRmT0_T1_T2_T3_T4_T5_mmT6_P12ihipStream_tbEUlT_E0_NS1_11comp_targetILNS1_3genE8ELNS1_11target_archE1030ELNS1_3gpuE2ELNS1_3repE0EEENS1_30default_config_static_selectorELNS0_4arch9wavefront6targetE0EEEvS10_
	.globl	_ZN7rocprim17ROCPRIM_400000_NS6detail17trampoline_kernelINS0_14default_configENS1_21merge_config_selectorINS0_5tupleIJyyEEENS0_10empty_typeEEEZNS1_10merge_implIS3_NS0_12zip_iteratorINS5_IJN6thrust23THRUST_200600_302600_NS6detail15normal_iteratorINSC_10device_ptrIKyEEEESI_EEEEESK_NSA_INS5_IJNSE_INSF_IyEEEESM_EEEEEPS7_SP_SP_NSC_11hip_rocprim7__merge17predicate_wrapperIyyNSC_4lessIyEEEEEE10hipError_tPvRmT0_T1_T2_T3_T4_T5_mmT6_P12ihipStream_tbEUlT_E0_NS1_11comp_targetILNS1_3genE8ELNS1_11target_archE1030ELNS1_3gpuE2ELNS1_3repE0EEENS1_30default_config_static_selectorELNS0_4arch9wavefront6targetE0EEEvS10_
	.p2align	8
	.type	_ZN7rocprim17ROCPRIM_400000_NS6detail17trampoline_kernelINS0_14default_configENS1_21merge_config_selectorINS0_5tupleIJyyEEENS0_10empty_typeEEEZNS1_10merge_implIS3_NS0_12zip_iteratorINS5_IJN6thrust23THRUST_200600_302600_NS6detail15normal_iteratorINSC_10device_ptrIKyEEEESI_EEEEESK_NSA_INS5_IJNSE_INSF_IyEEEESM_EEEEEPS7_SP_SP_NSC_11hip_rocprim7__merge17predicate_wrapperIyyNSC_4lessIyEEEEEE10hipError_tPvRmT0_T1_T2_T3_T4_T5_mmT6_P12ihipStream_tbEUlT_E0_NS1_11comp_targetILNS1_3genE8ELNS1_11target_archE1030ELNS1_3gpuE2ELNS1_3repE0EEENS1_30default_config_static_selectorELNS0_4arch9wavefront6targetE0EEEvS10_,@function
_ZN7rocprim17ROCPRIM_400000_NS6detail17trampoline_kernelINS0_14default_configENS1_21merge_config_selectorINS0_5tupleIJyyEEENS0_10empty_typeEEEZNS1_10merge_implIS3_NS0_12zip_iteratorINS5_IJN6thrust23THRUST_200600_302600_NS6detail15normal_iteratorINSC_10device_ptrIKyEEEESI_EEEEESK_NSA_INS5_IJNSE_INSF_IyEEEESM_EEEEEPS7_SP_SP_NSC_11hip_rocprim7__merge17predicate_wrapperIyyNSC_4lessIyEEEEEE10hipError_tPvRmT0_T1_T2_T3_T4_T5_mmT6_P12ihipStream_tbEUlT_E0_NS1_11comp_targetILNS1_3genE8ELNS1_11target_archE1030ELNS1_3gpuE2ELNS1_3repE0EEENS1_30default_config_static_selectorELNS0_4arch9wavefront6targetE0EEEvS10_: ; @_ZN7rocprim17ROCPRIM_400000_NS6detail17trampoline_kernelINS0_14default_configENS1_21merge_config_selectorINS0_5tupleIJyyEEENS0_10empty_typeEEEZNS1_10merge_implIS3_NS0_12zip_iteratorINS5_IJN6thrust23THRUST_200600_302600_NS6detail15normal_iteratorINSC_10device_ptrIKyEEEESI_EEEEESK_NSA_INS5_IJNSE_INSF_IyEEEESM_EEEEEPS7_SP_SP_NSC_11hip_rocprim7__merge17predicate_wrapperIyyNSC_4lessIyEEEEEE10hipError_tPvRmT0_T1_T2_T3_T4_T5_mmT6_P12ihipStream_tbEUlT_E0_NS1_11comp_targetILNS1_3genE8ELNS1_11target_archE1030ELNS1_3gpuE2ELNS1_3repE0EEENS1_30default_config_static_selectorELNS0_4arch9wavefront6targetE0EEEvS10_
; %bb.0:
	s_clause 0x2
	s_load_dwordx4 s[0:3], s[4:5], 0x58
	s_load_dwordx8 s[8:15], s[4:5], 0x8
	s_load_dwordx4 s[16:19], s[4:5], 0x28
	s_mov_b32 s23, 0
	v_mov_b32_e32 v1, 0
	s_mov_b32 s25, s23
	s_waitcnt lgkmcnt(0)
	s_add_i32 s20, s2, s0
	s_add_i32 s0, s20, 0x7ff
	s_lshr_b32 s0, s0, 11
	s_min_u32 s1, s6, s0
	s_lshl_b32 s1, s1, 2
	s_load_dword s22, s[8:9], s1 offset:0x0
	s_add_i32 s1, s6, 1
	s_min_u32 s0, s1, s0
	s_lshl_b32 s0, s0, 2
	s_load_dword s9, s[8:9], s0 offset:0x0
	s_lshl_b32 s8, s6, 11
	s_add_i32 s0, s8, 0x800
	s_min_u32 s21, s20, s0
	s_waitcnt lgkmcnt(0)
	s_lshl_b64 s[2:3], s[22:23], 3
	s_sub_i32 s24, s8, s22
	s_add_u32 s0, s10, s2
	s_addc_u32 s1, s11, s3
	s_add_u32 s2, s12, s2
	s_addc_u32 s3, s13, s3
	s_lshl_b64 s[10:11], s[24:25], 3
	s_add_u32 s6, s14, s10
	s_addc_u32 s7, s15, s11
	s_add_u32 s10, s16, s10
	s_addc_u32 s11, s17, s11
	s_add_i32 s12, s24, s9
	s_sub_i32 s9, s9, s22
	s_sub_i32 s14, s21, s12
	s_mov_b32 s15, exec_lo
	s_add_u32 s12, s14, s9
	s_addc_u32 s13, 0, 0
	v_cmpx_le_u32_e64 s9, v0
	s_xor_b32 s15, exec_lo, s15
	s_cbranch_execz .LBB113_4
; %bb.1:
	s_mov_b32 s16, exec_lo
	v_cmpx_gt_u64_e64 s[12:13], v[0:1]
	s_cbranch_execz .LBB113_3
; %bb.2:
	v_subrev_nc_u32_e32 v1, s9, v0
	v_lshlrev_b32_e32 v5, 4, v0
	v_lshlrev_b32_e32 v3, 3, v1
	s_clause 0x1
	global_load_dwordx2 v[1:2], v3, s[6:7]
	global_load_dwordx2 v[3:4], v3, s[10:11]
	s_waitcnt vmcnt(0)
	ds_write_b128 v5, v[1:4]
.LBB113_3:
	s_or_b32 exec_lo, exec_lo, s16
.LBB113_4:
	s_or_saveexec_b32 s15, s15
	v_lshlrev_b32_e32 v41, 3, v0
	v_lshlrev_b32_e32 v42, 4, v0
	s_xor_b32 exec_lo, exec_lo, s15
	s_cbranch_execz .LBB113_6
; %bb.5:
	s_clause 0x1
	global_load_dwordx2 v[1:2], v41, s[0:1]
	global_load_dwordx2 v[3:4], v41, s[2:3]
	s_waitcnt vmcnt(0)
	ds_write_b128 v42, v[1:4]
.LBB113_6:
	s_or_b32 exec_lo, exec_lo, s15
	v_or_b32_e32 v33, 0x100, v0
	v_mov_b32_e32 v34, 0
	s_mov_b32 s15, exec_lo
	v_cmpx_le_u32_e64 s9, v33
	s_xor_b32 s15, exec_lo, s15
	s_cbranch_execz .LBB113_10
; %bb.7:
	s_mov_b32 s16, exec_lo
	v_cmpx_gt_u64_e64 s[12:13], v[33:34]
	s_cbranch_execz .LBB113_9
; %bb.8:
	v_subrev_nc_u32_e32 v1, s9, v33
	v_lshlrev_b32_e32 v3, 3, v1
	s_clause 0x1
	global_load_dwordx2 v[1:2], v3, s[6:7]
	global_load_dwordx2 v[3:4], v3, s[10:11]
	s_waitcnt vmcnt(0)
	ds_write_b128 v42, v[1:4] offset:4096
.LBB113_9:
	s_or_b32 exec_lo, exec_lo, s16
.LBB113_10:
	s_andn2_saveexec_b32 s15, s15
	s_cbranch_execz .LBB113_12
; %bb.11:
	v_lshlrev_b32_e32 v3, 3, v33
	s_clause 0x1
	global_load_dwordx2 v[1:2], v3, s[0:1]
	global_load_dwordx2 v[3:4], v3, s[2:3]
	s_waitcnt vmcnt(0)
	ds_write_b128 v42, v[1:4] offset:4096
.LBB113_12:
	s_or_b32 exec_lo, exec_lo, s15
	v_or_b32_e32 v34, 0x200, v0
	v_mov_b32_e32 v35, 0
	s_mov_b32 s15, exec_lo
	v_cmpx_le_u32_e64 s9, v34
	s_xor_b32 s15, exec_lo, s15
	s_cbranch_execz .LBB113_16
; %bb.13:
	s_mov_b32 s16, exec_lo
	v_cmpx_gt_u64_e64 s[12:13], v[34:35]
	s_cbranch_execz .LBB113_15
; %bb.14:
	v_subrev_nc_u32_e32 v1, s9, v34
	v_lshlrev_b32_e32 v3, 3, v1
	s_clause 0x1
	global_load_dwordx2 v[1:2], v3, s[6:7]
	global_load_dwordx2 v[3:4], v3, s[10:11]
	s_waitcnt vmcnt(0)
	ds_write_b128 v42, v[1:4] offset:8192
.LBB113_15:
	s_or_b32 exec_lo, exec_lo, s16
.LBB113_16:
	s_andn2_saveexec_b32 s15, s15
	s_cbranch_execz .LBB113_18
; %bb.17:
	v_lshlrev_b32_e32 v3, 3, v34
	s_clause 0x1
	global_load_dwordx2 v[1:2], v3, s[0:1]
	global_load_dwordx2 v[3:4], v3, s[2:3]
	s_waitcnt vmcnt(0)
	ds_write_b128 v42, v[1:4] offset:8192
.LBB113_18:
	;; [unrolled: 32-line block ×6, first 2 shown]
	s_or_b32 exec_lo, exec_lo, s15
	v_or_b32_e32 v39, 0x700, v0
	v_mov_b32_e32 v40, 0
	s_mov_b32 s15, exec_lo
	v_cmpx_le_u32_e64 s9, v39
	s_xor_b32 s15, exec_lo, s15
	s_cbranch_execz .LBB113_46
; %bb.43:
	v_cmp_gt_u64_e32 vcc_lo, s[12:13], v[39:40]
	s_and_saveexec_b32 s12, vcc_lo
	s_cbranch_execz .LBB113_45
; %bb.44:
	v_subrev_nc_u32_e32 v1, s9, v39
	v_lshlrev_b32_e32 v3, 3, v1
	s_clause 0x1
	global_load_dwordx2 v[1:2], v3, s[6:7]
	global_load_dwordx2 v[3:4], v3, s[10:11]
	s_waitcnt vmcnt(0)
	ds_write_b128 v42, v[1:4] offset:28672
.LBB113_45:
	s_or_b32 exec_lo, exec_lo, s12
.LBB113_46:
	s_or_saveexec_b32 s6, s15
	s_load_dwordx2 s[10:11], s[4:5], 0x38
	s_xor_b32 exec_lo, exec_lo, s6
	s_cbranch_execz .LBB113_48
; %bb.47:
	v_lshlrev_b32_e32 v3, 3, v39
	s_clause 0x1
	global_load_dwordx2 v[1:2], v3, s[0:1]
	global_load_dwordx2 v[3:4], v3, s[2:3]
	s_waitcnt vmcnt(0)
	ds_write_b128 v42, v[1:4] offset:28672
.LBB113_48:
	s_or_b32 exec_lo, exec_lo, s6
	v_sub_nc_u32_e64 v40, v41, s14 clamp
	v_min_u32_e32 v1, s9, v41
	s_mov_b32 s0, exec_lo
	s_waitcnt lgkmcnt(0)
	s_barrier
	buffer_gl0_inv
	v_cmpx_lt_u32_e64 v40, v1
	s_cbranch_execz .LBB113_52
; %bb.49:
	v_lshlrev_b32_e32 v2, 4, v41
	s_mov_b32 s1, 0
	v_lshl_add_u32 v2, s9, 4, v2
	.p2align	6
.LBB113_50:                             ; =>This Inner Loop Header: Depth=1
	v_add_nc_u32_e32 v3, v1, v40
	v_lshrrev_b32_e32 v7, 1, v3
	v_not_b32_e32 v3, v7
	v_lshlrev_b32_e32 v4, 4, v7
	v_lshl_add_u32 v5, v3, 4, v2
	ds_read_b64 v[3:4], v4
	ds_read_b64 v[5:6], v5
	s_waitcnt lgkmcnt(0)
	v_cmp_lt_u64_e32 vcc_lo, v[5:6], v[3:4]
	v_add_nc_u32_e32 v3, 1, v7
	v_cndmask_b32_e32 v1, v1, v7, vcc_lo
	v_cndmask_b32_e32 v40, v3, v40, vcc_lo
	v_cmp_ge_u32_e32 vcc_lo, v40, v1
	s_or_b32 s1, vcc_lo, s1
	s_andn2_b32 exec_lo, exec_lo, s1
	s_cbranch_execnz .LBB113_50
; %bb.51:
	s_or_b32 exec_lo, exec_lo, s1
.LBB113_52:
	s_or_b32 exec_lo, exec_lo, s0
	v_add_nc_u32_e32 v1, s9, v41
	s_add_i32 s14, s14, s9
	v_cmp_ge_u32_e32 vcc_lo, s9, v40
	v_mov_b32_e32 v11, 0
	v_mov_b32_e32 v3, 0
	v_sub_nc_u32_e32 v43, v1, v40
	v_mov_b32_e32 v7, 0
	v_mov_b32_e32 v23, 0
	;; [unrolled: 1-line block ×4, first 2 shown]
	v_cmp_ge_u32_e64 s0, s14, v43
	v_mov_b32_e32 v19, 0
	v_mov_b32_e32 v31, 0
	;; [unrolled: 1-line block ×26, first 2 shown]
	s_or_b32 s0, vcc_lo, s0
	s_and_saveexec_b32 s7, s0
	s_cbranch_execz .LBB113_58
; %bb.53:
	v_mov_b32_e32 v7, 0
	v_mov_b32_e32 v3, 0
	;; [unrolled: 1-line block ×6, first 2 shown]
	v_cmp_gt_u32_e32 vcc_lo, s9, v40
	s_and_saveexec_b32 s0, vcc_lo
; %bb.54:
	v_lshlrev_b32_e32 v1, 4, v40
	ds_read_b128 v[1:4], v1
; %bb.55:
	s_or_b32 exec_lo, exec_lo, s0
	v_mov_b32_e32 v5, 0
	v_cmp_le_u32_e64 s0, s14, v43
	v_mov_b32_e32 v6, 0
	s_mov_b32 s2, exec_lo
	v_cmpx_gt_u32_e64 s14, v43
; %bb.56:
	v_lshlrev_b32_e32 v5, 4, v43
	ds_read_b128 v[5:8], v5
; %bb.57:
	s_or_b32 exec_lo, exec_lo, s2
	s_waitcnt lgkmcnt(0)
	v_cmp_ge_u64_e64 s1, v[5:6], v[1:2]
	v_mov_b32_e32 v61, s9
	s_and_b32 s1, vcc_lo, s1
	s_or_b32 vcc_lo, s0, s1
	v_cndmask_b32_e32 v9, v43, v40, vcc_lo
	v_cndmask_b32_e32 v10, s14, v61, vcc_lo
	v_add_nc_u32_e32 v9, 1, v9
	v_add_nc_u32_e32 v10, -1, v10
	v_min_u32_e32 v10, v9, v10
	v_lshlrev_b32_e32 v10, 4, v10
	ds_read_b128 v[11:14], v10
	v_cndmask_b32_e32 v10, v40, v9, vcc_lo
	v_cndmask_b32_e32 v9, v9, v43, vcc_lo
	v_cmp_gt_u32_e64 s1, s9, v10
	v_cmp_le_u32_e64 s2, s14, v9
	s_waitcnt lgkmcnt(0)
	v_cndmask_b32_e32 v32, v12, v6, vcc_lo
	v_cndmask_b32_e32 v31, v11, v5, vcc_lo
	;; [unrolled: 1-line block ×4, first 2 shown]
	v_cmp_ge_u64_e64 s0, v[31:32], v[47:48]
	s_and_b32 s0, s1, s0
	s_or_b32 s0, s2, s0
	v_cndmask_b32_e64 v11, v9, v10, s0
	v_cndmask_b32_e64 v12, s14, v61, s0
	v_add_nc_u32_e32 v11, 1, v11
	v_add_nc_u32_e32 v12, -1, v12
	v_cndmask_b32_e64 v10, v10, v11, s0
	v_min_u32_e32 v12, v11, v12
	v_cndmask_b32_e64 v9, v11, v9, s0
	v_cmp_gt_u32_e64 s2, s9, v10
	v_lshlrev_b32_e32 v12, 4, v12
	v_cmp_le_u32_e64 s3, s14, v9
	ds_read_b128 v[15:18], v12
	s_waitcnt lgkmcnt(0)
	v_cndmask_b32_e64 v50, v16, v32, s0
	v_cndmask_b32_e64 v49, v15, v31, s0
	v_cndmask_b32_e64 v16, v48, v16, s0
	v_cndmask_b32_e64 v15, v47, v15, s0
	v_cmp_ge_u64_e64 s1, v[49:50], v[15:16]
	s_and_b32 s1, s2, s1
	s_or_b32 s1, s3, s1
	v_cndmask_b32_e64 v11, v9, v10, s1
	v_cndmask_b32_e64 v12, s14, v61, s1
	v_add_nc_u32_e32 v11, 1, v11
	v_add_nc_u32_e32 v12, -1, v12
	v_cndmask_b32_e64 v10, v10, v11, s1
	v_min_u32_e32 v12, v11, v12
	v_cndmask_b32_e64 v9, v11, v9, s1
	v_cmp_gt_u32_e64 s3, s9, v10
	v_lshlrev_b32_e32 v12, 4, v12
	v_cmp_le_u32_e64 s4, s14, v9
	ds_read_b128 v[19:22], v12
	s_waitcnt lgkmcnt(0)
	v_cndmask_b32_e64 v52, v20, v50, s1
	v_cndmask_b32_e64 v51, v19, v49, s1
	v_cndmask_b32_e64 v20, v16, v20, s1
	v_cndmask_b32_e64 v19, v15, v19, s1
	;; [unrolled: 19-line block ×3, first 2 shown]
	v_cmp_ge_u64_e64 s3, v[53:54], v[55:56]
	s_and_b32 s3, s4, s3
	s_or_b32 s3, s5, s3
	v_cndmask_b32_e64 v11, v9, v10, s3
	v_cndmask_b32_e64 v12, s14, v61, s3
	v_add_nc_u32_e32 v11, 1, v11
	v_add_nc_u32_e32 v12, -1, v12
	v_cndmask_b32_e64 v23, v10, v11, s3
	v_min_u32_e32 v12, v11, v12
	v_cndmask_b32_e64 v24, v11, v9, s3
	v_cndmask_b32_e32 v11, v7, v3, vcc_lo
	v_cmp_gt_u32_e64 s5, s9, v23
	v_lshlrev_b32_e32 v12, 4, v12
	v_cmp_le_u32_e64 s6, s14, v24
	ds_read_b128 v[27:30], v12
	v_cndmask_b32_e32 v12, v8, v4, vcc_lo
	s_waitcnt lgkmcnt(0)
	v_cndmask_b32_e64 v58, v28, v54, s3
	v_cndmask_b32_e64 v57, v27, v53, s3
	;; [unrolled: 1-line block ×4, first 2 shown]
	v_cmp_ge_u64_e64 s4, v[57:58], v[59:60]
	s_and_b32 s4, s5, s4
	s_or_b32 s4, s6, s4
	v_cndmask_b32_e64 v9, v24, v23, s4
	v_cndmask_b32_e64 v10, s14, v61, s4
	v_add_nc_u32_e32 v27, 1, v9
	v_add_nc_u32_e32 v9, -1, v10
	v_cndmask_b32_e32 v10, v6, v2, vcc_lo
	v_cndmask_b32_e64 v2, v32, v48, s0
	v_cndmask_b32_e32 v6, v14, v8, vcc_lo
	v_cndmask_b32_e64 v40, v23, v27, s4
	v_min_u32_e32 v9, v27, v9
	v_cndmask_b32_e64 v62, v27, v24, s4
	v_cndmask_b32_e32 v8, v4, v14, vcc_lo
	v_cndmask_b32_e64 v14, v18, v6, s0
	v_cmp_gt_u32_e64 s5, s9, v40
	v_lshlrev_b32_e32 v9, 4, v9
	v_cmp_le_u32_e64 s6, s14, v62
	v_cndmask_b32_e64 v4, v6, v8, s0
	v_cndmask_b32_e64 v18, v8, v18, s0
	;; [unrolled: 1-line block ×3, first 2 shown]
	ds_read_b128 v[43:46], v9
	v_cndmask_b32_e32 v9, v5, v1, vcc_lo
	v_cndmask_b32_e64 v1, v31, v47, s0
	v_cndmask_b32_e32 v5, v13, v7, vcc_lo
	v_cndmask_b32_e32 v7, v3, v13, vcc_lo
	v_cndmask_b32_e64 v8, v14, v18, s1
	v_cndmask_b32_e64 v14, v22, v14, s1
	;; [unrolled: 1-line block ×14, first 2 shown]
	s_waitcnt lgkmcnt(0)
	v_cndmask_b32_e64 v32, v44, v58, s4
	v_cndmask_b32_e64 v31, v43, v57, s4
	;; [unrolled: 1-line block ×6, first 2 shown]
	v_cmp_ge_u64_e32 vcc_lo, v[31:32], v[43:44]
	s_and_b32 s5, s5, vcc_lo
	s_or_b32 vcc_lo, s6, s5
	v_cndmask_b32_e32 v7, v62, v40, vcc_lo
	v_cndmask_b32_e32 v23, s14, v61, vcc_lo
	v_add_nc_u32_e32 v61, 1, v7
	v_add_nc_u32_e32 v15, -1, v23
	v_cndmask_b32_e64 v7, v13, v17, s1
	v_cndmask_b32_e64 v13, v21, v13, s1
	;; [unrolled: 1-line block ×4, first 2 shown]
	v_min_u32_e32 v15, v61, v15
	v_cndmask_b32_e64 v19, v16, v30, s3
	v_cndmask_b32_e32 v40, v40, v61, vcc_lo
	v_cndmask_b32_e64 v23, v13, v17, s2
	v_cndmask_b32_e64 v13, v25, v13, s2
	v_lshlrev_b32_e32 v15, 4, v15
	v_cndmask_b32_e64 v16, v18, v19, s4
	v_cndmask_b32_e32 v18, v32, v44, vcc_lo
	v_cndmask_b32_e64 v46, v19, v46, s4
	v_cmp_gt_u32_e64 s1, s9, v40
	ds_read_b128 v[47:50], v15
	v_cndmask_b32_e64 v15, v17, v25, s2
	v_cndmask_b32_e64 v17, v29, v13, s3
	;; [unrolled: 1-line block ×8, first 2 shown]
	v_cndmask_b32_e32 v17, v31, v43, vcc_lo
	v_cndmask_b32_e64 v45, v20, v45, s4
	v_cndmask_b32_e32 v20, v52, v46, vcc_lo
	v_cndmask_b32_e32 v19, v51, v45, vcc_lo
	s_waitcnt lgkmcnt(0)
	v_cndmask_b32_e32 v30, v48, v32, vcc_lo
	v_cndmask_b32_e32 v29, v47, v31, vcc_lo
	;; [unrolled: 1-line block ×8, first 2 shown]
	v_cmp_ge_u64_e64 s0, v[29:30], v[31:32]
	v_cmp_le_u32_e64 s2, s14, v43
	v_cndmask_b32_e32 v43, v50, v52, vcc_lo
	s_and_b32 s0, s1, s0
	s_or_b32 vcc_lo, s2, s0
	v_cndmask_b32_e32 v30, v30, v32, vcc_lo
	v_cndmask_b32_e32 v29, v29, v31, vcc_lo
	;; [unrolled: 1-line block ×4, first 2 shown]
.LBB113_58:
	s_or_b32 exec_lo, exec_lo, s7
	v_lshlrev_b32_e32 v40, 2, v0
	s_mov_b32 s9, 0
	s_sub_i32 s4, s20, s8
	s_lshl_b64 s[2:3], s[8:9], 3
	v_and_b32_e32 v40, 0x3f0, v40
	s_add_u32 s0, s18, s2
	s_barrier
	buffer_gl0_inv
	s_addc_u32 s1, s19, s3
	v_lshl_add_u32 v40, v41, 4, v40
	s_add_u32 s2, s10, s2
	s_addc_u32 s3, s11, s3
	s_cmpk_gt_u32 s4, 0x7ff
	ds_write_b128 v40, v[9:12]
	ds_write_b128 v40, v[1:4] offset:16
	ds_write_b128 v40, v[5:8] offset:32
	;; [unrolled: 1-line block ×4, first 2 shown]
	v_lshrrev_b32_e32 v11, 1, v33
	v_lshrrev_b32_e32 v10, 1, v34
	;; [unrolled: 1-line block ×7, first 2 shown]
	ds_write_b128 v40, v[13:16] offset:80
	ds_write_b128 v40, v[17:20] offset:96
	;; [unrolled: 1-line block ×3, first 2 shown]
	s_waitcnt lgkmcnt(0)
	s_cbranch_scc0 .LBB113_60
; %bb.59:
	v_lshrrev_b32_e32 v1, 1, v0
	s_barrier
	buffer_gl0_inv
	v_and_b32_e32 v2, 0xf0, v11
	v_and_b32_e32 v3, 0x1f0, v10
	;; [unrolled: 1-line block ×7, first 2 shown]
	v_add_nc_u32_e32 v1, v1, v42
	v_and_b32_e32 v19, 0x3f0, v5
	v_add_co_u32 v32, s5, s0, v41
	v_add_nc_u32_e32 v43, v17, v42
	ds_read_b128 v[12:15], v1
	v_add_nc_u32_e32 v1, v2, v42
	v_add_nc_u32_e32 v2, v3, v42
	;; [unrolled: 1-line block ×6, first 2 shown]
	ds_read_b128 v[16:19], v2 offset:8192
	ds_read_b128 v[20:23], v3 offset:12288
	ds_read_b128 v[24:27], v1 offset:4096
	ds_read_b128 v[28:31], v4 offset:16384
	ds_read_b128 v[43:46], v43 offset:20480
	ds_read_b128 v[47:50], v47 offset:24576
	ds_read_b128 v[1:4], v51 offset:28672
	v_add_co_ci_u32_e64 v40, null, s1, 0, s5
	v_add_co_u32 v53, s5, s2, v41
	v_add_co_ci_u32_e64 v54, null, s3, 0, s5
	s_mov_b32 s9, -1
	s_waitcnt lgkmcnt(7)
	global_store_dwordx2 v41, v[12:13], s[0:1]
	global_store_dwordx2 v41, v[14:15], s[2:3]
	v_add_co_u32 v12, vcc_lo, v32, 0x1000
	v_add_co_ci_u32_e64 v13, null, 0, v40, vcc_lo
	v_add_co_u32 v14, vcc_lo, v53, 0x1000
	v_add_co_ci_u32_e64 v15, null, 0, v54, vcc_lo
	;; [unrolled: 2-line block ×3, first 2 shown]
	s_waitcnt lgkmcnt(4)
	global_store_dwordx2 v[12:13], v[24:25], off offset:-2048
	global_store_dwordx2 v[14:15], v[26:27], off offset:-2048
	global_store_dwordx2 v[12:13], v[16:17], off
	global_store_dwordx2 v[14:15], v[18:19], off
	global_store_dwordx2 v[51:52], v[20:21], off offset:-2048
	v_add_co_u32 v12, vcc_lo, v53, 0x2000
	v_add_co_ci_u32_e64 v13, null, 0, v54, vcc_lo
	v_add_co_u32 v14, vcc_lo, v32, 0x3000
	v_add_co_ci_u32_e64 v15, null, 0, v40, vcc_lo
	;; [unrolled: 2-line block ×3, first 2 shown]
	global_store_dwordx2 v[12:13], v[22:23], off offset:-2048
	s_waitcnt lgkmcnt(3)
	global_store_dwordx2 v[51:52], v[28:29], off
	global_store_dwordx2 v[12:13], v[30:31], off
	s_waitcnt lgkmcnt(2)
	global_store_dwordx2 v[14:15], v[43:44], off offset:-2048
	global_store_dwordx2 v[16:17], v[45:46], off offset:-2048
	s_waitcnt lgkmcnt(1)
	global_store_dwordx2 v[14:15], v[47:48], off
	global_store_dwordx2 v[16:17], v[49:50], off
	s_cbranch_execz .LBB113_61
	s_branch .LBB113_70
.LBB113_60:
                                        ; implicit-def: $vgpr3_vgpr4
.LBB113_61:
	s_waitcnt lgkmcnt(0)
	v_and_b32_e32 v1, 0xf0, v11
	v_and_b32_e32 v2, 0x1f0, v10
	;; [unrolled: 1-line block ×5, first 2 shown]
	v_add_nc_u32_e32 v1, v1, v42
	v_add_nc_u32_e32 v2, v2, v42
	s_barrier
	s_waitcnt_vscnt null, 0x0
	buffer_gl0_inv
	v_add_nc_u32_e32 v3, v3, v42
	ds_read_b128 v[25:28], v1 offset:4096
	ds_read_b128 v[21:24], v2 offset:8192
	v_and_b32_e32 v1, 0x3f0, v6
	v_and_b32_e32 v2, 0x3f0, v5
	v_add_nc_u32_e32 v4, v4, v42
	v_add_nc_u32_e32 v5, v7, v42
	v_add_co_u32 v31, s5, s0, v41
	v_add_nc_u32_e32 v1, v1, v42
	v_add_nc_u32_e32 v2, v2, v42
	ds_read_b128 v[17:20], v3 offset:12288
	ds_read_b128 v[13:16], v4 offset:16384
	;; [unrolled: 1-line block ×5, first 2 shown]
	v_add_co_ci_u32_e64 v32, null, s1, 0, s5
	v_add_co_u32 v29, s5, s2, v41
	v_add_co_ci_u32_e64 v30, null, s3, 0, s5
	s_mov_b32 s5, exec_lo
	v_cmpx_gt_u32_e64 s4, v0
	s_cbranch_execnz .LBB113_73
; %bb.62:
	s_or_b32 exec_lo, exec_lo, s5
	s_mov_b32 s5, exec_lo
	v_cmpx_gt_u32_e64 s4, v33
	s_cbranch_execnz .LBB113_74
.LBB113_63:
	s_or_b32 exec_lo, exec_lo, s5
	s_mov_b32 s5, exec_lo
	v_cmpx_gt_u32_e64 s4, v34
	s_cbranch_execnz .LBB113_75
.LBB113_64:
	s_or_b32 exec_lo, exec_lo, s5
	s_mov_b32 s5, exec_lo
	v_cmpx_gt_u32_e64 s4, v35
	s_cbranch_execnz .LBB113_76
.LBB113_65:
	s_or_b32 exec_lo, exec_lo, s5
	s_mov_b32 s5, exec_lo
	v_cmpx_gt_u32_e64 s4, v36
	s_cbranch_execnz .LBB113_77
.LBB113_66:
	s_or_b32 exec_lo, exec_lo, s5
	s_mov_b32 s5, exec_lo
	v_cmpx_gt_u32_e64 s4, v37
	s_cbranch_execnz .LBB113_78
.LBB113_67:
	s_or_b32 exec_lo, exec_lo, s5
	s_mov_b32 s5, exec_lo
	v_cmpx_gt_u32_e64 s4, v38
	s_cbranch_execz .LBB113_69
.LBB113_68:
	s_waitcnt lgkmcnt(2)
	v_add_co_u32 v9, vcc_lo, 0x3000, v31
	v_add_co_ci_u32_e64 v10, null, 0, v32, vcc_lo
	v_add_co_u32 v11, vcc_lo, 0x3000, v29
	v_add_co_ci_u32_e64 v12, null, 0, v30, vcc_lo
	s_waitcnt lgkmcnt(1)
	global_store_dwordx2 v[9:10], v[5:6], off
	global_store_dwordx2 v[11:12], v[7:8], off
.LBB113_69:
	s_or_b32 exec_lo, exec_lo, s5
	v_cmp_gt_u32_e64 s9, s4, v39
.LBB113_70:
	s_and_saveexec_b32 s4, s9
	s_cbranch_execnz .LBB113_72
; %bb.71:
	s_endpgm
.LBB113_72:
	v_add_co_u32 v0, s0, s0, v41
	s_waitcnt lgkmcnt(1)
	v_add_co_ci_u32_e64 v6, null, s1, 0, s0
	v_add_co_u32 v7, s0, s2, v41
	v_add_co_ci_u32_e64 v8, null, s3, 0, s0
	v_add_co_u32 v5, vcc_lo, 0x3800, v0
	v_add_co_ci_u32_e64 v6, null, 0, v6, vcc_lo
	v_add_co_u32 v7, vcc_lo, 0x3800, v7
	v_add_co_ci_u32_e64 v8, null, 0, v8, vcc_lo
	s_waitcnt lgkmcnt(0)
	global_store_dwordx2 v[5:6], v[1:2], off
	global_store_dwordx2 v[7:8], v[3:4], off
	s_endpgm
.LBB113_73:
	v_lshrrev_b32_e32 v40, 1, v0
	v_and_b32_e32 v40, 0x70, v40
	v_lshl_add_u32 v0, v0, 4, v40
	ds_read_b128 v[42:45], v0
	s_waitcnt lgkmcnt(0)
	global_store_dwordx2 v[31:32], v[42:43], off
	global_store_dwordx2 v[29:30], v[44:45], off
	s_or_b32 exec_lo, exec_lo, s5
	s_mov_b32 s5, exec_lo
	v_cmpx_gt_u32_e64 s4, v33
	s_cbranch_execz .LBB113_63
.LBB113_74:
	v_add_co_u32 v42, vcc_lo, 0x800, v31
	v_add_co_ci_u32_e64 v43, null, 0, v32, vcc_lo
	v_add_co_u32 v44, vcc_lo, 0x800, v29
	v_add_co_ci_u32_e64 v45, null, 0, v30, vcc_lo
	s_waitcnt lgkmcnt(6)
	global_store_dwordx2 v[42:43], v[25:26], off
	global_store_dwordx2 v[44:45], v[27:28], off
	s_or_b32 exec_lo, exec_lo, s5
	s_mov_b32 s5, exec_lo
	v_cmpx_gt_u32_e64 s4, v34
	s_cbranch_execz .LBB113_64
.LBB113_75:
	s_waitcnt lgkmcnt(6)
	v_add_co_u32 v25, vcc_lo, 0x1000, v31
	v_add_co_ci_u32_e64 v26, null, 0, v32, vcc_lo
	v_add_co_u32 v27, vcc_lo, 0x1000, v29
	v_add_co_ci_u32_e64 v28, null, 0, v30, vcc_lo
	s_waitcnt lgkmcnt(5)
	global_store_dwordx2 v[25:26], v[21:22], off
	global_store_dwordx2 v[27:28], v[23:24], off
	s_or_b32 exec_lo, exec_lo, s5
	s_mov_b32 s5, exec_lo
	v_cmpx_gt_u32_e64 s4, v35
	s_cbranch_execz .LBB113_65
.LBB113_76:
	s_waitcnt lgkmcnt(5)
	v_add_co_u32 v21, vcc_lo, 0x1800, v31
	v_add_co_ci_u32_e64 v22, null, 0, v32, vcc_lo
	v_add_co_u32 v23, vcc_lo, 0x1800, v29
	v_add_co_ci_u32_e64 v24, null, 0, v30, vcc_lo
	s_waitcnt lgkmcnt(4)
	global_store_dwordx2 v[21:22], v[17:18], off
	global_store_dwordx2 v[23:24], v[19:20], off
	s_or_b32 exec_lo, exec_lo, s5
	s_mov_b32 s5, exec_lo
	v_cmpx_gt_u32_e64 s4, v36
	s_cbranch_execz .LBB113_66
.LBB113_77:
	s_waitcnt lgkmcnt(4)
	v_add_co_u32 v17, vcc_lo, 0x2000, v31
	v_add_co_ci_u32_e64 v18, null, 0, v32, vcc_lo
	v_add_co_u32 v19, vcc_lo, 0x2000, v29
	v_add_co_ci_u32_e64 v20, null, 0, v30, vcc_lo
	s_waitcnt lgkmcnt(3)
	global_store_dwordx2 v[17:18], v[13:14], off
	global_store_dwordx2 v[19:20], v[15:16], off
	s_or_b32 exec_lo, exec_lo, s5
	s_mov_b32 s5, exec_lo
	v_cmpx_gt_u32_e64 s4, v37
	s_cbranch_execz .LBB113_67
.LBB113_78:
	s_waitcnt lgkmcnt(3)
	v_add_co_u32 v13, vcc_lo, 0x2800, v31
	v_add_co_ci_u32_e64 v14, null, 0, v32, vcc_lo
	v_add_co_u32 v15, vcc_lo, 0x2800, v29
	v_add_co_ci_u32_e64 v16, null, 0, v30, vcc_lo
	s_waitcnt lgkmcnt(2)
	global_store_dwordx2 v[13:14], v[9:10], off
	global_store_dwordx2 v[15:16], v[11:12], off
	s_or_b32 exec_lo, exec_lo, s5
	s_mov_b32 s5, exec_lo
	v_cmpx_gt_u32_e64 s4, v38
	s_cbranch_execnz .LBB113_68
	s_branch .LBB113_69
	.section	.rodata,"a",@progbits
	.p2align	6, 0x0
	.amdhsa_kernel _ZN7rocprim17ROCPRIM_400000_NS6detail17trampoline_kernelINS0_14default_configENS1_21merge_config_selectorINS0_5tupleIJyyEEENS0_10empty_typeEEEZNS1_10merge_implIS3_NS0_12zip_iteratorINS5_IJN6thrust23THRUST_200600_302600_NS6detail15normal_iteratorINSC_10device_ptrIKyEEEESI_EEEEESK_NSA_INS5_IJNSE_INSF_IyEEEESM_EEEEEPS7_SP_SP_NSC_11hip_rocprim7__merge17predicate_wrapperIyyNSC_4lessIyEEEEEE10hipError_tPvRmT0_T1_T2_T3_T4_T5_mmT6_P12ihipStream_tbEUlT_E0_NS1_11comp_targetILNS1_3genE8ELNS1_11target_archE1030ELNS1_3gpuE2ELNS1_3repE0EEENS1_30default_config_static_selectorELNS0_4arch9wavefront6targetE0EEEvS10_
		.amdhsa_group_segment_fixed_size 33792
		.amdhsa_private_segment_fixed_size 0
		.amdhsa_kernarg_size 112
		.amdhsa_user_sgpr_count 6
		.amdhsa_user_sgpr_private_segment_buffer 1
		.amdhsa_user_sgpr_dispatch_ptr 0
		.amdhsa_user_sgpr_queue_ptr 0
		.amdhsa_user_sgpr_kernarg_segment_ptr 1
		.amdhsa_user_sgpr_dispatch_id 0
		.amdhsa_user_sgpr_flat_scratch_init 0
		.amdhsa_user_sgpr_private_segment_size 0
		.amdhsa_wavefront_size32 1
		.amdhsa_uses_dynamic_stack 0
		.amdhsa_system_sgpr_private_segment_wavefront_offset 0
		.amdhsa_system_sgpr_workgroup_id_x 1
		.amdhsa_system_sgpr_workgroup_id_y 0
		.amdhsa_system_sgpr_workgroup_id_z 0
		.amdhsa_system_sgpr_workgroup_info 0
		.amdhsa_system_vgpr_workitem_id 0
		.amdhsa_next_free_vgpr 145
		.amdhsa_next_free_sgpr 26
		.amdhsa_reserve_vcc 1
		.amdhsa_reserve_flat_scratch 0
		.amdhsa_float_round_mode_32 0
		.amdhsa_float_round_mode_16_64 0
		.amdhsa_float_denorm_mode_32 3
		.amdhsa_float_denorm_mode_16_64 3
		.amdhsa_dx10_clamp 1
		.amdhsa_ieee_mode 1
		.amdhsa_fp16_overflow 0
		.amdhsa_workgroup_processor_mode 1
		.amdhsa_memory_ordered 1
		.amdhsa_forward_progress 1
		.amdhsa_shared_vgpr_count 0
		.amdhsa_exception_fp_ieee_invalid_op 0
		.amdhsa_exception_fp_denorm_src 0
		.amdhsa_exception_fp_ieee_div_zero 0
		.amdhsa_exception_fp_ieee_overflow 0
		.amdhsa_exception_fp_ieee_underflow 0
		.amdhsa_exception_fp_ieee_inexact 0
		.amdhsa_exception_int_div_zero 0
	.end_amdhsa_kernel
	.section	.text._ZN7rocprim17ROCPRIM_400000_NS6detail17trampoline_kernelINS0_14default_configENS1_21merge_config_selectorINS0_5tupleIJyyEEENS0_10empty_typeEEEZNS1_10merge_implIS3_NS0_12zip_iteratorINS5_IJN6thrust23THRUST_200600_302600_NS6detail15normal_iteratorINSC_10device_ptrIKyEEEESI_EEEEESK_NSA_INS5_IJNSE_INSF_IyEEEESM_EEEEEPS7_SP_SP_NSC_11hip_rocprim7__merge17predicate_wrapperIyyNSC_4lessIyEEEEEE10hipError_tPvRmT0_T1_T2_T3_T4_T5_mmT6_P12ihipStream_tbEUlT_E0_NS1_11comp_targetILNS1_3genE8ELNS1_11target_archE1030ELNS1_3gpuE2ELNS1_3repE0EEENS1_30default_config_static_selectorELNS0_4arch9wavefront6targetE0EEEvS10_,"axG",@progbits,_ZN7rocprim17ROCPRIM_400000_NS6detail17trampoline_kernelINS0_14default_configENS1_21merge_config_selectorINS0_5tupleIJyyEEENS0_10empty_typeEEEZNS1_10merge_implIS3_NS0_12zip_iteratorINS5_IJN6thrust23THRUST_200600_302600_NS6detail15normal_iteratorINSC_10device_ptrIKyEEEESI_EEEEESK_NSA_INS5_IJNSE_INSF_IyEEEESM_EEEEEPS7_SP_SP_NSC_11hip_rocprim7__merge17predicate_wrapperIyyNSC_4lessIyEEEEEE10hipError_tPvRmT0_T1_T2_T3_T4_T5_mmT6_P12ihipStream_tbEUlT_E0_NS1_11comp_targetILNS1_3genE8ELNS1_11target_archE1030ELNS1_3gpuE2ELNS1_3repE0EEENS1_30default_config_static_selectorELNS0_4arch9wavefront6targetE0EEEvS10_,comdat
.Lfunc_end113:
	.size	_ZN7rocprim17ROCPRIM_400000_NS6detail17trampoline_kernelINS0_14default_configENS1_21merge_config_selectorINS0_5tupleIJyyEEENS0_10empty_typeEEEZNS1_10merge_implIS3_NS0_12zip_iteratorINS5_IJN6thrust23THRUST_200600_302600_NS6detail15normal_iteratorINSC_10device_ptrIKyEEEESI_EEEEESK_NSA_INS5_IJNSE_INSF_IyEEEESM_EEEEEPS7_SP_SP_NSC_11hip_rocprim7__merge17predicate_wrapperIyyNSC_4lessIyEEEEEE10hipError_tPvRmT0_T1_T2_T3_T4_T5_mmT6_P12ihipStream_tbEUlT_E0_NS1_11comp_targetILNS1_3genE8ELNS1_11target_archE1030ELNS1_3gpuE2ELNS1_3repE0EEENS1_30default_config_static_selectorELNS0_4arch9wavefront6targetE0EEEvS10_, .Lfunc_end113-_ZN7rocprim17ROCPRIM_400000_NS6detail17trampoline_kernelINS0_14default_configENS1_21merge_config_selectorINS0_5tupleIJyyEEENS0_10empty_typeEEEZNS1_10merge_implIS3_NS0_12zip_iteratorINS5_IJN6thrust23THRUST_200600_302600_NS6detail15normal_iteratorINSC_10device_ptrIKyEEEESI_EEEEESK_NSA_INS5_IJNSE_INSF_IyEEEESM_EEEEEPS7_SP_SP_NSC_11hip_rocprim7__merge17predicate_wrapperIyyNSC_4lessIyEEEEEE10hipError_tPvRmT0_T1_T2_T3_T4_T5_mmT6_P12ihipStream_tbEUlT_E0_NS1_11comp_targetILNS1_3genE8ELNS1_11target_archE1030ELNS1_3gpuE2ELNS1_3repE0EEENS1_30default_config_static_selectorELNS0_4arch9wavefront6targetE0EEEvS10_
                                        ; -- End function
	.set _ZN7rocprim17ROCPRIM_400000_NS6detail17trampoline_kernelINS0_14default_configENS1_21merge_config_selectorINS0_5tupleIJyyEEENS0_10empty_typeEEEZNS1_10merge_implIS3_NS0_12zip_iteratorINS5_IJN6thrust23THRUST_200600_302600_NS6detail15normal_iteratorINSC_10device_ptrIKyEEEESI_EEEEESK_NSA_INS5_IJNSE_INSF_IyEEEESM_EEEEEPS7_SP_SP_NSC_11hip_rocprim7__merge17predicate_wrapperIyyNSC_4lessIyEEEEEE10hipError_tPvRmT0_T1_T2_T3_T4_T5_mmT6_P12ihipStream_tbEUlT_E0_NS1_11comp_targetILNS1_3genE8ELNS1_11target_archE1030ELNS1_3gpuE2ELNS1_3repE0EEENS1_30default_config_static_selectorELNS0_4arch9wavefront6targetE0EEEvS10_.num_vgpr, 63
	.set _ZN7rocprim17ROCPRIM_400000_NS6detail17trampoline_kernelINS0_14default_configENS1_21merge_config_selectorINS0_5tupleIJyyEEENS0_10empty_typeEEEZNS1_10merge_implIS3_NS0_12zip_iteratorINS5_IJN6thrust23THRUST_200600_302600_NS6detail15normal_iteratorINSC_10device_ptrIKyEEEESI_EEEEESK_NSA_INS5_IJNSE_INSF_IyEEEESM_EEEEEPS7_SP_SP_NSC_11hip_rocprim7__merge17predicate_wrapperIyyNSC_4lessIyEEEEEE10hipError_tPvRmT0_T1_T2_T3_T4_T5_mmT6_P12ihipStream_tbEUlT_E0_NS1_11comp_targetILNS1_3genE8ELNS1_11target_archE1030ELNS1_3gpuE2ELNS1_3repE0EEENS1_30default_config_static_selectorELNS0_4arch9wavefront6targetE0EEEvS10_.num_agpr, 0
	.set _ZN7rocprim17ROCPRIM_400000_NS6detail17trampoline_kernelINS0_14default_configENS1_21merge_config_selectorINS0_5tupleIJyyEEENS0_10empty_typeEEEZNS1_10merge_implIS3_NS0_12zip_iteratorINS5_IJN6thrust23THRUST_200600_302600_NS6detail15normal_iteratorINSC_10device_ptrIKyEEEESI_EEEEESK_NSA_INS5_IJNSE_INSF_IyEEEESM_EEEEEPS7_SP_SP_NSC_11hip_rocprim7__merge17predicate_wrapperIyyNSC_4lessIyEEEEEE10hipError_tPvRmT0_T1_T2_T3_T4_T5_mmT6_P12ihipStream_tbEUlT_E0_NS1_11comp_targetILNS1_3genE8ELNS1_11target_archE1030ELNS1_3gpuE2ELNS1_3repE0EEENS1_30default_config_static_selectorELNS0_4arch9wavefront6targetE0EEEvS10_.numbered_sgpr, 26
	.set _ZN7rocprim17ROCPRIM_400000_NS6detail17trampoline_kernelINS0_14default_configENS1_21merge_config_selectorINS0_5tupleIJyyEEENS0_10empty_typeEEEZNS1_10merge_implIS3_NS0_12zip_iteratorINS5_IJN6thrust23THRUST_200600_302600_NS6detail15normal_iteratorINSC_10device_ptrIKyEEEESI_EEEEESK_NSA_INS5_IJNSE_INSF_IyEEEESM_EEEEEPS7_SP_SP_NSC_11hip_rocprim7__merge17predicate_wrapperIyyNSC_4lessIyEEEEEE10hipError_tPvRmT0_T1_T2_T3_T4_T5_mmT6_P12ihipStream_tbEUlT_E0_NS1_11comp_targetILNS1_3genE8ELNS1_11target_archE1030ELNS1_3gpuE2ELNS1_3repE0EEENS1_30default_config_static_selectorELNS0_4arch9wavefront6targetE0EEEvS10_.num_named_barrier, 0
	.set _ZN7rocprim17ROCPRIM_400000_NS6detail17trampoline_kernelINS0_14default_configENS1_21merge_config_selectorINS0_5tupleIJyyEEENS0_10empty_typeEEEZNS1_10merge_implIS3_NS0_12zip_iteratorINS5_IJN6thrust23THRUST_200600_302600_NS6detail15normal_iteratorINSC_10device_ptrIKyEEEESI_EEEEESK_NSA_INS5_IJNSE_INSF_IyEEEESM_EEEEEPS7_SP_SP_NSC_11hip_rocprim7__merge17predicate_wrapperIyyNSC_4lessIyEEEEEE10hipError_tPvRmT0_T1_T2_T3_T4_T5_mmT6_P12ihipStream_tbEUlT_E0_NS1_11comp_targetILNS1_3genE8ELNS1_11target_archE1030ELNS1_3gpuE2ELNS1_3repE0EEENS1_30default_config_static_selectorELNS0_4arch9wavefront6targetE0EEEvS10_.private_seg_size, 0
	.set _ZN7rocprim17ROCPRIM_400000_NS6detail17trampoline_kernelINS0_14default_configENS1_21merge_config_selectorINS0_5tupleIJyyEEENS0_10empty_typeEEEZNS1_10merge_implIS3_NS0_12zip_iteratorINS5_IJN6thrust23THRUST_200600_302600_NS6detail15normal_iteratorINSC_10device_ptrIKyEEEESI_EEEEESK_NSA_INS5_IJNSE_INSF_IyEEEESM_EEEEEPS7_SP_SP_NSC_11hip_rocprim7__merge17predicate_wrapperIyyNSC_4lessIyEEEEEE10hipError_tPvRmT0_T1_T2_T3_T4_T5_mmT6_P12ihipStream_tbEUlT_E0_NS1_11comp_targetILNS1_3genE8ELNS1_11target_archE1030ELNS1_3gpuE2ELNS1_3repE0EEENS1_30default_config_static_selectorELNS0_4arch9wavefront6targetE0EEEvS10_.uses_vcc, 1
	.set _ZN7rocprim17ROCPRIM_400000_NS6detail17trampoline_kernelINS0_14default_configENS1_21merge_config_selectorINS0_5tupleIJyyEEENS0_10empty_typeEEEZNS1_10merge_implIS3_NS0_12zip_iteratorINS5_IJN6thrust23THRUST_200600_302600_NS6detail15normal_iteratorINSC_10device_ptrIKyEEEESI_EEEEESK_NSA_INS5_IJNSE_INSF_IyEEEESM_EEEEEPS7_SP_SP_NSC_11hip_rocprim7__merge17predicate_wrapperIyyNSC_4lessIyEEEEEE10hipError_tPvRmT0_T1_T2_T3_T4_T5_mmT6_P12ihipStream_tbEUlT_E0_NS1_11comp_targetILNS1_3genE8ELNS1_11target_archE1030ELNS1_3gpuE2ELNS1_3repE0EEENS1_30default_config_static_selectorELNS0_4arch9wavefront6targetE0EEEvS10_.uses_flat_scratch, 0
	.set _ZN7rocprim17ROCPRIM_400000_NS6detail17trampoline_kernelINS0_14default_configENS1_21merge_config_selectorINS0_5tupleIJyyEEENS0_10empty_typeEEEZNS1_10merge_implIS3_NS0_12zip_iteratorINS5_IJN6thrust23THRUST_200600_302600_NS6detail15normal_iteratorINSC_10device_ptrIKyEEEESI_EEEEESK_NSA_INS5_IJNSE_INSF_IyEEEESM_EEEEEPS7_SP_SP_NSC_11hip_rocprim7__merge17predicate_wrapperIyyNSC_4lessIyEEEEEE10hipError_tPvRmT0_T1_T2_T3_T4_T5_mmT6_P12ihipStream_tbEUlT_E0_NS1_11comp_targetILNS1_3genE8ELNS1_11target_archE1030ELNS1_3gpuE2ELNS1_3repE0EEENS1_30default_config_static_selectorELNS0_4arch9wavefront6targetE0EEEvS10_.has_dyn_sized_stack, 0
	.set _ZN7rocprim17ROCPRIM_400000_NS6detail17trampoline_kernelINS0_14default_configENS1_21merge_config_selectorINS0_5tupleIJyyEEENS0_10empty_typeEEEZNS1_10merge_implIS3_NS0_12zip_iteratorINS5_IJN6thrust23THRUST_200600_302600_NS6detail15normal_iteratorINSC_10device_ptrIKyEEEESI_EEEEESK_NSA_INS5_IJNSE_INSF_IyEEEESM_EEEEEPS7_SP_SP_NSC_11hip_rocprim7__merge17predicate_wrapperIyyNSC_4lessIyEEEEEE10hipError_tPvRmT0_T1_T2_T3_T4_T5_mmT6_P12ihipStream_tbEUlT_E0_NS1_11comp_targetILNS1_3genE8ELNS1_11target_archE1030ELNS1_3gpuE2ELNS1_3repE0EEENS1_30default_config_static_selectorELNS0_4arch9wavefront6targetE0EEEvS10_.has_recursion, 0
	.set _ZN7rocprim17ROCPRIM_400000_NS6detail17trampoline_kernelINS0_14default_configENS1_21merge_config_selectorINS0_5tupleIJyyEEENS0_10empty_typeEEEZNS1_10merge_implIS3_NS0_12zip_iteratorINS5_IJN6thrust23THRUST_200600_302600_NS6detail15normal_iteratorINSC_10device_ptrIKyEEEESI_EEEEESK_NSA_INS5_IJNSE_INSF_IyEEEESM_EEEEEPS7_SP_SP_NSC_11hip_rocprim7__merge17predicate_wrapperIyyNSC_4lessIyEEEEEE10hipError_tPvRmT0_T1_T2_T3_T4_T5_mmT6_P12ihipStream_tbEUlT_E0_NS1_11comp_targetILNS1_3genE8ELNS1_11target_archE1030ELNS1_3gpuE2ELNS1_3repE0EEENS1_30default_config_static_selectorELNS0_4arch9wavefront6targetE0EEEvS10_.has_indirect_call, 0
	.section	.AMDGPU.csdata,"",@progbits
; Kernel info:
; codeLenInByte = 4616
; TotalNumSgprs: 28
; NumVgprs: 63
; ScratchSize: 0
; MemoryBound: 0
; FloatMode: 240
; IeeeMode: 1
; LDSByteSize: 33792 bytes/workgroup (compile time only)
; SGPRBlocks: 0
; VGPRBlocks: 18
; NumSGPRsForWavesPerEU: 28
; NumVGPRsForWavesPerEU: 145
; Occupancy: 6
; WaveLimiterHint : 1
; COMPUTE_PGM_RSRC2:SCRATCH_EN: 0
; COMPUTE_PGM_RSRC2:USER_SGPR: 6
; COMPUTE_PGM_RSRC2:TRAP_HANDLER: 0
; COMPUTE_PGM_RSRC2:TGID_X_EN: 1
; COMPUTE_PGM_RSRC2:TGID_Y_EN: 0
; COMPUTE_PGM_RSRC2:TGID_Z_EN: 0
; COMPUTE_PGM_RSRC2:TIDIG_COMP_CNT: 0
	.section	.text._ZN7rocprim17ROCPRIM_400000_NS6detail17trampoline_kernelINS0_14default_configENS1_22reduce_config_selectorIN6thrust23THRUST_200600_302600_NS5tupleIblNS6_9null_typeES8_S8_S8_S8_S8_S8_S8_EEEEZNS1_11reduce_implILb1ES3_NS6_12zip_iteratorINS7_INS6_11hip_rocprim26transform_input_iterator_tIbNSD_35transform_pair_of_input_iterators_tIbNS6_6detail15normal_iteratorINS6_10device_ptrIKyEEEESL_NS6_8equal_toIyEEEENSG_9not_fun_tINSD_8identityEEEEENSD_19counting_iterator_tIlEES8_S8_S8_S8_S8_S8_S8_S8_EEEEPS9_S9_NSD_9__find_if7functorIS9_EEEE10hipError_tPvRmT1_T2_T3_mT4_P12ihipStream_tbEUlT_E0_NS1_11comp_targetILNS1_3genE0ELNS1_11target_archE4294967295ELNS1_3gpuE0ELNS1_3repE0EEENS1_30default_config_static_selectorELNS0_4arch9wavefront6targetE0EEEvS14_,"axG",@progbits,_ZN7rocprim17ROCPRIM_400000_NS6detail17trampoline_kernelINS0_14default_configENS1_22reduce_config_selectorIN6thrust23THRUST_200600_302600_NS5tupleIblNS6_9null_typeES8_S8_S8_S8_S8_S8_S8_EEEEZNS1_11reduce_implILb1ES3_NS6_12zip_iteratorINS7_INS6_11hip_rocprim26transform_input_iterator_tIbNSD_35transform_pair_of_input_iterators_tIbNS6_6detail15normal_iteratorINS6_10device_ptrIKyEEEESL_NS6_8equal_toIyEEEENSG_9not_fun_tINSD_8identityEEEEENSD_19counting_iterator_tIlEES8_S8_S8_S8_S8_S8_S8_S8_EEEEPS9_S9_NSD_9__find_if7functorIS9_EEEE10hipError_tPvRmT1_T2_T3_mT4_P12ihipStream_tbEUlT_E0_NS1_11comp_targetILNS1_3genE0ELNS1_11target_archE4294967295ELNS1_3gpuE0ELNS1_3repE0EEENS1_30default_config_static_selectorELNS0_4arch9wavefront6targetE0EEEvS14_,comdat
	.protected	_ZN7rocprim17ROCPRIM_400000_NS6detail17trampoline_kernelINS0_14default_configENS1_22reduce_config_selectorIN6thrust23THRUST_200600_302600_NS5tupleIblNS6_9null_typeES8_S8_S8_S8_S8_S8_S8_EEEEZNS1_11reduce_implILb1ES3_NS6_12zip_iteratorINS7_INS6_11hip_rocprim26transform_input_iterator_tIbNSD_35transform_pair_of_input_iterators_tIbNS6_6detail15normal_iteratorINS6_10device_ptrIKyEEEESL_NS6_8equal_toIyEEEENSG_9not_fun_tINSD_8identityEEEEENSD_19counting_iterator_tIlEES8_S8_S8_S8_S8_S8_S8_S8_EEEEPS9_S9_NSD_9__find_if7functorIS9_EEEE10hipError_tPvRmT1_T2_T3_mT4_P12ihipStream_tbEUlT_E0_NS1_11comp_targetILNS1_3genE0ELNS1_11target_archE4294967295ELNS1_3gpuE0ELNS1_3repE0EEENS1_30default_config_static_selectorELNS0_4arch9wavefront6targetE0EEEvS14_ ; -- Begin function _ZN7rocprim17ROCPRIM_400000_NS6detail17trampoline_kernelINS0_14default_configENS1_22reduce_config_selectorIN6thrust23THRUST_200600_302600_NS5tupleIblNS6_9null_typeES8_S8_S8_S8_S8_S8_S8_EEEEZNS1_11reduce_implILb1ES3_NS6_12zip_iteratorINS7_INS6_11hip_rocprim26transform_input_iterator_tIbNSD_35transform_pair_of_input_iterators_tIbNS6_6detail15normal_iteratorINS6_10device_ptrIKyEEEESL_NS6_8equal_toIyEEEENSG_9not_fun_tINSD_8identityEEEEENSD_19counting_iterator_tIlEES8_S8_S8_S8_S8_S8_S8_S8_EEEEPS9_S9_NSD_9__find_if7functorIS9_EEEE10hipError_tPvRmT1_T2_T3_mT4_P12ihipStream_tbEUlT_E0_NS1_11comp_targetILNS1_3genE0ELNS1_11target_archE4294967295ELNS1_3gpuE0ELNS1_3repE0EEENS1_30default_config_static_selectorELNS0_4arch9wavefront6targetE0EEEvS14_
	.globl	_ZN7rocprim17ROCPRIM_400000_NS6detail17trampoline_kernelINS0_14default_configENS1_22reduce_config_selectorIN6thrust23THRUST_200600_302600_NS5tupleIblNS6_9null_typeES8_S8_S8_S8_S8_S8_S8_EEEEZNS1_11reduce_implILb1ES3_NS6_12zip_iteratorINS7_INS6_11hip_rocprim26transform_input_iterator_tIbNSD_35transform_pair_of_input_iterators_tIbNS6_6detail15normal_iteratorINS6_10device_ptrIKyEEEESL_NS6_8equal_toIyEEEENSG_9not_fun_tINSD_8identityEEEEENSD_19counting_iterator_tIlEES8_S8_S8_S8_S8_S8_S8_S8_EEEEPS9_S9_NSD_9__find_if7functorIS9_EEEE10hipError_tPvRmT1_T2_T3_mT4_P12ihipStream_tbEUlT_E0_NS1_11comp_targetILNS1_3genE0ELNS1_11target_archE4294967295ELNS1_3gpuE0ELNS1_3repE0EEENS1_30default_config_static_selectorELNS0_4arch9wavefront6targetE0EEEvS14_
	.p2align	8
	.type	_ZN7rocprim17ROCPRIM_400000_NS6detail17trampoline_kernelINS0_14default_configENS1_22reduce_config_selectorIN6thrust23THRUST_200600_302600_NS5tupleIblNS6_9null_typeES8_S8_S8_S8_S8_S8_S8_EEEEZNS1_11reduce_implILb1ES3_NS6_12zip_iteratorINS7_INS6_11hip_rocprim26transform_input_iterator_tIbNSD_35transform_pair_of_input_iterators_tIbNS6_6detail15normal_iteratorINS6_10device_ptrIKyEEEESL_NS6_8equal_toIyEEEENSG_9not_fun_tINSD_8identityEEEEENSD_19counting_iterator_tIlEES8_S8_S8_S8_S8_S8_S8_S8_EEEEPS9_S9_NSD_9__find_if7functorIS9_EEEE10hipError_tPvRmT1_T2_T3_mT4_P12ihipStream_tbEUlT_E0_NS1_11comp_targetILNS1_3genE0ELNS1_11target_archE4294967295ELNS1_3gpuE0ELNS1_3repE0EEENS1_30default_config_static_selectorELNS0_4arch9wavefront6targetE0EEEvS14_,@function
_ZN7rocprim17ROCPRIM_400000_NS6detail17trampoline_kernelINS0_14default_configENS1_22reduce_config_selectorIN6thrust23THRUST_200600_302600_NS5tupleIblNS6_9null_typeES8_S8_S8_S8_S8_S8_S8_EEEEZNS1_11reduce_implILb1ES3_NS6_12zip_iteratorINS7_INS6_11hip_rocprim26transform_input_iterator_tIbNSD_35transform_pair_of_input_iterators_tIbNS6_6detail15normal_iteratorINS6_10device_ptrIKyEEEESL_NS6_8equal_toIyEEEENSG_9not_fun_tINSD_8identityEEEEENSD_19counting_iterator_tIlEES8_S8_S8_S8_S8_S8_S8_S8_EEEEPS9_S9_NSD_9__find_if7functorIS9_EEEE10hipError_tPvRmT1_T2_T3_mT4_P12ihipStream_tbEUlT_E0_NS1_11comp_targetILNS1_3genE0ELNS1_11target_archE4294967295ELNS1_3gpuE0ELNS1_3repE0EEENS1_30default_config_static_selectorELNS0_4arch9wavefront6targetE0EEEvS14_: ; @_ZN7rocprim17ROCPRIM_400000_NS6detail17trampoline_kernelINS0_14default_configENS1_22reduce_config_selectorIN6thrust23THRUST_200600_302600_NS5tupleIblNS6_9null_typeES8_S8_S8_S8_S8_S8_S8_EEEEZNS1_11reduce_implILb1ES3_NS6_12zip_iteratorINS7_INS6_11hip_rocprim26transform_input_iterator_tIbNSD_35transform_pair_of_input_iterators_tIbNS6_6detail15normal_iteratorINS6_10device_ptrIKyEEEESL_NS6_8equal_toIyEEEENSG_9not_fun_tINSD_8identityEEEEENSD_19counting_iterator_tIlEES8_S8_S8_S8_S8_S8_S8_S8_EEEEPS9_S9_NSD_9__find_if7functorIS9_EEEE10hipError_tPvRmT1_T2_T3_mT4_P12ihipStream_tbEUlT_E0_NS1_11comp_targetILNS1_3genE0ELNS1_11target_archE4294967295ELNS1_3gpuE0ELNS1_3repE0EEENS1_30default_config_static_selectorELNS0_4arch9wavefront6targetE0EEEvS14_
; %bb.0:
	.section	.rodata,"a",@progbits
	.p2align	6, 0x0
	.amdhsa_kernel _ZN7rocprim17ROCPRIM_400000_NS6detail17trampoline_kernelINS0_14default_configENS1_22reduce_config_selectorIN6thrust23THRUST_200600_302600_NS5tupleIblNS6_9null_typeES8_S8_S8_S8_S8_S8_S8_EEEEZNS1_11reduce_implILb1ES3_NS6_12zip_iteratorINS7_INS6_11hip_rocprim26transform_input_iterator_tIbNSD_35transform_pair_of_input_iterators_tIbNS6_6detail15normal_iteratorINS6_10device_ptrIKyEEEESL_NS6_8equal_toIyEEEENSG_9not_fun_tINSD_8identityEEEEENSD_19counting_iterator_tIlEES8_S8_S8_S8_S8_S8_S8_S8_EEEEPS9_S9_NSD_9__find_if7functorIS9_EEEE10hipError_tPvRmT1_T2_T3_mT4_P12ihipStream_tbEUlT_E0_NS1_11comp_targetILNS1_3genE0ELNS1_11target_archE4294967295ELNS1_3gpuE0ELNS1_3repE0EEENS1_30default_config_static_selectorELNS0_4arch9wavefront6targetE0EEEvS14_
		.amdhsa_group_segment_fixed_size 0
		.amdhsa_private_segment_fixed_size 0
		.amdhsa_kernarg_size 104
		.amdhsa_user_sgpr_count 6
		.amdhsa_user_sgpr_private_segment_buffer 1
		.amdhsa_user_sgpr_dispatch_ptr 0
		.amdhsa_user_sgpr_queue_ptr 0
		.amdhsa_user_sgpr_kernarg_segment_ptr 1
		.amdhsa_user_sgpr_dispatch_id 0
		.amdhsa_user_sgpr_flat_scratch_init 0
		.amdhsa_user_sgpr_private_segment_size 0
		.amdhsa_wavefront_size32 1
		.amdhsa_uses_dynamic_stack 0
		.amdhsa_system_sgpr_private_segment_wavefront_offset 0
		.amdhsa_system_sgpr_workgroup_id_x 1
		.amdhsa_system_sgpr_workgroup_id_y 0
		.amdhsa_system_sgpr_workgroup_id_z 0
		.amdhsa_system_sgpr_workgroup_info 0
		.amdhsa_system_vgpr_workitem_id 0
		.amdhsa_next_free_vgpr 1
		.amdhsa_next_free_sgpr 1
		.amdhsa_reserve_vcc 0
		.amdhsa_reserve_flat_scratch 0
		.amdhsa_float_round_mode_32 0
		.amdhsa_float_round_mode_16_64 0
		.amdhsa_float_denorm_mode_32 3
		.amdhsa_float_denorm_mode_16_64 3
		.amdhsa_dx10_clamp 1
		.amdhsa_ieee_mode 1
		.amdhsa_fp16_overflow 0
		.amdhsa_workgroup_processor_mode 1
		.amdhsa_memory_ordered 1
		.amdhsa_forward_progress 1
		.amdhsa_shared_vgpr_count 0
		.amdhsa_exception_fp_ieee_invalid_op 0
		.amdhsa_exception_fp_denorm_src 0
		.amdhsa_exception_fp_ieee_div_zero 0
		.amdhsa_exception_fp_ieee_overflow 0
		.amdhsa_exception_fp_ieee_underflow 0
		.amdhsa_exception_fp_ieee_inexact 0
		.amdhsa_exception_int_div_zero 0
	.end_amdhsa_kernel
	.section	.text._ZN7rocprim17ROCPRIM_400000_NS6detail17trampoline_kernelINS0_14default_configENS1_22reduce_config_selectorIN6thrust23THRUST_200600_302600_NS5tupleIblNS6_9null_typeES8_S8_S8_S8_S8_S8_S8_EEEEZNS1_11reduce_implILb1ES3_NS6_12zip_iteratorINS7_INS6_11hip_rocprim26transform_input_iterator_tIbNSD_35transform_pair_of_input_iterators_tIbNS6_6detail15normal_iteratorINS6_10device_ptrIKyEEEESL_NS6_8equal_toIyEEEENSG_9not_fun_tINSD_8identityEEEEENSD_19counting_iterator_tIlEES8_S8_S8_S8_S8_S8_S8_S8_EEEEPS9_S9_NSD_9__find_if7functorIS9_EEEE10hipError_tPvRmT1_T2_T3_mT4_P12ihipStream_tbEUlT_E0_NS1_11comp_targetILNS1_3genE0ELNS1_11target_archE4294967295ELNS1_3gpuE0ELNS1_3repE0EEENS1_30default_config_static_selectorELNS0_4arch9wavefront6targetE0EEEvS14_,"axG",@progbits,_ZN7rocprim17ROCPRIM_400000_NS6detail17trampoline_kernelINS0_14default_configENS1_22reduce_config_selectorIN6thrust23THRUST_200600_302600_NS5tupleIblNS6_9null_typeES8_S8_S8_S8_S8_S8_S8_EEEEZNS1_11reduce_implILb1ES3_NS6_12zip_iteratorINS7_INS6_11hip_rocprim26transform_input_iterator_tIbNSD_35transform_pair_of_input_iterators_tIbNS6_6detail15normal_iteratorINS6_10device_ptrIKyEEEESL_NS6_8equal_toIyEEEENSG_9not_fun_tINSD_8identityEEEEENSD_19counting_iterator_tIlEES8_S8_S8_S8_S8_S8_S8_S8_EEEEPS9_S9_NSD_9__find_if7functorIS9_EEEE10hipError_tPvRmT1_T2_T3_mT4_P12ihipStream_tbEUlT_E0_NS1_11comp_targetILNS1_3genE0ELNS1_11target_archE4294967295ELNS1_3gpuE0ELNS1_3repE0EEENS1_30default_config_static_selectorELNS0_4arch9wavefront6targetE0EEEvS14_,comdat
.Lfunc_end114:
	.size	_ZN7rocprim17ROCPRIM_400000_NS6detail17trampoline_kernelINS0_14default_configENS1_22reduce_config_selectorIN6thrust23THRUST_200600_302600_NS5tupleIblNS6_9null_typeES8_S8_S8_S8_S8_S8_S8_EEEEZNS1_11reduce_implILb1ES3_NS6_12zip_iteratorINS7_INS6_11hip_rocprim26transform_input_iterator_tIbNSD_35transform_pair_of_input_iterators_tIbNS6_6detail15normal_iteratorINS6_10device_ptrIKyEEEESL_NS6_8equal_toIyEEEENSG_9not_fun_tINSD_8identityEEEEENSD_19counting_iterator_tIlEES8_S8_S8_S8_S8_S8_S8_S8_EEEEPS9_S9_NSD_9__find_if7functorIS9_EEEE10hipError_tPvRmT1_T2_T3_mT4_P12ihipStream_tbEUlT_E0_NS1_11comp_targetILNS1_3genE0ELNS1_11target_archE4294967295ELNS1_3gpuE0ELNS1_3repE0EEENS1_30default_config_static_selectorELNS0_4arch9wavefront6targetE0EEEvS14_, .Lfunc_end114-_ZN7rocprim17ROCPRIM_400000_NS6detail17trampoline_kernelINS0_14default_configENS1_22reduce_config_selectorIN6thrust23THRUST_200600_302600_NS5tupleIblNS6_9null_typeES8_S8_S8_S8_S8_S8_S8_EEEEZNS1_11reduce_implILb1ES3_NS6_12zip_iteratorINS7_INS6_11hip_rocprim26transform_input_iterator_tIbNSD_35transform_pair_of_input_iterators_tIbNS6_6detail15normal_iteratorINS6_10device_ptrIKyEEEESL_NS6_8equal_toIyEEEENSG_9not_fun_tINSD_8identityEEEEENSD_19counting_iterator_tIlEES8_S8_S8_S8_S8_S8_S8_S8_EEEEPS9_S9_NSD_9__find_if7functorIS9_EEEE10hipError_tPvRmT1_T2_T3_mT4_P12ihipStream_tbEUlT_E0_NS1_11comp_targetILNS1_3genE0ELNS1_11target_archE4294967295ELNS1_3gpuE0ELNS1_3repE0EEENS1_30default_config_static_selectorELNS0_4arch9wavefront6targetE0EEEvS14_
                                        ; -- End function
	.set _ZN7rocprim17ROCPRIM_400000_NS6detail17trampoline_kernelINS0_14default_configENS1_22reduce_config_selectorIN6thrust23THRUST_200600_302600_NS5tupleIblNS6_9null_typeES8_S8_S8_S8_S8_S8_S8_EEEEZNS1_11reduce_implILb1ES3_NS6_12zip_iteratorINS7_INS6_11hip_rocprim26transform_input_iterator_tIbNSD_35transform_pair_of_input_iterators_tIbNS6_6detail15normal_iteratorINS6_10device_ptrIKyEEEESL_NS6_8equal_toIyEEEENSG_9not_fun_tINSD_8identityEEEEENSD_19counting_iterator_tIlEES8_S8_S8_S8_S8_S8_S8_S8_EEEEPS9_S9_NSD_9__find_if7functorIS9_EEEE10hipError_tPvRmT1_T2_T3_mT4_P12ihipStream_tbEUlT_E0_NS1_11comp_targetILNS1_3genE0ELNS1_11target_archE4294967295ELNS1_3gpuE0ELNS1_3repE0EEENS1_30default_config_static_selectorELNS0_4arch9wavefront6targetE0EEEvS14_.num_vgpr, 0
	.set _ZN7rocprim17ROCPRIM_400000_NS6detail17trampoline_kernelINS0_14default_configENS1_22reduce_config_selectorIN6thrust23THRUST_200600_302600_NS5tupleIblNS6_9null_typeES8_S8_S8_S8_S8_S8_S8_EEEEZNS1_11reduce_implILb1ES3_NS6_12zip_iteratorINS7_INS6_11hip_rocprim26transform_input_iterator_tIbNSD_35transform_pair_of_input_iterators_tIbNS6_6detail15normal_iteratorINS6_10device_ptrIKyEEEESL_NS6_8equal_toIyEEEENSG_9not_fun_tINSD_8identityEEEEENSD_19counting_iterator_tIlEES8_S8_S8_S8_S8_S8_S8_S8_EEEEPS9_S9_NSD_9__find_if7functorIS9_EEEE10hipError_tPvRmT1_T2_T3_mT4_P12ihipStream_tbEUlT_E0_NS1_11comp_targetILNS1_3genE0ELNS1_11target_archE4294967295ELNS1_3gpuE0ELNS1_3repE0EEENS1_30default_config_static_selectorELNS0_4arch9wavefront6targetE0EEEvS14_.num_agpr, 0
	.set _ZN7rocprim17ROCPRIM_400000_NS6detail17trampoline_kernelINS0_14default_configENS1_22reduce_config_selectorIN6thrust23THRUST_200600_302600_NS5tupleIblNS6_9null_typeES8_S8_S8_S8_S8_S8_S8_EEEEZNS1_11reduce_implILb1ES3_NS6_12zip_iteratorINS7_INS6_11hip_rocprim26transform_input_iterator_tIbNSD_35transform_pair_of_input_iterators_tIbNS6_6detail15normal_iteratorINS6_10device_ptrIKyEEEESL_NS6_8equal_toIyEEEENSG_9not_fun_tINSD_8identityEEEEENSD_19counting_iterator_tIlEES8_S8_S8_S8_S8_S8_S8_S8_EEEEPS9_S9_NSD_9__find_if7functorIS9_EEEE10hipError_tPvRmT1_T2_T3_mT4_P12ihipStream_tbEUlT_E0_NS1_11comp_targetILNS1_3genE0ELNS1_11target_archE4294967295ELNS1_3gpuE0ELNS1_3repE0EEENS1_30default_config_static_selectorELNS0_4arch9wavefront6targetE0EEEvS14_.numbered_sgpr, 0
	.set _ZN7rocprim17ROCPRIM_400000_NS6detail17trampoline_kernelINS0_14default_configENS1_22reduce_config_selectorIN6thrust23THRUST_200600_302600_NS5tupleIblNS6_9null_typeES8_S8_S8_S8_S8_S8_S8_EEEEZNS1_11reduce_implILb1ES3_NS6_12zip_iteratorINS7_INS6_11hip_rocprim26transform_input_iterator_tIbNSD_35transform_pair_of_input_iterators_tIbNS6_6detail15normal_iteratorINS6_10device_ptrIKyEEEESL_NS6_8equal_toIyEEEENSG_9not_fun_tINSD_8identityEEEEENSD_19counting_iterator_tIlEES8_S8_S8_S8_S8_S8_S8_S8_EEEEPS9_S9_NSD_9__find_if7functorIS9_EEEE10hipError_tPvRmT1_T2_T3_mT4_P12ihipStream_tbEUlT_E0_NS1_11comp_targetILNS1_3genE0ELNS1_11target_archE4294967295ELNS1_3gpuE0ELNS1_3repE0EEENS1_30default_config_static_selectorELNS0_4arch9wavefront6targetE0EEEvS14_.num_named_barrier, 0
	.set _ZN7rocprim17ROCPRIM_400000_NS6detail17trampoline_kernelINS0_14default_configENS1_22reduce_config_selectorIN6thrust23THRUST_200600_302600_NS5tupleIblNS6_9null_typeES8_S8_S8_S8_S8_S8_S8_EEEEZNS1_11reduce_implILb1ES3_NS6_12zip_iteratorINS7_INS6_11hip_rocprim26transform_input_iterator_tIbNSD_35transform_pair_of_input_iterators_tIbNS6_6detail15normal_iteratorINS6_10device_ptrIKyEEEESL_NS6_8equal_toIyEEEENSG_9not_fun_tINSD_8identityEEEEENSD_19counting_iterator_tIlEES8_S8_S8_S8_S8_S8_S8_S8_EEEEPS9_S9_NSD_9__find_if7functorIS9_EEEE10hipError_tPvRmT1_T2_T3_mT4_P12ihipStream_tbEUlT_E0_NS1_11comp_targetILNS1_3genE0ELNS1_11target_archE4294967295ELNS1_3gpuE0ELNS1_3repE0EEENS1_30default_config_static_selectorELNS0_4arch9wavefront6targetE0EEEvS14_.private_seg_size, 0
	.set _ZN7rocprim17ROCPRIM_400000_NS6detail17trampoline_kernelINS0_14default_configENS1_22reduce_config_selectorIN6thrust23THRUST_200600_302600_NS5tupleIblNS6_9null_typeES8_S8_S8_S8_S8_S8_S8_EEEEZNS1_11reduce_implILb1ES3_NS6_12zip_iteratorINS7_INS6_11hip_rocprim26transform_input_iterator_tIbNSD_35transform_pair_of_input_iterators_tIbNS6_6detail15normal_iteratorINS6_10device_ptrIKyEEEESL_NS6_8equal_toIyEEEENSG_9not_fun_tINSD_8identityEEEEENSD_19counting_iterator_tIlEES8_S8_S8_S8_S8_S8_S8_S8_EEEEPS9_S9_NSD_9__find_if7functorIS9_EEEE10hipError_tPvRmT1_T2_T3_mT4_P12ihipStream_tbEUlT_E0_NS1_11comp_targetILNS1_3genE0ELNS1_11target_archE4294967295ELNS1_3gpuE0ELNS1_3repE0EEENS1_30default_config_static_selectorELNS0_4arch9wavefront6targetE0EEEvS14_.uses_vcc, 0
	.set _ZN7rocprim17ROCPRIM_400000_NS6detail17trampoline_kernelINS0_14default_configENS1_22reduce_config_selectorIN6thrust23THRUST_200600_302600_NS5tupleIblNS6_9null_typeES8_S8_S8_S8_S8_S8_S8_EEEEZNS1_11reduce_implILb1ES3_NS6_12zip_iteratorINS7_INS6_11hip_rocprim26transform_input_iterator_tIbNSD_35transform_pair_of_input_iterators_tIbNS6_6detail15normal_iteratorINS6_10device_ptrIKyEEEESL_NS6_8equal_toIyEEEENSG_9not_fun_tINSD_8identityEEEEENSD_19counting_iterator_tIlEES8_S8_S8_S8_S8_S8_S8_S8_EEEEPS9_S9_NSD_9__find_if7functorIS9_EEEE10hipError_tPvRmT1_T2_T3_mT4_P12ihipStream_tbEUlT_E0_NS1_11comp_targetILNS1_3genE0ELNS1_11target_archE4294967295ELNS1_3gpuE0ELNS1_3repE0EEENS1_30default_config_static_selectorELNS0_4arch9wavefront6targetE0EEEvS14_.uses_flat_scratch, 0
	.set _ZN7rocprim17ROCPRIM_400000_NS6detail17trampoline_kernelINS0_14default_configENS1_22reduce_config_selectorIN6thrust23THRUST_200600_302600_NS5tupleIblNS6_9null_typeES8_S8_S8_S8_S8_S8_S8_EEEEZNS1_11reduce_implILb1ES3_NS6_12zip_iteratorINS7_INS6_11hip_rocprim26transform_input_iterator_tIbNSD_35transform_pair_of_input_iterators_tIbNS6_6detail15normal_iteratorINS6_10device_ptrIKyEEEESL_NS6_8equal_toIyEEEENSG_9not_fun_tINSD_8identityEEEEENSD_19counting_iterator_tIlEES8_S8_S8_S8_S8_S8_S8_S8_EEEEPS9_S9_NSD_9__find_if7functorIS9_EEEE10hipError_tPvRmT1_T2_T3_mT4_P12ihipStream_tbEUlT_E0_NS1_11comp_targetILNS1_3genE0ELNS1_11target_archE4294967295ELNS1_3gpuE0ELNS1_3repE0EEENS1_30default_config_static_selectorELNS0_4arch9wavefront6targetE0EEEvS14_.has_dyn_sized_stack, 0
	.set _ZN7rocprim17ROCPRIM_400000_NS6detail17trampoline_kernelINS0_14default_configENS1_22reduce_config_selectorIN6thrust23THRUST_200600_302600_NS5tupleIblNS6_9null_typeES8_S8_S8_S8_S8_S8_S8_EEEEZNS1_11reduce_implILb1ES3_NS6_12zip_iteratorINS7_INS6_11hip_rocprim26transform_input_iterator_tIbNSD_35transform_pair_of_input_iterators_tIbNS6_6detail15normal_iteratorINS6_10device_ptrIKyEEEESL_NS6_8equal_toIyEEEENSG_9not_fun_tINSD_8identityEEEEENSD_19counting_iterator_tIlEES8_S8_S8_S8_S8_S8_S8_S8_EEEEPS9_S9_NSD_9__find_if7functorIS9_EEEE10hipError_tPvRmT1_T2_T3_mT4_P12ihipStream_tbEUlT_E0_NS1_11comp_targetILNS1_3genE0ELNS1_11target_archE4294967295ELNS1_3gpuE0ELNS1_3repE0EEENS1_30default_config_static_selectorELNS0_4arch9wavefront6targetE0EEEvS14_.has_recursion, 0
	.set _ZN7rocprim17ROCPRIM_400000_NS6detail17trampoline_kernelINS0_14default_configENS1_22reduce_config_selectorIN6thrust23THRUST_200600_302600_NS5tupleIblNS6_9null_typeES8_S8_S8_S8_S8_S8_S8_EEEEZNS1_11reduce_implILb1ES3_NS6_12zip_iteratorINS7_INS6_11hip_rocprim26transform_input_iterator_tIbNSD_35transform_pair_of_input_iterators_tIbNS6_6detail15normal_iteratorINS6_10device_ptrIKyEEEESL_NS6_8equal_toIyEEEENSG_9not_fun_tINSD_8identityEEEEENSD_19counting_iterator_tIlEES8_S8_S8_S8_S8_S8_S8_S8_EEEEPS9_S9_NSD_9__find_if7functorIS9_EEEE10hipError_tPvRmT1_T2_T3_mT4_P12ihipStream_tbEUlT_E0_NS1_11comp_targetILNS1_3genE0ELNS1_11target_archE4294967295ELNS1_3gpuE0ELNS1_3repE0EEENS1_30default_config_static_selectorELNS0_4arch9wavefront6targetE0EEEvS14_.has_indirect_call, 0
	.section	.AMDGPU.csdata,"",@progbits
; Kernel info:
; codeLenInByte = 0
; TotalNumSgprs: 0
; NumVgprs: 0
; ScratchSize: 0
; MemoryBound: 0
; FloatMode: 240
; IeeeMode: 1
; LDSByteSize: 0 bytes/workgroup (compile time only)
; SGPRBlocks: 0
; VGPRBlocks: 0
; NumSGPRsForWavesPerEU: 1
; NumVGPRsForWavesPerEU: 1
; Occupancy: 16
; WaveLimiterHint : 0
; COMPUTE_PGM_RSRC2:SCRATCH_EN: 0
; COMPUTE_PGM_RSRC2:USER_SGPR: 6
; COMPUTE_PGM_RSRC2:TRAP_HANDLER: 0
; COMPUTE_PGM_RSRC2:TGID_X_EN: 1
; COMPUTE_PGM_RSRC2:TGID_Y_EN: 0
; COMPUTE_PGM_RSRC2:TGID_Z_EN: 0
; COMPUTE_PGM_RSRC2:TIDIG_COMP_CNT: 0
	.section	.text._ZN7rocprim17ROCPRIM_400000_NS6detail17trampoline_kernelINS0_14default_configENS1_22reduce_config_selectorIN6thrust23THRUST_200600_302600_NS5tupleIblNS6_9null_typeES8_S8_S8_S8_S8_S8_S8_EEEEZNS1_11reduce_implILb1ES3_NS6_12zip_iteratorINS7_INS6_11hip_rocprim26transform_input_iterator_tIbNSD_35transform_pair_of_input_iterators_tIbNS6_6detail15normal_iteratorINS6_10device_ptrIKyEEEESL_NS6_8equal_toIyEEEENSG_9not_fun_tINSD_8identityEEEEENSD_19counting_iterator_tIlEES8_S8_S8_S8_S8_S8_S8_S8_EEEEPS9_S9_NSD_9__find_if7functorIS9_EEEE10hipError_tPvRmT1_T2_T3_mT4_P12ihipStream_tbEUlT_E0_NS1_11comp_targetILNS1_3genE5ELNS1_11target_archE942ELNS1_3gpuE9ELNS1_3repE0EEENS1_30default_config_static_selectorELNS0_4arch9wavefront6targetE0EEEvS14_,"axG",@progbits,_ZN7rocprim17ROCPRIM_400000_NS6detail17trampoline_kernelINS0_14default_configENS1_22reduce_config_selectorIN6thrust23THRUST_200600_302600_NS5tupleIblNS6_9null_typeES8_S8_S8_S8_S8_S8_S8_EEEEZNS1_11reduce_implILb1ES3_NS6_12zip_iteratorINS7_INS6_11hip_rocprim26transform_input_iterator_tIbNSD_35transform_pair_of_input_iterators_tIbNS6_6detail15normal_iteratorINS6_10device_ptrIKyEEEESL_NS6_8equal_toIyEEEENSG_9not_fun_tINSD_8identityEEEEENSD_19counting_iterator_tIlEES8_S8_S8_S8_S8_S8_S8_S8_EEEEPS9_S9_NSD_9__find_if7functorIS9_EEEE10hipError_tPvRmT1_T2_T3_mT4_P12ihipStream_tbEUlT_E0_NS1_11comp_targetILNS1_3genE5ELNS1_11target_archE942ELNS1_3gpuE9ELNS1_3repE0EEENS1_30default_config_static_selectorELNS0_4arch9wavefront6targetE0EEEvS14_,comdat
	.protected	_ZN7rocprim17ROCPRIM_400000_NS6detail17trampoline_kernelINS0_14default_configENS1_22reduce_config_selectorIN6thrust23THRUST_200600_302600_NS5tupleIblNS6_9null_typeES8_S8_S8_S8_S8_S8_S8_EEEEZNS1_11reduce_implILb1ES3_NS6_12zip_iteratorINS7_INS6_11hip_rocprim26transform_input_iterator_tIbNSD_35transform_pair_of_input_iterators_tIbNS6_6detail15normal_iteratorINS6_10device_ptrIKyEEEESL_NS6_8equal_toIyEEEENSG_9not_fun_tINSD_8identityEEEEENSD_19counting_iterator_tIlEES8_S8_S8_S8_S8_S8_S8_S8_EEEEPS9_S9_NSD_9__find_if7functorIS9_EEEE10hipError_tPvRmT1_T2_T3_mT4_P12ihipStream_tbEUlT_E0_NS1_11comp_targetILNS1_3genE5ELNS1_11target_archE942ELNS1_3gpuE9ELNS1_3repE0EEENS1_30default_config_static_selectorELNS0_4arch9wavefront6targetE0EEEvS14_ ; -- Begin function _ZN7rocprim17ROCPRIM_400000_NS6detail17trampoline_kernelINS0_14default_configENS1_22reduce_config_selectorIN6thrust23THRUST_200600_302600_NS5tupleIblNS6_9null_typeES8_S8_S8_S8_S8_S8_S8_EEEEZNS1_11reduce_implILb1ES3_NS6_12zip_iteratorINS7_INS6_11hip_rocprim26transform_input_iterator_tIbNSD_35transform_pair_of_input_iterators_tIbNS6_6detail15normal_iteratorINS6_10device_ptrIKyEEEESL_NS6_8equal_toIyEEEENSG_9not_fun_tINSD_8identityEEEEENSD_19counting_iterator_tIlEES8_S8_S8_S8_S8_S8_S8_S8_EEEEPS9_S9_NSD_9__find_if7functorIS9_EEEE10hipError_tPvRmT1_T2_T3_mT4_P12ihipStream_tbEUlT_E0_NS1_11comp_targetILNS1_3genE5ELNS1_11target_archE942ELNS1_3gpuE9ELNS1_3repE0EEENS1_30default_config_static_selectorELNS0_4arch9wavefront6targetE0EEEvS14_
	.globl	_ZN7rocprim17ROCPRIM_400000_NS6detail17trampoline_kernelINS0_14default_configENS1_22reduce_config_selectorIN6thrust23THRUST_200600_302600_NS5tupleIblNS6_9null_typeES8_S8_S8_S8_S8_S8_S8_EEEEZNS1_11reduce_implILb1ES3_NS6_12zip_iteratorINS7_INS6_11hip_rocprim26transform_input_iterator_tIbNSD_35transform_pair_of_input_iterators_tIbNS6_6detail15normal_iteratorINS6_10device_ptrIKyEEEESL_NS6_8equal_toIyEEEENSG_9not_fun_tINSD_8identityEEEEENSD_19counting_iterator_tIlEES8_S8_S8_S8_S8_S8_S8_S8_EEEEPS9_S9_NSD_9__find_if7functorIS9_EEEE10hipError_tPvRmT1_T2_T3_mT4_P12ihipStream_tbEUlT_E0_NS1_11comp_targetILNS1_3genE5ELNS1_11target_archE942ELNS1_3gpuE9ELNS1_3repE0EEENS1_30default_config_static_selectorELNS0_4arch9wavefront6targetE0EEEvS14_
	.p2align	8
	.type	_ZN7rocprim17ROCPRIM_400000_NS6detail17trampoline_kernelINS0_14default_configENS1_22reduce_config_selectorIN6thrust23THRUST_200600_302600_NS5tupleIblNS6_9null_typeES8_S8_S8_S8_S8_S8_S8_EEEEZNS1_11reduce_implILb1ES3_NS6_12zip_iteratorINS7_INS6_11hip_rocprim26transform_input_iterator_tIbNSD_35transform_pair_of_input_iterators_tIbNS6_6detail15normal_iteratorINS6_10device_ptrIKyEEEESL_NS6_8equal_toIyEEEENSG_9not_fun_tINSD_8identityEEEEENSD_19counting_iterator_tIlEES8_S8_S8_S8_S8_S8_S8_S8_EEEEPS9_S9_NSD_9__find_if7functorIS9_EEEE10hipError_tPvRmT1_T2_T3_mT4_P12ihipStream_tbEUlT_E0_NS1_11comp_targetILNS1_3genE5ELNS1_11target_archE942ELNS1_3gpuE9ELNS1_3repE0EEENS1_30default_config_static_selectorELNS0_4arch9wavefront6targetE0EEEvS14_,@function
_ZN7rocprim17ROCPRIM_400000_NS6detail17trampoline_kernelINS0_14default_configENS1_22reduce_config_selectorIN6thrust23THRUST_200600_302600_NS5tupleIblNS6_9null_typeES8_S8_S8_S8_S8_S8_S8_EEEEZNS1_11reduce_implILb1ES3_NS6_12zip_iteratorINS7_INS6_11hip_rocprim26transform_input_iterator_tIbNSD_35transform_pair_of_input_iterators_tIbNS6_6detail15normal_iteratorINS6_10device_ptrIKyEEEESL_NS6_8equal_toIyEEEENSG_9not_fun_tINSD_8identityEEEEENSD_19counting_iterator_tIlEES8_S8_S8_S8_S8_S8_S8_S8_EEEEPS9_S9_NSD_9__find_if7functorIS9_EEEE10hipError_tPvRmT1_T2_T3_mT4_P12ihipStream_tbEUlT_E0_NS1_11comp_targetILNS1_3genE5ELNS1_11target_archE942ELNS1_3gpuE9ELNS1_3repE0EEENS1_30default_config_static_selectorELNS0_4arch9wavefront6targetE0EEEvS14_: ; @_ZN7rocprim17ROCPRIM_400000_NS6detail17trampoline_kernelINS0_14default_configENS1_22reduce_config_selectorIN6thrust23THRUST_200600_302600_NS5tupleIblNS6_9null_typeES8_S8_S8_S8_S8_S8_S8_EEEEZNS1_11reduce_implILb1ES3_NS6_12zip_iteratorINS7_INS6_11hip_rocprim26transform_input_iterator_tIbNSD_35transform_pair_of_input_iterators_tIbNS6_6detail15normal_iteratorINS6_10device_ptrIKyEEEESL_NS6_8equal_toIyEEEENSG_9not_fun_tINSD_8identityEEEEENSD_19counting_iterator_tIlEES8_S8_S8_S8_S8_S8_S8_S8_EEEEPS9_S9_NSD_9__find_if7functorIS9_EEEE10hipError_tPvRmT1_T2_T3_mT4_P12ihipStream_tbEUlT_E0_NS1_11comp_targetILNS1_3genE5ELNS1_11target_archE942ELNS1_3gpuE9ELNS1_3repE0EEENS1_30default_config_static_selectorELNS0_4arch9wavefront6targetE0EEEvS14_
; %bb.0:
	.section	.rodata,"a",@progbits
	.p2align	6, 0x0
	.amdhsa_kernel _ZN7rocprim17ROCPRIM_400000_NS6detail17trampoline_kernelINS0_14default_configENS1_22reduce_config_selectorIN6thrust23THRUST_200600_302600_NS5tupleIblNS6_9null_typeES8_S8_S8_S8_S8_S8_S8_EEEEZNS1_11reduce_implILb1ES3_NS6_12zip_iteratorINS7_INS6_11hip_rocprim26transform_input_iterator_tIbNSD_35transform_pair_of_input_iterators_tIbNS6_6detail15normal_iteratorINS6_10device_ptrIKyEEEESL_NS6_8equal_toIyEEEENSG_9not_fun_tINSD_8identityEEEEENSD_19counting_iterator_tIlEES8_S8_S8_S8_S8_S8_S8_S8_EEEEPS9_S9_NSD_9__find_if7functorIS9_EEEE10hipError_tPvRmT1_T2_T3_mT4_P12ihipStream_tbEUlT_E0_NS1_11comp_targetILNS1_3genE5ELNS1_11target_archE942ELNS1_3gpuE9ELNS1_3repE0EEENS1_30default_config_static_selectorELNS0_4arch9wavefront6targetE0EEEvS14_
		.amdhsa_group_segment_fixed_size 0
		.amdhsa_private_segment_fixed_size 0
		.amdhsa_kernarg_size 104
		.amdhsa_user_sgpr_count 6
		.amdhsa_user_sgpr_private_segment_buffer 1
		.amdhsa_user_sgpr_dispatch_ptr 0
		.amdhsa_user_sgpr_queue_ptr 0
		.amdhsa_user_sgpr_kernarg_segment_ptr 1
		.amdhsa_user_sgpr_dispatch_id 0
		.amdhsa_user_sgpr_flat_scratch_init 0
		.amdhsa_user_sgpr_private_segment_size 0
		.amdhsa_wavefront_size32 1
		.amdhsa_uses_dynamic_stack 0
		.amdhsa_system_sgpr_private_segment_wavefront_offset 0
		.amdhsa_system_sgpr_workgroup_id_x 1
		.amdhsa_system_sgpr_workgroup_id_y 0
		.amdhsa_system_sgpr_workgroup_id_z 0
		.amdhsa_system_sgpr_workgroup_info 0
		.amdhsa_system_vgpr_workitem_id 0
		.amdhsa_next_free_vgpr 1
		.amdhsa_next_free_sgpr 1
		.amdhsa_reserve_vcc 0
		.amdhsa_reserve_flat_scratch 0
		.amdhsa_float_round_mode_32 0
		.amdhsa_float_round_mode_16_64 0
		.amdhsa_float_denorm_mode_32 3
		.amdhsa_float_denorm_mode_16_64 3
		.amdhsa_dx10_clamp 1
		.amdhsa_ieee_mode 1
		.amdhsa_fp16_overflow 0
		.amdhsa_workgroup_processor_mode 1
		.amdhsa_memory_ordered 1
		.amdhsa_forward_progress 1
		.amdhsa_shared_vgpr_count 0
		.amdhsa_exception_fp_ieee_invalid_op 0
		.amdhsa_exception_fp_denorm_src 0
		.amdhsa_exception_fp_ieee_div_zero 0
		.amdhsa_exception_fp_ieee_overflow 0
		.amdhsa_exception_fp_ieee_underflow 0
		.amdhsa_exception_fp_ieee_inexact 0
		.amdhsa_exception_int_div_zero 0
	.end_amdhsa_kernel
	.section	.text._ZN7rocprim17ROCPRIM_400000_NS6detail17trampoline_kernelINS0_14default_configENS1_22reduce_config_selectorIN6thrust23THRUST_200600_302600_NS5tupleIblNS6_9null_typeES8_S8_S8_S8_S8_S8_S8_EEEEZNS1_11reduce_implILb1ES3_NS6_12zip_iteratorINS7_INS6_11hip_rocprim26transform_input_iterator_tIbNSD_35transform_pair_of_input_iterators_tIbNS6_6detail15normal_iteratorINS6_10device_ptrIKyEEEESL_NS6_8equal_toIyEEEENSG_9not_fun_tINSD_8identityEEEEENSD_19counting_iterator_tIlEES8_S8_S8_S8_S8_S8_S8_S8_EEEEPS9_S9_NSD_9__find_if7functorIS9_EEEE10hipError_tPvRmT1_T2_T3_mT4_P12ihipStream_tbEUlT_E0_NS1_11comp_targetILNS1_3genE5ELNS1_11target_archE942ELNS1_3gpuE9ELNS1_3repE0EEENS1_30default_config_static_selectorELNS0_4arch9wavefront6targetE0EEEvS14_,"axG",@progbits,_ZN7rocprim17ROCPRIM_400000_NS6detail17trampoline_kernelINS0_14default_configENS1_22reduce_config_selectorIN6thrust23THRUST_200600_302600_NS5tupleIblNS6_9null_typeES8_S8_S8_S8_S8_S8_S8_EEEEZNS1_11reduce_implILb1ES3_NS6_12zip_iteratorINS7_INS6_11hip_rocprim26transform_input_iterator_tIbNSD_35transform_pair_of_input_iterators_tIbNS6_6detail15normal_iteratorINS6_10device_ptrIKyEEEESL_NS6_8equal_toIyEEEENSG_9not_fun_tINSD_8identityEEEEENSD_19counting_iterator_tIlEES8_S8_S8_S8_S8_S8_S8_S8_EEEEPS9_S9_NSD_9__find_if7functorIS9_EEEE10hipError_tPvRmT1_T2_T3_mT4_P12ihipStream_tbEUlT_E0_NS1_11comp_targetILNS1_3genE5ELNS1_11target_archE942ELNS1_3gpuE9ELNS1_3repE0EEENS1_30default_config_static_selectorELNS0_4arch9wavefront6targetE0EEEvS14_,comdat
.Lfunc_end115:
	.size	_ZN7rocprim17ROCPRIM_400000_NS6detail17trampoline_kernelINS0_14default_configENS1_22reduce_config_selectorIN6thrust23THRUST_200600_302600_NS5tupleIblNS6_9null_typeES8_S8_S8_S8_S8_S8_S8_EEEEZNS1_11reduce_implILb1ES3_NS6_12zip_iteratorINS7_INS6_11hip_rocprim26transform_input_iterator_tIbNSD_35transform_pair_of_input_iterators_tIbNS6_6detail15normal_iteratorINS6_10device_ptrIKyEEEESL_NS6_8equal_toIyEEEENSG_9not_fun_tINSD_8identityEEEEENSD_19counting_iterator_tIlEES8_S8_S8_S8_S8_S8_S8_S8_EEEEPS9_S9_NSD_9__find_if7functorIS9_EEEE10hipError_tPvRmT1_T2_T3_mT4_P12ihipStream_tbEUlT_E0_NS1_11comp_targetILNS1_3genE5ELNS1_11target_archE942ELNS1_3gpuE9ELNS1_3repE0EEENS1_30default_config_static_selectorELNS0_4arch9wavefront6targetE0EEEvS14_, .Lfunc_end115-_ZN7rocprim17ROCPRIM_400000_NS6detail17trampoline_kernelINS0_14default_configENS1_22reduce_config_selectorIN6thrust23THRUST_200600_302600_NS5tupleIblNS6_9null_typeES8_S8_S8_S8_S8_S8_S8_EEEEZNS1_11reduce_implILb1ES3_NS6_12zip_iteratorINS7_INS6_11hip_rocprim26transform_input_iterator_tIbNSD_35transform_pair_of_input_iterators_tIbNS6_6detail15normal_iteratorINS6_10device_ptrIKyEEEESL_NS6_8equal_toIyEEEENSG_9not_fun_tINSD_8identityEEEEENSD_19counting_iterator_tIlEES8_S8_S8_S8_S8_S8_S8_S8_EEEEPS9_S9_NSD_9__find_if7functorIS9_EEEE10hipError_tPvRmT1_T2_T3_mT4_P12ihipStream_tbEUlT_E0_NS1_11comp_targetILNS1_3genE5ELNS1_11target_archE942ELNS1_3gpuE9ELNS1_3repE0EEENS1_30default_config_static_selectorELNS0_4arch9wavefront6targetE0EEEvS14_
                                        ; -- End function
	.set _ZN7rocprim17ROCPRIM_400000_NS6detail17trampoline_kernelINS0_14default_configENS1_22reduce_config_selectorIN6thrust23THRUST_200600_302600_NS5tupleIblNS6_9null_typeES8_S8_S8_S8_S8_S8_S8_EEEEZNS1_11reduce_implILb1ES3_NS6_12zip_iteratorINS7_INS6_11hip_rocprim26transform_input_iterator_tIbNSD_35transform_pair_of_input_iterators_tIbNS6_6detail15normal_iteratorINS6_10device_ptrIKyEEEESL_NS6_8equal_toIyEEEENSG_9not_fun_tINSD_8identityEEEEENSD_19counting_iterator_tIlEES8_S8_S8_S8_S8_S8_S8_S8_EEEEPS9_S9_NSD_9__find_if7functorIS9_EEEE10hipError_tPvRmT1_T2_T3_mT4_P12ihipStream_tbEUlT_E0_NS1_11comp_targetILNS1_3genE5ELNS1_11target_archE942ELNS1_3gpuE9ELNS1_3repE0EEENS1_30default_config_static_selectorELNS0_4arch9wavefront6targetE0EEEvS14_.num_vgpr, 0
	.set _ZN7rocprim17ROCPRIM_400000_NS6detail17trampoline_kernelINS0_14default_configENS1_22reduce_config_selectorIN6thrust23THRUST_200600_302600_NS5tupleIblNS6_9null_typeES8_S8_S8_S8_S8_S8_S8_EEEEZNS1_11reduce_implILb1ES3_NS6_12zip_iteratorINS7_INS6_11hip_rocprim26transform_input_iterator_tIbNSD_35transform_pair_of_input_iterators_tIbNS6_6detail15normal_iteratorINS6_10device_ptrIKyEEEESL_NS6_8equal_toIyEEEENSG_9not_fun_tINSD_8identityEEEEENSD_19counting_iterator_tIlEES8_S8_S8_S8_S8_S8_S8_S8_EEEEPS9_S9_NSD_9__find_if7functorIS9_EEEE10hipError_tPvRmT1_T2_T3_mT4_P12ihipStream_tbEUlT_E0_NS1_11comp_targetILNS1_3genE5ELNS1_11target_archE942ELNS1_3gpuE9ELNS1_3repE0EEENS1_30default_config_static_selectorELNS0_4arch9wavefront6targetE0EEEvS14_.num_agpr, 0
	.set _ZN7rocprim17ROCPRIM_400000_NS6detail17trampoline_kernelINS0_14default_configENS1_22reduce_config_selectorIN6thrust23THRUST_200600_302600_NS5tupleIblNS6_9null_typeES8_S8_S8_S8_S8_S8_S8_EEEEZNS1_11reduce_implILb1ES3_NS6_12zip_iteratorINS7_INS6_11hip_rocprim26transform_input_iterator_tIbNSD_35transform_pair_of_input_iterators_tIbNS6_6detail15normal_iteratorINS6_10device_ptrIKyEEEESL_NS6_8equal_toIyEEEENSG_9not_fun_tINSD_8identityEEEEENSD_19counting_iterator_tIlEES8_S8_S8_S8_S8_S8_S8_S8_EEEEPS9_S9_NSD_9__find_if7functorIS9_EEEE10hipError_tPvRmT1_T2_T3_mT4_P12ihipStream_tbEUlT_E0_NS1_11comp_targetILNS1_3genE5ELNS1_11target_archE942ELNS1_3gpuE9ELNS1_3repE0EEENS1_30default_config_static_selectorELNS0_4arch9wavefront6targetE0EEEvS14_.numbered_sgpr, 0
	.set _ZN7rocprim17ROCPRIM_400000_NS6detail17trampoline_kernelINS0_14default_configENS1_22reduce_config_selectorIN6thrust23THRUST_200600_302600_NS5tupleIblNS6_9null_typeES8_S8_S8_S8_S8_S8_S8_EEEEZNS1_11reduce_implILb1ES3_NS6_12zip_iteratorINS7_INS6_11hip_rocprim26transform_input_iterator_tIbNSD_35transform_pair_of_input_iterators_tIbNS6_6detail15normal_iteratorINS6_10device_ptrIKyEEEESL_NS6_8equal_toIyEEEENSG_9not_fun_tINSD_8identityEEEEENSD_19counting_iterator_tIlEES8_S8_S8_S8_S8_S8_S8_S8_EEEEPS9_S9_NSD_9__find_if7functorIS9_EEEE10hipError_tPvRmT1_T2_T3_mT4_P12ihipStream_tbEUlT_E0_NS1_11comp_targetILNS1_3genE5ELNS1_11target_archE942ELNS1_3gpuE9ELNS1_3repE0EEENS1_30default_config_static_selectorELNS0_4arch9wavefront6targetE0EEEvS14_.num_named_barrier, 0
	.set _ZN7rocprim17ROCPRIM_400000_NS6detail17trampoline_kernelINS0_14default_configENS1_22reduce_config_selectorIN6thrust23THRUST_200600_302600_NS5tupleIblNS6_9null_typeES8_S8_S8_S8_S8_S8_S8_EEEEZNS1_11reduce_implILb1ES3_NS6_12zip_iteratorINS7_INS6_11hip_rocprim26transform_input_iterator_tIbNSD_35transform_pair_of_input_iterators_tIbNS6_6detail15normal_iteratorINS6_10device_ptrIKyEEEESL_NS6_8equal_toIyEEEENSG_9not_fun_tINSD_8identityEEEEENSD_19counting_iterator_tIlEES8_S8_S8_S8_S8_S8_S8_S8_EEEEPS9_S9_NSD_9__find_if7functorIS9_EEEE10hipError_tPvRmT1_T2_T3_mT4_P12ihipStream_tbEUlT_E0_NS1_11comp_targetILNS1_3genE5ELNS1_11target_archE942ELNS1_3gpuE9ELNS1_3repE0EEENS1_30default_config_static_selectorELNS0_4arch9wavefront6targetE0EEEvS14_.private_seg_size, 0
	.set _ZN7rocprim17ROCPRIM_400000_NS6detail17trampoline_kernelINS0_14default_configENS1_22reduce_config_selectorIN6thrust23THRUST_200600_302600_NS5tupleIblNS6_9null_typeES8_S8_S8_S8_S8_S8_S8_EEEEZNS1_11reduce_implILb1ES3_NS6_12zip_iteratorINS7_INS6_11hip_rocprim26transform_input_iterator_tIbNSD_35transform_pair_of_input_iterators_tIbNS6_6detail15normal_iteratorINS6_10device_ptrIKyEEEESL_NS6_8equal_toIyEEEENSG_9not_fun_tINSD_8identityEEEEENSD_19counting_iterator_tIlEES8_S8_S8_S8_S8_S8_S8_S8_EEEEPS9_S9_NSD_9__find_if7functorIS9_EEEE10hipError_tPvRmT1_T2_T3_mT4_P12ihipStream_tbEUlT_E0_NS1_11comp_targetILNS1_3genE5ELNS1_11target_archE942ELNS1_3gpuE9ELNS1_3repE0EEENS1_30default_config_static_selectorELNS0_4arch9wavefront6targetE0EEEvS14_.uses_vcc, 0
	.set _ZN7rocprim17ROCPRIM_400000_NS6detail17trampoline_kernelINS0_14default_configENS1_22reduce_config_selectorIN6thrust23THRUST_200600_302600_NS5tupleIblNS6_9null_typeES8_S8_S8_S8_S8_S8_S8_EEEEZNS1_11reduce_implILb1ES3_NS6_12zip_iteratorINS7_INS6_11hip_rocprim26transform_input_iterator_tIbNSD_35transform_pair_of_input_iterators_tIbNS6_6detail15normal_iteratorINS6_10device_ptrIKyEEEESL_NS6_8equal_toIyEEEENSG_9not_fun_tINSD_8identityEEEEENSD_19counting_iterator_tIlEES8_S8_S8_S8_S8_S8_S8_S8_EEEEPS9_S9_NSD_9__find_if7functorIS9_EEEE10hipError_tPvRmT1_T2_T3_mT4_P12ihipStream_tbEUlT_E0_NS1_11comp_targetILNS1_3genE5ELNS1_11target_archE942ELNS1_3gpuE9ELNS1_3repE0EEENS1_30default_config_static_selectorELNS0_4arch9wavefront6targetE0EEEvS14_.uses_flat_scratch, 0
	.set _ZN7rocprim17ROCPRIM_400000_NS6detail17trampoline_kernelINS0_14default_configENS1_22reduce_config_selectorIN6thrust23THRUST_200600_302600_NS5tupleIblNS6_9null_typeES8_S8_S8_S8_S8_S8_S8_EEEEZNS1_11reduce_implILb1ES3_NS6_12zip_iteratorINS7_INS6_11hip_rocprim26transform_input_iterator_tIbNSD_35transform_pair_of_input_iterators_tIbNS6_6detail15normal_iteratorINS6_10device_ptrIKyEEEESL_NS6_8equal_toIyEEEENSG_9not_fun_tINSD_8identityEEEEENSD_19counting_iterator_tIlEES8_S8_S8_S8_S8_S8_S8_S8_EEEEPS9_S9_NSD_9__find_if7functorIS9_EEEE10hipError_tPvRmT1_T2_T3_mT4_P12ihipStream_tbEUlT_E0_NS1_11comp_targetILNS1_3genE5ELNS1_11target_archE942ELNS1_3gpuE9ELNS1_3repE0EEENS1_30default_config_static_selectorELNS0_4arch9wavefront6targetE0EEEvS14_.has_dyn_sized_stack, 0
	.set _ZN7rocprim17ROCPRIM_400000_NS6detail17trampoline_kernelINS0_14default_configENS1_22reduce_config_selectorIN6thrust23THRUST_200600_302600_NS5tupleIblNS6_9null_typeES8_S8_S8_S8_S8_S8_S8_EEEEZNS1_11reduce_implILb1ES3_NS6_12zip_iteratorINS7_INS6_11hip_rocprim26transform_input_iterator_tIbNSD_35transform_pair_of_input_iterators_tIbNS6_6detail15normal_iteratorINS6_10device_ptrIKyEEEESL_NS6_8equal_toIyEEEENSG_9not_fun_tINSD_8identityEEEEENSD_19counting_iterator_tIlEES8_S8_S8_S8_S8_S8_S8_S8_EEEEPS9_S9_NSD_9__find_if7functorIS9_EEEE10hipError_tPvRmT1_T2_T3_mT4_P12ihipStream_tbEUlT_E0_NS1_11comp_targetILNS1_3genE5ELNS1_11target_archE942ELNS1_3gpuE9ELNS1_3repE0EEENS1_30default_config_static_selectorELNS0_4arch9wavefront6targetE0EEEvS14_.has_recursion, 0
	.set _ZN7rocprim17ROCPRIM_400000_NS6detail17trampoline_kernelINS0_14default_configENS1_22reduce_config_selectorIN6thrust23THRUST_200600_302600_NS5tupleIblNS6_9null_typeES8_S8_S8_S8_S8_S8_S8_EEEEZNS1_11reduce_implILb1ES3_NS6_12zip_iteratorINS7_INS6_11hip_rocprim26transform_input_iterator_tIbNSD_35transform_pair_of_input_iterators_tIbNS6_6detail15normal_iteratorINS6_10device_ptrIKyEEEESL_NS6_8equal_toIyEEEENSG_9not_fun_tINSD_8identityEEEEENSD_19counting_iterator_tIlEES8_S8_S8_S8_S8_S8_S8_S8_EEEEPS9_S9_NSD_9__find_if7functorIS9_EEEE10hipError_tPvRmT1_T2_T3_mT4_P12ihipStream_tbEUlT_E0_NS1_11comp_targetILNS1_3genE5ELNS1_11target_archE942ELNS1_3gpuE9ELNS1_3repE0EEENS1_30default_config_static_selectorELNS0_4arch9wavefront6targetE0EEEvS14_.has_indirect_call, 0
	.section	.AMDGPU.csdata,"",@progbits
; Kernel info:
; codeLenInByte = 0
; TotalNumSgprs: 0
; NumVgprs: 0
; ScratchSize: 0
; MemoryBound: 0
; FloatMode: 240
; IeeeMode: 1
; LDSByteSize: 0 bytes/workgroup (compile time only)
; SGPRBlocks: 0
; VGPRBlocks: 0
; NumSGPRsForWavesPerEU: 1
; NumVGPRsForWavesPerEU: 1
; Occupancy: 16
; WaveLimiterHint : 0
; COMPUTE_PGM_RSRC2:SCRATCH_EN: 0
; COMPUTE_PGM_RSRC2:USER_SGPR: 6
; COMPUTE_PGM_RSRC2:TRAP_HANDLER: 0
; COMPUTE_PGM_RSRC2:TGID_X_EN: 1
; COMPUTE_PGM_RSRC2:TGID_Y_EN: 0
; COMPUTE_PGM_RSRC2:TGID_Z_EN: 0
; COMPUTE_PGM_RSRC2:TIDIG_COMP_CNT: 0
	.section	.text._ZN7rocprim17ROCPRIM_400000_NS6detail17trampoline_kernelINS0_14default_configENS1_22reduce_config_selectorIN6thrust23THRUST_200600_302600_NS5tupleIblNS6_9null_typeES8_S8_S8_S8_S8_S8_S8_EEEEZNS1_11reduce_implILb1ES3_NS6_12zip_iteratorINS7_INS6_11hip_rocprim26transform_input_iterator_tIbNSD_35transform_pair_of_input_iterators_tIbNS6_6detail15normal_iteratorINS6_10device_ptrIKyEEEESL_NS6_8equal_toIyEEEENSG_9not_fun_tINSD_8identityEEEEENSD_19counting_iterator_tIlEES8_S8_S8_S8_S8_S8_S8_S8_EEEEPS9_S9_NSD_9__find_if7functorIS9_EEEE10hipError_tPvRmT1_T2_T3_mT4_P12ihipStream_tbEUlT_E0_NS1_11comp_targetILNS1_3genE4ELNS1_11target_archE910ELNS1_3gpuE8ELNS1_3repE0EEENS1_30default_config_static_selectorELNS0_4arch9wavefront6targetE0EEEvS14_,"axG",@progbits,_ZN7rocprim17ROCPRIM_400000_NS6detail17trampoline_kernelINS0_14default_configENS1_22reduce_config_selectorIN6thrust23THRUST_200600_302600_NS5tupleIblNS6_9null_typeES8_S8_S8_S8_S8_S8_S8_EEEEZNS1_11reduce_implILb1ES3_NS6_12zip_iteratorINS7_INS6_11hip_rocprim26transform_input_iterator_tIbNSD_35transform_pair_of_input_iterators_tIbNS6_6detail15normal_iteratorINS6_10device_ptrIKyEEEESL_NS6_8equal_toIyEEEENSG_9not_fun_tINSD_8identityEEEEENSD_19counting_iterator_tIlEES8_S8_S8_S8_S8_S8_S8_S8_EEEEPS9_S9_NSD_9__find_if7functorIS9_EEEE10hipError_tPvRmT1_T2_T3_mT4_P12ihipStream_tbEUlT_E0_NS1_11comp_targetILNS1_3genE4ELNS1_11target_archE910ELNS1_3gpuE8ELNS1_3repE0EEENS1_30default_config_static_selectorELNS0_4arch9wavefront6targetE0EEEvS14_,comdat
	.protected	_ZN7rocprim17ROCPRIM_400000_NS6detail17trampoline_kernelINS0_14default_configENS1_22reduce_config_selectorIN6thrust23THRUST_200600_302600_NS5tupleIblNS6_9null_typeES8_S8_S8_S8_S8_S8_S8_EEEEZNS1_11reduce_implILb1ES3_NS6_12zip_iteratorINS7_INS6_11hip_rocprim26transform_input_iterator_tIbNSD_35transform_pair_of_input_iterators_tIbNS6_6detail15normal_iteratorINS6_10device_ptrIKyEEEESL_NS6_8equal_toIyEEEENSG_9not_fun_tINSD_8identityEEEEENSD_19counting_iterator_tIlEES8_S8_S8_S8_S8_S8_S8_S8_EEEEPS9_S9_NSD_9__find_if7functorIS9_EEEE10hipError_tPvRmT1_T2_T3_mT4_P12ihipStream_tbEUlT_E0_NS1_11comp_targetILNS1_3genE4ELNS1_11target_archE910ELNS1_3gpuE8ELNS1_3repE0EEENS1_30default_config_static_selectorELNS0_4arch9wavefront6targetE0EEEvS14_ ; -- Begin function _ZN7rocprim17ROCPRIM_400000_NS6detail17trampoline_kernelINS0_14default_configENS1_22reduce_config_selectorIN6thrust23THRUST_200600_302600_NS5tupleIblNS6_9null_typeES8_S8_S8_S8_S8_S8_S8_EEEEZNS1_11reduce_implILb1ES3_NS6_12zip_iteratorINS7_INS6_11hip_rocprim26transform_input_iterator_tIbNSD_35transform_pair_of_input_iterators_tIbNS6_6detail15normal_iteratorINS6_10device_ptrIKyEEEESL_NS6_8equal_toIyEEEENSG_9not_fun_tINSD_8identityEEEEENSD_19counting_iterator_tIlEES8_S8_S8_S8_S8_S8_S8_S8_EEEEPS9_S9_NSD_9__find_if7functorIS9_EEEE10hipError_tPvRmT1_T2_T3_mT4_P12ihipStream_tbEUlT_E0_NS1_11comp_targetILNS1_3genE4ELNS1_11target_archE910ELNS1_3gpuE8ELNS1_3repE0EEENS1_30default_config_static_selectorELNS0_4arch9wavefront6targetE0EEEvS14_
	.globl	_ZN7rocprim17ROCPRIM_400000_NS6detail17trampoline_kernelINS0_14default_configENS1_22reduce_config_selectorIN6thrust23THRUST_200600_302600_NS5tupleIblNS6_9null_typeES8_S8_S8_S8_S8_S8_S8_EEEEZNS1_11reduce_implILb1ES3_NS6_12zip_iteratorINS7_INS6_11hip_rocprim26transform_input_iterator_tIbNSD_35transform_pair_of_input_iterators_tIbNS6_6detail15normal_iteratorINS6_10device_ptrIKyEEEESL_NS6_8equal_toIyEEEENSG_9not_fun_tINSD_8identityEEEEENSD_19counting_iterator_tIlEES8_S8_S8_S8_S8_S8_S8_S8_EEEEPS9_S9_NSD_9__find_if7functorIS9_EEEE10hipError_tPvRmT1_T2_T3_mT4_P12ihipStream_tbEUlT_E0_NS1_11comp_targetILNS1_3genE4ELNS1_11target_archE910ELNS1_3gpuE8ELNS1_3repE0EEENS1_30default_config_static_selectorELNS0_4arch9wavefront6targetE0EEEvS14_
	.p2align	8
	.type	_ZN7rocprim17ROCPRIM_400000_NS6detail17trampoline_kernelINS0_14default_configENS1_22reduce_config_selectorIN6thrust23THRUST_200600_302600_NS5tupleIblNS6_9null_typeES8_S8_S8_S8_S8_S8_S8_EEEEZNS1_11reduce_implILb1ES3_NS6_12zip_iteratorINS7_INS6_11hip_rocprim26transform_input_iterator_tIbNSD_35transform_pair_of_input_iterators_tIbNS6_6detail15normal_iteratorINS6_10device_ptrIKyEEEESL_NS6_8equal_toIyEEEENSG_9not_fun_tINSD_8identityEEEEENSD_19counting_iterator_tIlEES8_S8_S8_S8_S8_S8_S8_S8_EEEEPS9_S9_NSD_9__find_if7functorIS9_EEEE10hipError_tPvRmT1_T2_T3_mT4_P12ihipStream_tbEUlT_E0_NS1_11comp_targetILNS1_3genE4ELNS1_11target_archE910ELNS1_3gpuE8ELNS1_3repE0EEENS1_30default_config_static_selectorELNS0_4arch9wavefront6targetE0EEEvS14_,@function
_ZN7rocprim17ROCPRIM_400000_NS6detail17trampoline_kernelINS0_14default_configENS1_22reduce_config_selectorIN6thrust23THRUST_200600_302600_NS5tupleIblNS6_9null_typeES8_S8_S8_S8_S8_S8_S8_EEEEZNS1_11reduce_implILb1ES3_NS6_12zip_iteratorINS7_INS6_11hip_rocprim26transform_input_iterator_tIbNSD_35transform_pair_of_input_iterators_tIbNS6_6detail15normal_iteratorINS6_10device_ptrIKyEEEESL_NS6_8equal_toIyEEEENSG_9not_fun_tINSD_8identityEEEEENSD_19counting_iterator_tIlEES8_S8_S8_S8_S8_S8_S8_S8_EEEEPS9_S9_NSD_9__find_if7functorIS9_EEEE10hipError_tPvRmT1_T2_T3_mT4_P12ihipStream_tbEUlT_E0_NS1_11comp_targetILNS1_3genE4ELNS1_11target_archE910ELNS1_3gpuE8ELNS1_3repE0EEENS1_30default_config_static_selectorELNS0_4arch9wavefront6targetE0EEEvS14_: ; @_ZN7rocprim17ROCPRIM_400000_NS6detail17trampoline_kernelINS0_14default_configENS1_22reduce_config_selectorIN6thrust23THRUST_200600_302600_NS5tupleIblNS6_9null_typeES8_S8_S8_S8_S8_S8_S8_EEEEZNS1_11reduce_implILb1ES3_NS6_12zip_iteratorINS7_INS6_11hip_rocprim26transform_input_iterator_tIbNSD_35transform_pair_of_input_iterators_tIbNS6_6detail15normal_iteratorINS6_10device_ptrIKyEEEESL_NS6_8equal_toIyEEEENSG_9not_fun_tINSD_8identityEEEEENSD_19counting_iterator_tIlEES8_S8_S8_S8_S8_S8_S8_S8_EEEEPS9_S9_NSD_9__find_if7functorIS9_EEEE10hipError_tPvRmT1_T2_T3_mT4_P12ihipStream_tbEUlT_E0_NS1_11comp_targetILNS1_3genE4ELNS1_11target_archE910ELNS1_3gpuE8ELNS1_3repE0EEENS1_30default_config_static_selectorELNS0_4arch9wavefront6targetE0EEEvS14_
; %bb.0:
	.section	.rodata,"a",@progbits
	.p2align	6, 0x0
	.amdhsa_kernel _ZN7rocprim17ROCPRIM_400000_NS6detail17trampoline_kernelINS0_14default_configENS1_22reduce_config_selectorIN6thrust23THRUST_200600_302600_NS5tupleIblNS6_9null_typeES8_S8_S8_S8_S8_S8_S8_EEEEZNS1_11reduce_implILb1ES3_NS6_12zip_iteratorINS7_INS6_11hip_rocprim26transform_input_iterator_tIbNSD_35transform_pair_of_input_iterators_tIbNS6_6detail15normal_iteratorINS6_10device_ptrIKyEEEESL_NS6_8equal_toIyEEEENSG_9not_fun_tINSD_8identityEEEEENSD_19counting_iterator_tIlEES8_S8_S8_S8_S8_S8_S8_S8_EEEEPS9_S9_NSD_9__find_if7functorIS9_EEEE10hipError_tPvRmT1_T2_T3_mT4_P12ihipStream_tbEUlT_E0_NS1_11comp_targetILNS1_3genE4ELNS1_11target_archE910ELNS1_3gpuE8ELNS1_3repE0EEENS1_30default_config_static_selectorELNS0_4arch9wavefront6targetE0EEEvS14_
		.amdhsa_group_segment_fixed_size 0
		.amdhsa_private_segment_fixed_size 0
		.amdhsa_kernarg_size 104
		.amdhsa_user_sgpr_count 6
		.amdhsa_user_sgpr_private_segment_buffer 1
		.amdhsa_user_sgpr_dispatch_ptr 0
		.amdhsa_user_sgpr_queue_ptr 0
		.amdhsa_user_sgpr_kernarg_segment_ptr 1
		.amdhsa_user_sgpr_dispatch_id 0
		.amdhsa_user_sgpr_flat_scratch_init 0
		.amdhsa_user_sgpr_private_segment_size 0
		.amdhsa_wavefront_size32 1
		.amdhsa_uses_dynamic_stack 0
		.amdhsa_system_sgpr_private_segment_wavefront_offset 0
		.amdhsa_system_sgpr_workgroup_id_x 1
		.amdhsa_system_sgpr_workgroup_id_y 0
		.amdhsa_system_sgpr_workgroup_id_z 0
		.amdhsa_system_sgpr_workgroup_info 0
		.amdhsa_system_vgpr_workitem_id 0
		.amdhsa_next_free_vgpr 1
		.amdhsa_next_free_sgpr 1
		.amdhsa_reserve_vcc 0
		.amdhsa_reserve_flat_scratch 0
		.amdhsa_float_round_mode_32 0
		.amdhsa_float_round_mode_16_64 0
		.amdhsa_float_denorm_mode_32 3
		.amdhsa_float_denorm_mode_16_64 3
		.amdhsa_dx10_clamp 1
		.amdhsa_ieee_mode 1
		.amdhsa_fp16_overflow 0
		.amdhsa_workgroup_processor_mode 1
		.amdhsa_memory_ordered 1
		.amdhsa_forward_progress 1
		.amdhsa_shared_vgpr_count 0
		.amdhsa_exception_fp_ieee_invalid_op 0
		.amdhsa_exception_fp_denorm_src 0
		.amdhsa_exception_fp_ieee_div_zero 0
		.amdhsa_exception_fp_ieee_overflow 0
		.amdhsa_exception_fp_ieee_underflow 0
		.amdhsa_exception_fp_ieee_inexact 0
		.amdhsa_exception_int_div_zero 0
	.end_amdhsa_kernel
	.section	.text._ZN7rocprim17ROCPRIM_400000_NS6detail17trampoline_kernelINS0_14default_configENS1_22reduce_config_selectorIN6thrust23THRUST_200600_302600_NS5tupleIblNS6_9null_typeES8_S8_S8_S8_S8_S8_S8_EEEEZNS1_11reduce_implILb1ES3_NS6_12zip_iteratorINS7_INS6_11hip_rocprim26transform_input_iterator_tIbNSD_35transform_pair_of_input_iterators_tIbNS6_6detail15normal_iteratorINS6_10device_ptrIKyEEEESL_NS6_8equal_toIyEEEENSG_9not_fun_tINSD_8identityEEEEENSD_19counting_iterator_tIlEES8_S8_S8_S8_S8_S8_S8_S8_EEEEPS9_S9_NSD_9__find_if7functorIS9_EEEE10hipError_tPvRmT1_T2_T3_mT4_P12ihipStream_tbEUlT_E0_NS1_11comp_targetILNS1_3genE4ELNS1_11target_archE910ELNS1_3gpuE8ELNS1_3repE0EEENS1_30default_config_static_selectorELNS0_4arch9wavefront6targetE0EEEvS14_,"axG",@progbits,_ZN7rocprim17ROCPRIM_400000_NS6detail17trampoline_kernelINS0_14default_configENS1_22reduce_config_selectorIN6thrust23THRUST_200600_302600_NS5tupleIblNS6_9null_typeES8_S8_S8_S8_S8_S8_S8_EEEEZNS1_11reduce_implILb1ES3_NS6_12zip_iteratorINS7_INS6_11hip_rocprim26transform_input_iterator_tIbNSD_35transform_pair_of_input_iterators_tIbNS6_6detail15normal_iteratorINS6_10device_ptrIKyEEEESL_NS6_8equal_toIyEEEENSG_9not_fun_tINSD_8identityEEEEENSD_19counting_iterator_tIlEES8_S8_S8_S8_S8_S8_S8_S8_EEEEPS9_S9_NSD_9__find_if7functorIS9_EEEE10hipError_tPvRmT1_T2_T3_mT4_P12ihipStream_tbEUlT_E0_NS1_11comp_targetILNS1_3genE4ELNS1_11target_archE910ELNS1_3gpuE8ELNS1_3repE0EEENS1_30default_config_static_selectorELNS0_4arch9wavefront6targetE0EEEvS14_,comdat
.Lfunc_end116:
	.size	_ZN7rocprim17ROCPRIM_400000_NS6detail17trampoline_kernelINS0_14default_configENS1_22reduce_config_selectorIN6thrust23THRUST_200600_302600_NS5tupleIblNS6_9null_typeES8_S8_S8_S8_S8_S8_S8_EEEEZNS1_11reduce_implILb1ES3_NS6_12zip_iteratorINS7_INS6_11hip_rocprim26transform_input_iterator_tIbNSD_35transform_pair_of_input_iterators_tIbNS6_6detail15normal_iteratorINS6_10device_ptrIKyEEEESL_NS6_8equal_toIyEEEENSG_9not_fun_tINSD_8identityEEEEENSD_19counting_iterator_tIlEES8_S8_S8_S8_S8_S8_S8_S8_EEEEPS9_S9_NSD_9__find_if7functorIS9_EEEE10hipError_tPvRmT1_T2_T3_mT4_P12ihipStream_tbEUlT_E0_NS1_11comp_targetILNS1_3genE4ELNS1_11target_archE910ELNS1_3gpuE8ELNS1_3repE0EEENS1_30default_config_static_selectorELNS0_4arch9wavefront6targetE0EEEvS14_, .Lfunc_end116-_ZN7rocprim17ROCPRIM_400000_NS6detail17trampoline_kernelINS0_14default_configENS1_22reduce_config_selectorIN6thrust23THRUST_200600_302600_NS5tupleIblNS6_9null_typeES8_S8_S8_S8_S8_S8_S8_EEEEZNS1_11reduce_implILb1ES3_NS6_12zip_iteratorINS7_INS6_11hip_rocprim26transform_input_iterator_tIbNSD_35transform_pair_of_input_iterators_tIbNS6_6detail15normal_iteratorINS6_10device_ptrIKyEEEESL_NS6_8equal_toIyEEEENSG_9not_fun_tINSD_8identityEEEEENSD_19counting_iterator_tIlEES8_S8_S8_S8_S8_S8_S8_S8_EEEEPS9_S9_NSD_9__find_if7functorIS9_EEEE10hipError_tPvRmT1_T2_T3_mT4_P12ihipStream_tbEUlT_E0_NS1_11comp_targetILNS1_3genE4ELNS1_11target_archE910ELNS1_3gpuE8ELNS1_3repE0EEENS1_30default_config_static_selectorELNS0_4arch9wavefront6targetE0EEEvS14_
                                        ; -- End function
	.set _ZN7rocprim17ROCPRIM_400000_NS6detail17trampoline_kernelINS0_14default_configENS1_22reduce_config_selectorIN6thrust23THRUST_200600_302600_NS5tupleIblNS6_9null_typeES8_S8_S8_S8_S8_S8_S8_EEEEZNS1_11reduce_implILb1ES3_NS6_12zip_iteratorINS7_INS6_11hip_rocprim26transform_input_iterator_tIbNSD_35transform_pair_of_input_iterators_tIbNS6_6detail15normal_iteratorINS6_10device_ptrIKyEEEESL_NS6_8equal_toIyEEEENSG_9not_fun_tINSD_8identityEEEEENSD_19counting_iterator_tIlEES8_S8_S8_S8_S8_S8_S8_S8_EEEEPS9_S9_NSD_9__find_if7functorIS9_EEEE10hipError_tPvRmT1_T2_T3_mT4_P12ihipStream_tbEUlT_E0_NS1_11comp_targetILNS1_3genE4ELNS1_11target_archE910ELNS1_3gpuE8ELNS1_3repE0EEENS1_30default_config_static_selectorELNS0_4arch9wavefront6targetE0EEEvS14_.num_vgpr, 0
	.set _ZN7rocprim17ROCPRIM_400000_NS6detail17trampoline_kernelINS0_14default_configENS1_22reduce_config_selectorIN6thrust23THRUST_200600_302600_NS5tupleIblNS6_9null_typeES8_S8_S8_S8_S8_S8_S8_EEEEZNS1_11reduce_implILb1ES3_NS6_12zip_iteratorINS7_INS6_11hip_rocprim26transform_input_iterator_tIbNSD_35transform_pair_of_input_iterators_tIbNS6_6detail15normal_iteratorINS6_10device_ptrIKyEEEESL_NS6_8equal_toIyEEEENSG_9not_fun_tINSD_8identityEEEEENSD_19counting_iterator_tIlEES8_S8_S8_S8_S8_S8_S8_S8_EEEEPS9_S9_NSD_9__find_if7functorIS9_EEEE10hipError_tPvRmT1_T2_T3_mT4_P12ihipStream_tbEUlT_E0_NS1_11comp_targetILNS1_3genE4ELNS1_11target_archE910ELNS1_3gpuE8ELNS1_3repE0EEENS1_30default_config_static_selectorELNS0_4arch9wavefront6targetE0EEEvS14_.num_agpr, 0
	.set _ZN7rocprim17ROCPRIM_400000_NS6detail17trampoline_kernelINS0_14default_configENS1_22reduce_config_selectorIN6thrust23THRUST_200600_302600_NS5tupleIblNS6_9null_typeES8_S8_S8_S8_S8_S8_S8_EEEEZNS1_11reduce_implILb1ES3_NS6_12zip_iteratorINS7_INS6_11hip_rocprim26transform_input_iterator_tIbNSD_35transform_pair_of_input_iterators_tIbNS6_6detail15normal_iteratorINS6_10device_ptrIKyEEEESL_NS6_8equal_toIyEEEENSG_9not_fun_tINSD_8identityEEEEENSD_19counting_iterator_tIlEES8_S8_S8_S8_S8_S8_S8_S8_EEEEPS9_S9_NSD_9__find_if7functorIS9_EEEE10hipError_tPvRmT1_T2_T3_mT4_P12ihipStream_tbEUlT_E0_NS1_11comp_targetILNS1_3genE4ELNS1_11target_archE910ELNS1_3gpuE8ELNS1_3repE0EEENS1_30default_config_static_selectorELNS0_4arch9wavefront6targetE0EEEvS14_.numbered_sgpr, 0
	.set _ZN7rocprim17ROCPRIM_400000_NS6detail17trampoline_kernelINS0_14default_configENS1_22reduce_config_selectorIN6thrust23THRUST_200600_302600_NS5tupleIblNS6_9null_typeES8_S8_S8_S8_S8_S8_S8_EEEEZNS1_11reduce_implILb1ES3_NS6_12zip_iteratorINS7_INS6_11hip_rocprim26transform_input_iterator_tIbNSD_35transform_pair_of_input_iterators_tIbNS6_6detail15normal_iteratorINS6_10device_ptrIKyEEEESL_NS6_8equal_toIyEEEENSG_9not_fun_tINSD_8identityEEEEENSD_19counting_iterator_tIlEES8_S8_S8_S8_S8_S8_S8_S8_EEEEPS9_S9_NSD_9__find_if7functorIS9_EEEE10hipError_tPvRmT1_T2_T3_mT4_P12ihipStream_tbEUlT_E0_NS1_11comp_targetILNS1_3genE4ELNS1_11target_archE910ELNS1_3gpuE8ELNS1_3repE0EEENS1_30default_config_static_selectorELNS0_4arch9wavefront6targetE0EEEvS14_.num_named_barrier, 0
	.set _ZN7rocprim17ROCPRIM_400000_NS6detail17trampoline_kernelINS0_14default_configENS1_22reduce_config_selectorIN6thrust23THRUST_200600_302600_NS5tupleIblNS6_9null_typeES8_S8_S8_S8_S8_S8_S8_EEEEZNS1_11reduce_implILb1ES3_NS6_12zip_iteratorINS7_INS6_11hip_rocprim26transform_input_iterator_tIbNSD_35transform_pair_of_input_iterators_tIbNS6_6detail15normal_iteratorINS6_10device_ptrIKyEEEESL_NS6_8equal_toIyEEEENSG_9not_fun_tINSD_8identityEEEEENSD_19counting_iterator_tIlEES8_S8_S8_S8_S8_S8_S8_S8_EEEEPS9_S9_NSD_9__find_if7functorIS9_EEEE10hipError_tPvRmT1_T2_T3_mT4_P12ihipStream_tbEUlT_E0_NS1_11comp_targetILNS1_3genE4ELNS1_11target_archE910ELNS1_3gpuE8ELNS1_3repE0EEENS1_30default_config_static_selectorELNS0_4arch9wavefront6targetE0EEEvS14_.private_seg_size, 0
	.set _ZN7rocprim17ROCPRIM_400000_NS6detail17trampoline_kernelINS0_14default_configENS1_22reduce_config_selectorIN6thrust23THRUST_200600_302600_NS5tupleIblNS6_9null_typeES8_S8_S8_S8_S8_S8_S8_EEEEZNS1_11reduce_implILb1ES3_NS6_12zip_iteratorINS7_INS6_11hip_rocprim26transform_input_iterator_tIbNSD_35transform_pair_of_input_iterators_tIbNS6_6detail15normal_iteratorINS6_10device_ptrIKyEEEESL_NS6_8equal_toIyEEEENSG_9not_fun_tINSD_8identityEEEEENSD_19counting_iterator_tIlEES8_S8_S8_S8_S8_S8_S8_S8_EEEEPS9_S9_NSD_9__find_if7functorIS9_EEEE10hipError_tPvRmT1_T2_T3_mT4_P12ihipStream_tbEUlT_E0_NS1_11comp_targetILNS1_3genE4ELNS1_11target_archE910ELNS1_3gpuE8ELNS1_3repE0EEENS1_30default_config_static_selectorELNS0_4arch9wavefront6targetE0EEEvS14_.uses_vcc, 0
	.set _ZN7rocprim17ROCPRIM_400000_NS6detail17trampoline_kernelINS0_14default_configENS1_22reduce_config_selectorIN6thrust23THRUST_200600_302600_NS5tupleIblNS6_9null_typeES8_S8_S8_S8_S8_S8_S8_EEEEZNS1_11reduce_implILb1ES3_NS6_12zip_iteratorINS7_INS6_11hip_rocprim26transform_input_iterator_tIbNSD_35transform_pair_of_input_iterators_tIbNS6_6detail15normal_iteratorINS6_10device_ptrIKyEEEESL_NS6_8equal_toIyEEEENSG_9not_fun_tINSD_8identityEEEEENSD_19counting_iterator_tIlEES8_S8_S8_S8_S8_S8_S8_S8_EEEEPS9_S9_NSD_9__find_if7functorIS9_EEEE10hipError_tPvRmT1_T2_T3_mT4_P12ihipStream_tbEUlT_E0_NS1_11comp_targetILNS1_3genE4ELNS1_11target_archE910ELNS1_3gpuE8ELNS1_3repE0EEENS1_30default_config_static_selectorELNS0_4arch9wavefront6targetE0EEEvS14_.uses_flat_scratch, 0
	.set _ZN7rocprim17ROCPRIM_400000_NS6detail17trampoline_kernelINS0_14default_configENS1_22reduce_config_selectorIN6thrust23THRUST_200600_302600_NS5tupleIblNS6_9null_typeES8_S8_S8_S8_S8_S8_S8_EEEEZNS1_11reduce_implILb1ES3_NS6_12zip_iteratorINS7_INS6_11hip_rocprim26transform_input_iterator_tIbNSD_35transform_pair_of_input_iterators_tIbNS6_6detail15normal_iteratorINS6_10device_ptrIKyEEEESL_NS6_8equal_toIyEEEENSG_9not_fun_tINSD_8identityEEEEENSD_19counting_iterator_tIlEES8_S8_S8_S8_S8_S8_S8_S8_EEEEPS9_S9_NSD_9__find_if7functorIS9_EEEE10hipError_tPvRmT1_T2_T3_mT4_P12ihipStream_tbEUlT_E0_NS1_11comp_targetILNS1_3genE4ELNS1_11target_archE910ELNS1_3gpuE8ELNS1_3repE0EEENS1_30default_config_static_selectorELNS0_4arch9wavefront6targetE0EEEvS14_.has_dyn_sized_stack, 0
	.set _ZN7rocprim17ROCPRIM_400000_NS6detail17trampoline_kernelINS0_14default_configENS1_22reduce_config_selectorIN6thrust23THRUST_200600_302600_NS5tupleIblNS6_9null_typeES8_S8_S8_S8_S8_S8_S8_EEEEZNS1_11reduce_implILb1ES3_NS6_12zip_iteratorINS7_INS6_11hip_rocprim26transform_input_iterator_tIbNSD_35transform_pair_of_input_iterators_tIbNS6_6detail15normal_iteratorINS6_10device_ptrIKyEEEESL_NS6_8equal_toIyEEEENSG_9not_fun_tINSD_8identityEEEEENSD_19counting_iterator_tIlEES8_S8_S8_S8_S8_S8_S8_S8_EEEEPS9_S9_NSD_9__find_if7functorIS9_EEEE10hipError_tPvRmT1_T2_T3_mT4_P12ihipStream_tbEUlT_E0_NS1_11comp_targetILNS1_3genE4ELNS1_11target_archE910ELNS1_3gpuE8ELNS1_3repE0EEENS1_30default_config_static_selectorELNS0_4arch9wavefront6targetE0EEEvS14_.has_recursion, 0
	.set _ZN7rocprim17ROCPRIM_400000_NS6detail17trampoline_kernelINS0_14default_configENS1_22reduce_config_selectorIN6thrust23THRUST_200600_302600_NS5tupleIblNS6_9null_typeES8_S8_S8_S8_S8_S8_S8_EEEEZNS1_11reduce_implILb1ES3_NS6_12zip_iteratorINS7_INS6_11hip_rocprim26transform_input_iterator_tIbNSD_35transform_pair_of_input_iterators_tIbNS6_6detail15normal_iteratorINS6_10device_ptrIKyEEEESL_NS6_8equal_toIyEEEENSG_9not_fun_tINSD_8identityEEEEENSD_19counting_iterator_tIlEES8_S8_S8_S8_S8_S8_S8_S8_EEEEPS9_S9_NSD_9__find_if7functorIS9_EEEE10hipError_tPvRmT1_T2_T3_mT4_P12ihipStream_tbEUlT_E0_NS1_11comp_targetILNS1_3genE4ELNS1_11target_archE910ELNS1_3gpuE8ELNS1_3repE0EEENS1_30default_config_static_selectorELNS0_4arch9wavefront6targetE0EEEvS14_.has_indirect_call, 0
	.section	.AMDGPU.csdata,"",@progbits
; Kernel info:
; codeLenInByte = 0
; TotalNumSgprs: 0
; NumVgprs: 0
; ScratchSize: 0
; MemoryBound: 0
; FloatMode: 240
; IeeeMode: 1
; LDSByteSize: 0 bytes/workgroup (compile time only)
; SGPRBlocks: 0
; VGPRBlocks: 0
; NumSGPRsForWavesPerEU: 1
; NumVGPRsForWavesPerEU: 1
; Occupancy: 16
; WaveLimiterHint : 0
; COMPUTE_PGM_RSRC2:SCRATCH_EN: 0
; COMPUTE_PGM_RSRC2:USER_SGPR: 6
; COMPUTE_PGM_RSRC2:TRAP_HANDLER: 0
; COMPUTE_PGM_RSRC2:TGID_X_EN: 1
; COMPUTE_PGM_RSRC2:TGID_Y_EN: 0
; COMPUTE_PGM_RSRC2:TGID_Z_EN: 0
; COMPUTE_PGM_RSRC2:TIDIG_COMP_CNT: 0
	.section	.text._ZN7rocprim17ROCPRIM_400000_NS6detail17trampoline_kernelINS0_14default_configENS1_22reduce_config_selectorIN6thrust23THRUST_200600_302600_NS5tupleIblNS6_9null_typeES8_S8_S8_S8_S8_S8_S8_EEEEZNS1_11reduce_implILb1ES3_NS6_12zip_iteratorINS7_INS6_11hip_rocprim26transform_input_iterator_tIbNSD_35transform_pair_of_input_iterators_tIbNS6_6detail15normal_iteratorINS6_10device_ptrIKyEEEESL_NS6_8equal_toIyEEEENSG_9not_fun_tINSD_8identityEEEEENSD_19counting_iterator_tIlEES8_S8_S8_S8_S8_S8_S8_S8_EEEEPS9_S9_NSD_9__find_if7functorIS9_EEEE10hipError_tPvRmT1_T2_T3_mT4_P12ihipStream_tbEUlT_E0_NS1_11comp_targetILNS1_3genE3ELNS1_11target_archE908ELNS1_3gpuE7ELNS1_3repE0EEENS1_30default_config_static_selectorELNS0_4arch9wavefront6targetE0EEEvS14_,"axG",@progbits,_ZN7rocprim17ROCPRIM_400000_NS6detail17trampoline_kernelINS0_14default_configENS1_22reduce_config_selectorIN6thrust23THRUST_200600_302600_NS5tupleIblNS6_9null_typeES8_S8_S8_S8_S8_S8_S8_EEEEZNS1_11reduce_implILb1ES3_NS6_12zip_iteratorINS7_INS6_11hip_rocprim26transform_input_iterator_tIbNSD_35transform_pair_of_input_iterators_tIbNS6_6detail15normal_iteratorINS6_10device_ptrIKyEEEESL_NS6_8equal_toIyEEEENSG_9not_fun_tINSD_8identityEEEEENSD_19counting_iterator_tIlEES8_S8_S8_S8_S8_S8_S8_S8_EEEEPS9_S9_NSD_9__find_if7functorIS9_EEEE10hipError_tPvRmT1_T2_T3_mT4_P12ihipStream_tbEUlT_E0_NS1_11comp_targetILNS1_3genE3ELNS1_11target_archE908ELNS1_3gpuE7ELNS1_3repE0EEENS1_30default_config_static_selectorELNS0_4arch9wavefront6targetE0EEEvS14_,comdat
	.protected	_ZN7rocprim17ROCPRIM_400000_NS6detail17trampoline_kernelINS0_14default_configENS1_22reduce_config_selectorIN6thrust23THRUST_200600_302600_NS5tupleIblNS6_9null_typeES8_S8_S8_S8_S8_S8_S8_EEEEZNS1_11reduce_implILb1ES3_NS6_12zip_iteratorINS7_INS6_11hip_rocprim26transform_input_iterator_tIbNSD_35transform_pair_of_input_iterators_tIbNS6_6detail15normal_iteratorINS6_10device_ptrIKyEEEESL_NS6_8equal_toIyEEEENSG_9not_fun_tINSD_8identityEEEEENSD_19counting_iterator_tIlEES8_S8_S8_S8_S8_S8_S8_S8_EEEEPS9_S9_NSD_9__find_if7functorIS9_EEEE10hipError_tPvRmT1_T2_T3_mT4_P12ihipStream_tbEUlT_E0_NS1_11comp_targetILNS1_3genE3ELNS1_11target_archE908ELNS1_3gpuE7ELNS1_3repE0EEENS1_30default_config_static_selectorELNS0_4arch9wavefront6targetE0EEEvS14_ ; -- Begin function _ZN7rocprim17ROCPRIM_400000_NS6detail17trampoline_kernelINS0_14default_configENS1_22reduce_config_selectorIN6thrust23THRUST_200600_302600_NS5tupleIblNS6_9null_typeES8_S8_S8_S8_S8_S8_S8_EEEEZNS1_11reduce_implILb1ES3_NS6_12zip_iteratorINS7_INS6_11hip_rocprim26transform_input_iterator_tIbNSD_35transform_pair_of_input_iterators_tIbNS6_6detail15normal_iteratorINS6_10device_ptrIKyEEEESL_NS6_8equal_toIyEEEENSG_9not_fun_tINSD_8identityEEEEENSD_19counting_iterator_tIlEES8_S8_S8_S8_S8_S8_S8_S8_EEEEPS9_S9_NSD_9__find_if7functorIS9_EEEE10hipError_tPvRmT1_T2_T3_mT4_P12ihipStream_tbEUlT_E0_NS1_11comp_targetILNS1_3genE3ELNS1_11target_archE908ELNS1_3gpuE7ELNS1_3repE0EEENS1_30default_config_static_selectorELNS0_4arch9wavefront6targetE0EEEvS14_
	.globl	_ZN7rocprim17ROCPRIM_400000_NS6detail17trampoline_kernelINS0_14default_configENS1_22reduce_config_selectorIN6thrust23THRUST_200600_302600_NS5tupleIblNS6_9null_typeES8_S8_S8_S8_S8_S8_S8_EEEEZNS1_11reduce_implILb1ES3_NS6_12zip_iteratorINS7_INS6_11hip_rocprim26transform_input_iterator_tIbNSD_35transform_pair_of_input_iterators_tIbNS6_6detail15normal_iteratorINS6_10device_ptrIKyEEEESL_NS6_8equal_toIyEEEENSG_9not_fun_tINSD_8identityEEEEENSD_19counting_iterator_tIlEES8_S8_S8_S8_S8_S8_S8_S8_EEEEPS9_S9_NSD_9__find_if7functorIS9_EEEE10hipError_tPvRmT1_T2_T3_mT4_P12ihipStream_tbEUlT_E0_NS1_11comp_targetILNS1_3genE3ELNS1_11target_archE908ELNS1_3gpuE7ELNS1_3repE0EEENS1_30default_config_static_selectorELNS0_4arch9wavefront6targetE0EEEvS14_
	.p2align	8
	.type	_ZN7rocprim17ROCPRIM_400000_NS6detail17trampoline_kernelINS0_14default_configENS1_22reduce_config_selectorIN6thrust23THRUST_200600_302600_NS5tupleIblNS6_9null_typeES8_S8_S8_S8_S8_S8_S8_EEEEZNS1_11reduce_implILb1ES3_NS6_12zip_iteratorINS7_INS6_11hip_rocprim26transform_input_iterator_tIbNSD_35transform_pair_of_input_iterators_tIbNS6_6detail15normal_iteratorINS6_10device_ptrIKyEEEESL_NS6_8equal_toIyEEEENSG_9not_fun_tINSD_8identityEEEEENSD_19counting_iterator_tIlEES8_S8_S8_S8_S8_S8_S8_S8_EEEEPS9_S9_NSD_9__find_if7functorIS9_EEEE10hipError_tPvRmT1_T2_T3_mT4_P12ihipStream_tbEUlT_E0_NS1_11comp_targetILNS1_3genE3ELNS1_11target_archE908ELNS1_3gpuE7ELNS1_3repE0EEENS1_30default_config_static_selectorELNS0_4arch9wavefront6targetE0EEEvS14_,@function
_ZN7rocprim17ROCPRIM_400000_NS6detail17trampoline_kernelINS0_14default_configENS1_22reduce_config_selectorIN6thrust23THRUST_200600_302600_NS5tupleIblNS6_9null_typeES8_S8_S8_S8_S8_S8_S8_EEEEZNS1_11reduce_implILb1ES3_NS6_12zip_iteratorINS7_INS6_11hip_rocprim26transform_input_iterator_tIbNSD_35transform_pair_of_input_iterators_tIbNS6_6detail15normal_iteratorINS6_10device_ptrIKyEEEESL_NS6_8equal_toIyEEEENSG_9not_fun_tINSD_8identityEEEEENSD_19counting_iterator_tIlEES8_S8_S8_S8_S8_S8_S8_S8_EEEEPS9_S9_NSD_9__find_if7functorIS9_EEEE10hipError_tPvRmT1_T2_T3_mT4_P12ihipStream_tbEUlT_E0_NS1_11comp_targetILNS1_3genE3ELNS1_11target_archE908ELNS1_3gpuE7ELNS1_3repE0EEENS1_30default_config_static_selectorELNS0_4arch9wavefront6targetE0EEEvS14_: ; @_ZN7rocprim17ROCPRIM_400000_NS6detail17trampoline_kernelINS0_14default_configENS1_22reduce_config_selectorIN6thrust23THRUST_200600_302600_NS5tupleIblNS6_9null_typeES8_S8_S8_S8_S8_S8_S8_EEEEZNS1_11reduce_implILb1ES3_NS6_12zip_iteratorINS7_INS6_11hip_rocprim26transform_input_iterator_tIbNSD_35transform_pair_of_input_iterators_tIbNS6_6detail15normal_iteratorINS6_10device_ptrIKyEEEESL_NS6_8equal_toIyEEEENSG_9not_fun_tINSD_8identityEEEEENSD_19counting_iterator_tIlEES8_S8_S8_S8_S8_S8_S8_S8_EEEEPS9_S9_NSD_9__find_if7functorIS9_EEEE10hipError_tPvRmT1_T2_T3_mT4_P12ihipStream_tbEUlT_E0_NS1_11comp_targetILNS1_3genE3ELNS1_11target_archE908ELNS1_3gpuE7ELNS1_3repE0EEENS1_30default_config_static_selectorELNS0_4arch9wavefront6targetE0EEEvS14_
; %bb.0:
	.section	.rodata,"a",@progbits
	.p2align	6, 0x0
	.amdhsa_kernel _ZN7rocprim17ROCPRIM_400000_NS6detail17trampoline_kernelINS0_14default_configENS1_22reduce_config_selectorIN6thrust23THRUST_200600_302600_NS5tupleIblNS6_9null_typeES8_S8_S8_S8_S8_S8_S8_EEEEZNS1_11reduce_implILb1ES3_NS6_12zip_iteratorINS7_INS6_11hip_rocprim26transform_input_iterator_tIbNSD_35transform_pair_of_input_iterators_tIbNS6_6detail15normal_iteratorINS6_10device_ptrIKyEEEESL_NS6_8equal_toIyEEEENSG_9not_fun_tINSD_8identityEEEEENSD_19counting_iterator_tIlEES8_S8_S8_S8_S8_S8_S8_S8_EEEEPS9_S9_NSD_9__find_if7functorIS9_EEEE10hipError_tPvRmT1_T2_T3_mT4_P12ihipStream_tbEUlT_E0_NS1_11comp_targetILNS1_3genE3ELNS1_11target_archE908ELNS1_3gpuE7ELNS1_3repE0EEENS1_30default_config_static_selectorELNS0_4arch9wavefront6targetE0EEEvS14_
		.amdhsa_group_segment_fixed_size 0
		.amdhsa_private_segment_fixed_size 0
		.amdhsa_kernarg_size 104
		.amdhsa_user_sgpr_count 6
		.amdhsa_user_sgpr_private_segment_buffer 1
		.amdhsa_user_sgpr_dispatch_ptr 0
		.amdhsa_user_sgpr_queue_ptr 0
		.amdhsa_user_sgpr_kernarg_segment_ptr 1
		.amdhsa_user_sgpr_dispatch_id 0
		.amdhsa_user_sgpr_flat_scratch_init 0
		.amdhsa_user_sgpr_private_segment_size 0
		.amdhsa_wavefront_size32 1
		.amdhsa_uses_dynamic_stack 0
		.amdhsa_system_sgpr_private_segment_wavefront_offset 0
		.amdhsa_system_sgpr_workgroup_id_x 1
		.amdhsa_system_sgpr_workgroup_id_y 0
		.amdhsa_system_sgpr_workgroup_id_z 0
		.amdhsa_system_sgpr_workgroup_info 0
		.amdhsa_system_vgpr_workitem_id 0
		.amdhsa_next_free_vgpr 1
		.amdhsa_next_free_sgpr 1
		.amdhsa_reserve_vcc 0
		.amdhsa_reserve_flat_scratch 0
		.amdhsa_float_round_mode_32 0
		.amdhsa_float_round_mode_16_64 0
		.amdhsa_float_denorm_mode_32 3
		.amdhsa_float_denorm_mode_16_64 3
		.amdhsa_dx10_clamp 1
		.amdhsa_ieee_mode 1
		.amdhsa_fp16_overflow 0
		.amdhsa_workgroup_processor_mode 1
		.amdhsa_memory_ordered 1
		.amdhsa_forward_progress 1
		.amdhsa_shared_vgpr_count 0
		.amdhsa_exception_fp_ieee_invalid_op 0
		.amdhsa_exception_fp_denorm_src 0
		.amdhsa_exception_fp_ieee_div_zero 0
		.amdhsa_exception_fp_ieee_overflow 0
		.amdhsa_exception_fp_ieee_underflow 0
		.amdhsa_exception_fp_ieee_inexact 0
		.amdhsa_exception_int_div_zero 0
	.end_amdhsa_kernel
	.section	.text._ZN7rocprim17ROCPRIM_400000_NS6detail17trampoline_kernelINS0_14default_configENS1_22reduce_config_selectorIN6thrust23THRUST_200600_302600_NS5tupleIblNS6_9null_typeES8_S8_S8_S8_S8_S8_S8_EEEEZNS1_11reduce_implILb1ES3_NS6_12zip_iteratorINS7_INS6_11hip_rocprim26transform_input_iterator_tIbNSD_35transform_pair_of_input_iterators_tIbNS6_6detail15normal_iteratorINS6_10device_ptrIKyEEEESL_NS6_8equal_toIyEEEENSG_9not_fun_tINSD_8identityEEEEENSD_19counting_iterator_tIlEES8_S8_S8_S8_S8_S8_S8_S8_EEEEPS9_S9_NSD_9__find_if7functorIS9_EEEE10hipError_tPvRmT1_T2_T3_mT4_P12ihipStream_tbEUlT_E0_NS1_11comp_targetILNS1_3genE3ELNS1_11target_archE908ELNS1_3gpuE7ELNS1_3repE0EEENS1_30default_config_static_selectorELNS0_4arch9wavefront6targetE0EEEvS14_,"axG",@progbits,_ZN7rocprim17ROCPRIM_400000_NS6detail17trampoline_kernelINS0_14default_configENS1_22reduce_config_selectorIN6thrust23THRUST_200600_302600_NS5tupleIblNS6_9null_typeES8_S8_S8_S8_S8_S8_S8_EEEEZNS1_11reduce_implILb1ES3_NS6_12zip_iteratorINS7_INS6_11hip_rocprim26transform_input_iterator_tIbNSD_35transform_pair_of_input_iterators_tIbNS6_6detail15normal_iteratorINS6_10device_ptrIKyEEEESL_NS6_8equal_toIyEEEENSG_9not_fun_tINSD_8identityEEEEENSD_19counting_iterator_tIlEES8_S8_S8_S8_S8_S8_S8_S8_EEEEPS9_S9_NSD_9__find_if7functorIS9_EEEE10hipError_tPvRmT1_T2_T3_mT4_P12ihipStream_tbEUlT_E0_NS1_11comp_targetILNS1_3genE3ELNS1_11target_archE908ELNS1_3gpuE7ELNS1_3repE0EEENS1_30default_config_static_selectorELNS0_4arch9wavefront6targetE0EEEvS14_,comdat
.Lfunc_end117:
	.size	_ZN7rocprim17ROCPRIM_400000_NS6detail17trampoline_kernelINS0_14default_configENS1_22reduce_config_selectorIN6thrust23THRUST_200600_302600_NS5tupleIblNS6_9null_typeES8_S8_S8_S8_S8_S8_S8_EEEEZNS1_11reduce_implILb1ES3_NS6_12zip_iteratorINS7_INS6_11hip_rocprim26transform_input_iterator_tIbNSD_35transform_pair_of_input_iterators_tIbNS6_6detail15normal_iteratorINS6_10device_ptrIKyEEEESL_NS6_8equal_toIyEEEENSG_9not_fun_tINSD_8identityEEEEENSD_19counting_iterator_tIlEES8_S8_S8_S8_S8_S8_S8_S8_EEEEPS9_S9_NSD_9__find_if7functorIS9_EEEE10hipError_tPvRmT1_T2_T3_mT4_P12ihipStream_tbEUlT_E0_NS1_11comp_targetILNS1_3genE3ELNS1_11target_archE908ELNS1_3gpuE7ELNS1_3repE0EEENS1_30default_config_static_selectorELNS0_4arch9wavefront6targetE0EEEvS14_, .Lfunc_end117-_ZN7rocprim17ROCPRIM_400000_NS6detail17trampoline_kernelINS0_14default_configENS1_22reduce_config_selectorIN6thrust23THRUST_200600_302600_NS5tupleIblNS6_9null_typeES8_S8_S8_S8_S8_S8_S8_EEEEZNS1_11reduce_implILb1ES3_NS6_12zip_iteratorINS7_INS6_11hip_rocprim26transform_input_iterator_tIbNSD_35transform_pair_of_input_iterators_tIbNS6_6detail15normal_iteratorINS6_10device_ptrIKyEEEESL_NS6_8equal_toIyEEEENSG_9not_fun_tINSD_8identityEEEEENSD_19counting_iterator_tIlEES8_S8_S8_S8_S8_S8_S8_S8_EEEEPS9_S9_NSD_9__find_if7functorIS9_EEEE10hipError_tPvRmT1_T2_T3_mT4_P12ihipStream_tbEUlT_E0_NS1_11comp_targetILNS1_3genE3ELNS1_11target_archE908ELNS1_3gpuE7ELNS1_3repE0EEENS1_30default_config_static_selectorELNS0_4arch9wavefront6targetE0EEEvS14_
                                        ; -- End function
	.set _ZN7rocprim17ROCPRIM_400000_NS6detail17trampoline_kernelINS0_14default_configENS1_22reduce_config_selectorIN6thrust23THRUST_200600_302600_NS5tupleIblNS6_9null_typeES8_S8_S8_S8_S8_S8_S8_EEEEZNS1_11reduce_implILb1ES3_NS6_12zip_iteratorINS7_INS6_11hip_rocprim26transform_input_iterator_tIbNSD_35transform_pair_of_input_iterators_tIbNS6_6detail15normal_iteratorINS6_10device_ptrIKyEEEESL_NS6_8equal_toIyEEEENSG_9not_fun_tINSD_8identityEEEEENSD_19counting_iterator_tIlEES8_S8_S8_S8_S8_S8_S8_S8_EEEEPS9_S9_NSD_9__find_if7functorIS9_EEEE10hipError_tPvRmT1_T2_T3_mT4_P12ihipStream_tbEUlT_E0_NS1_11comp_targetILNS1_3genE3ELNS1_11target_archE908ELNS1_3gpuE7ELNS1_3repE0EEENS1_30default_config_static_selectorELNS0_4arch9wavefront6targetE0EEEvS14_.num_vgpr, 0
	.set _ZN7rocprim17ROCPRIM_400000_NS6detail17trampoline_kernelINS0_14default_configENS1_22reduce_config_selectorIN6thrust23THRUST_200600_302600_NS5tupleIblNS6_9null_typeES8_S8_S8_S8_S8_S8_S8_EEEEZNS1_11reduce_implILb1ES3_NS6_12zip_iteratorINS7_INS6_11hip_rocprim26transform_input_iterator_tIbNSD_35transform_pair_of_input_iterators_tIbNS6_6detail15normal_iteratorINS6_10device_ptrIKyEEEESL_NS6_8equal_toIyEEEENSG_9not_fun_tINSD_8identityEEEEENSD_19counting_iterator_tIlEES8_S8_S8_S8_S8_S8_S8_S8_EEEEPS9_S9_NSD_9__find_if7functorIS9_EEEE10hipError_tPvRmT1_T2_T3_mT4_P12ihipStream_tbEUlT_E0_NS1_11comp_targetILNS1_3genE3ELNS1_11target_archE908ELNS1_3gpuE7ELNS1_3repE0EEENS1_30default_config_static_selectorELNS0_4arch9wavefront6targetE0EEEvS14_.num_agpr, 0
	.set _ZN7rocprim17ROCPRIM_400000_NS6detail17trampoline_kernelINS0_14default_configENS1_22reduce_config_selectorIN6thrust23THRUST_200600_302600_NS5tupleIblNS6_9null_typeES8_S8_S8_S8_S8_S8_S8_EEEEZNS1_11reduce_implILb1ES3_NS6_12zip_iteratorINS7_INS6_11hip_rocprim26transform_input_iterator_tIbNSD_35transform_pair_of_input_iterators_tIbNS6_6detail15normal_iteratorINS6_10device_ptrIKyEEEESL_NS6_8equal_toIyEEEENSG_9not_fun_tINSD_8identityEEEEENSD_19counting_iterator_tIlEES8_S8_S8_S8_S8_S8_S8_S8_EEEEPS9_S9_NSD_9__find_if7functorIS9_EEEE10hipError_tPvRmT1_T2_T3_mT4_P12ihipStream_tbEUlT_E0_NS1_11comp_targetILNS1_3genE3ELNS1_11target_archE908ELNS1_3gpuE7ELNS1_3repE0EEENS1_30default_config_static_selectorELNS0_4arch9wavefront6targetE0EEEvS14_.numbered_sgpr, 0
	.set _ZN7rocprim17ROCPRIM_400000_NS6detail17trampoline_kernelINS0_14default_configENS1_22reduce_config_selectorIN6thrust23THRUST_200600_302600_NS5tupleIblNS6_9null_typeES8_S8_S8_S8_S8_S8_S8_EEEEZNS1_11reduce_implILb1ES3_NS6_12zip_iteratorINS7_INS6_11hip_rocprim26transform_input_iterator_tIbNSD_35transform_pair_of_input_iterators_tIbNS6_6detail15normal_iteratorINS6_10device_ptrIKyEEEESL_NS6_8equal_toIyEEEENSG_9not_fun_tINSD_8identityEEEEENSD_19counting_iterator_tIlEES8_S8_S8_S8_S8_S8_S8_S8_EEEEPS9_S9_NSD_9__find_if7functorIS9_EEEE10hipError_tPvRmT1_T2_T3_mT4_P12ihipStream_tbEUlT_E0_NS1_11comp_targetILNS1_3genE3ELNS1_11target_archE908ELNS1_3gpuE7ELNS1_3repE0EEENS1_30default_config_static_selectorELNS0_4arch9wavefront6targetE0EEEvS14_.num_named_barrier, 0
	.set _ZN7rocprim17ROCPRIM_400000_NS6detail17trampoline_kernelINS0_14default_configENS1_22reduce_config_selectorIN6thrust23THRUST_200600_302600_NS5tupleIblNS6_9null_typeES8_S8_S8_S8_S8_S8_S8_EEEEZNS1_11reduce_implILb1ES3_NS6_12zip_iteratorINS7_INS6_11hip_rocprim26transform_input_iterator_tIbNSD_35transform_pair_of_input_iterators_tIbNS6_6detail15normal_iteratorINS6_10device_ptrIKyEEEESL_NS6_8equal_toIyEEEENSG_9not_fun_tINSD_8identityEEEEENSD_19counting_iterator_tIlEES8_S8_S8_S8_S8_S8_S8_S8_EEEEPS9_S9_NSD_9__find_if7functorIS9_EEEE10hipError_tPvRmT1_T2_T3_mT4_P12ihipStream_tbEUlT_E0_NS1_11comp_targetILNS1_3genE3ELNS1_11target_archE908ELNS1_3gpuE7ELNS1_3repE0EEENS1_30default_config_static_selectorELNS0_4arch9wavefront6targetE0EEEvS14_.private_seg_size, 0
	.set _ZN7rocprim17ROCPRIM_400000_NS6detail17trampoline_kernelINS0_14default_configENS1_22reduce_config_selectorIN6thrust23THRUST_200600_302600_NS5tupleIblNS6_9null_typeES8_S8_S8_S8_S8_S8_S8_EEEEZNS1_11reduce_implILb1ES3_NS6_12zip_iteratorINS7_INS6_11hip_rocprim26transform_input_iterator_tIbNSD_35transform_pair_of_input_iterators_tIbNS6_6detail15normal_iteratorINS6_10device_ptrIKyEEEESL_NS6_8equal_toIyEEEENSG_9not_fun_tINSD_8identityEEEEENSD_19counting_iterator_tIlEES8_S8_S8_S8_S8_S8_S8_S8_EEEEPS9_S9_NSD_9__find_if7functorIS9_EEEE10hipError_tPvRmT1_T2_T3_mT4_P12ihipStream_tbEUlT_E0_NS1_11comp_targetILNS1_3genE3ELNS1_11target_archE908ELNS1_3gpuE7ELNS1_3repE0EEENS1_30default_config_static_selectorELNS0_4arch9wavefront6targetE0EEEvS14_.uses_vcc, 0
	.set _ZN7rocprim17ROCPRIM_400000_NS6detail17trampoline_kernelINS0_14default_configENS1_22reduce_config_selectorIN6thrust23THRUST_200600_302600_NS5tupleIblNS6_9null_typeES8_S8_S8_S8_S8_S8_S8_EEEEZNS1_11reduce_implILb1ES3_NS6_12zip_iteratorINS7_INS6_11hip_rocprim26transform_input_iterator_tIbNSD_35transform_pair_of_input_iterators_tIbNS6_6detail15normal_iteratorINS6_10device_ptrIKyEEEESL_NS6_8equal_toIyEEEENSG_9not_fun_tINSD_8identityEEEEENSD_19counting_iterator_tIlEES8_S8_S8_S8_S8_S8_S8_S8_EEEEPS9_S9_NSD_9__find_if7functorIS9_EEEE10hipError_tPvRmT1_T2_T3_mT4_P12ihipStream_tbEUlT_E0_NS1_11comp_targetILNS1_3genE3ELNS1_11target_archE908ELNS1_3gpuE7ELNS1_3repE0EEENS1_30default_config_static_selectorELNS0_4arch9wavefront6targetE0EEEvS14_.uses_flat_scratch, 0
	.set _ZN7rocprim17ROCPRIM_400000_NS6detail17trampoline_kernelINS0_14default_configENS1_22reduce_config_selectorIN6thrust23THRUST_200600_302600_NS5tupleIblNS6_9null_typeES8_S8_S8_S8_S8_S8_S8_EEEEZNS1_11reduce_implILb1ES3_NS6_12zip_iteratorINS7_INS6_11hip_rocprim26transform_input_iterator_tIbNSD_35transform_pair_of_input_iterators_tIbNS6_6detail15normal_iteratorINS6_10device_ptrIKyEEEESL_NS6_8equal_toIyEEEENSG_9not_fun_tINSD_8identityEEEEENSD_19counting_iterator_tIlEES8_S8_S8_S8_S8_S8_S8_S8_EEEEPS9_S9_NSD_9__find_if7functorIS9_EEEE10hipError_tPvRmT1_T2_T3_mT4_P12ihipStream_tbEUlT_E0_NS1_11comp_targetILNS1_3genE3ELNS1_11target_archE908ELNS1_3gpuE7ELNS1_3repE0EEENS1_30default_config_static_selectorELNS0_4arch9wavefront6targetE0EEEvS14_.has_dyn_sized_stack, 0
	.set _ZN7rocprim17ROCPRIM_400000_NS6detail17trampoline_kernelINS0_14default_configENS1_22reduce_config_selectorIN6thrust23THRUST_200600_302600_NS5tupleIblNS6_9null_typeES8_S8_S8_S8_S8_S8_S8_EEEEZNS1_11reduce_implILb1ES3_NS6_12zip_iteratorINS7_INS6_11hip_rocprim26transform_input_iterator_tIbNSD_35transform_pair_of_input_iterators_tIbNS6_6detail15normal_iteratorINS6_10device_ptrIKyEEEESL_NS6_8equal_toIyEEEENSG_9not_fun_tINSD_8identityEEEEENSD_19counting_iterator_tIlEES8_S8_S8_S8_S8_S8_S8_S8_EEEEPS9_S9_NSD_9__find_if7functorIS9_EEEE10hipError_tPvRmT1_T2_T3_mT4_P12ihipStream_tbEUlT_E0_NS1_11comp_targetILNS1_3genE3ELNS1_11target_archE908ELNS1_3gpuE7ELNS1_3repE0EEENS1_30default_config_static_selectorELNS0_4arch9wavefront6targetE0EEEvS14_.has_recursion, 0
	.set _ZN7rocprim17ROCPRIM_400000_NS6detail17trampoline_kernelINS0_14default_configENS1_22reduce_config_selectorIN6thrust23THRUST_200600_302600_NS5tupleIblNS6_9null_typeES8_S8_S8_S8_S8_S8_S8_EEEEZNS1_11reduce_implILb1ES3_NS6_12zip_iteratorINS7_INS6_11hip_rocprim26transform_input_iterator_tIbNSD_35transform_pair_of_input_iterators_tIbNS6_6detail15normal_iteratorINS6_10device_ptrIKyEEEESL_NS6_8equal_toIyEEEENSG_9not_fun_tINSD_8identityEEEEENSD_19counting_iterator_tIlEES8_S8_S8_S8_S8_S8_S8_S8_EEEEPS9_S9_NSD_9__find_if7functorIS9_EEEE10hipError_tPvRmT1_T2_T3_mT4_P12ihipStream_tbEUlT_E0_NS1_11comp_targetILNS1_3genE3ELNS1_11target_archE908ELNS1_3gpuE7ELNS1_3repE0EEENS1_30default_config_static_selectorELNS0_4arch9wavefront6targetE0EEEvS14_.has_indirect_call, 0
	.section	.AMDGPU.csdata,"",@progbits
; Kernel info:
; codeLenInByte = 0
; TotalNumSgprs: 0
; NumVgprs: 0
; ScratchSize: 0
; MemoryBound: 0
; FloatMode: 240
; IeeeMode: 1
; LDSByteSize: 0 bytes/workgroup (compile time only)
; SGPRBlocks: 0
; VGPRBlocks: 0
; NumSGPRsForWavesPerEU: 1
; NumVGPRsForWavesPerEU: 1
; Occupancy: 16
; WaveLimiterHint : 0
; COMPUTE_PGM_RSRC2:SCRATCH_EN: 0
; COMPUTE_PGM_RSRC2:USER_SGPR: 6
; COMPUTE_PGM_RSRC2:TRAP_HANDLER: 0
; COMPUTE_PGM_RSRC2:TGID_X_EN: 1
; COMPUTE_PGM_RSRC2:TGID_Y_EN: 0
; COMPUTE_PGM_RSRC2:TGID_Z_EN: 0
; COMPUTE_PGM_RSRC2:TIDIG_COMP_CNT: 0
	.section	.text._ZN7rocprim17ROCPRIM_400000_NS6detail17trampoline_kernelINS0_14default_configENS1_22reduce_config_selectorIN6thrust23THRUST_200600_302600_NS5tupleIblNS6_9null_typeES8_S8_S8_S8_S8_S8_S8_EEEEZNS1_11reduce_implILb1ES3_NS6_12zip_iteratorINS7_INS6_11hip_rocprim26transform_input_iterator_tIbNSD_35transform_pair_of_input_iterators_tIbNS6_6detail15normal_iteratorINS6_10device_ptrIKyEEEESL_NS6_8equal_toIyEEEENSG_9not_fun_tINSD_8identityEEEEENSD_19counting_iterator_tIlEES8_S8_S8_S8_S8_S8_S8_S8_EEEEPS9_S9_NSD_9__find_if7functorIS9_EEEE10hipError_tPvRmT1_T2_T3_mT4_P12ihipStream_tbEUlT_E0_NS1_11comp_targetILNS1_3genE2ELNS1_11target_archE906ELNS1_3gpuE6ELNS1_3repE0EEENS1_30default_config_static_selectorELNS0_4arch9wavefront6targetE0EEEvS14_,"axG",@progbits,_ZN7rocprim17ROCPRIM_400000_NS6detail17trampoline_kernelINS0_14default_configENS1_22reduce_config_selectorIN6thrust23THRUST_200600_302600_NS5tupleIblNS6_9null_typeES8_S8_S8_S8_S8_S8_S8_EEEEZNS1_11reduce_implILb1ES3_NS6_12zip_iteratorINS7_INS6_11hip_rocprim26transform_input_iterator_tIbNSD_35transform_pair_of_input_iterators_tIbNS6_6detail15normal_iteratorINS6_10device_ptrIKyEEEESL_NS6_8equal_toIyEEEENSG_9not_fun_tINSD_8identityEEEEENSD_19counting_iterator_tIlEES8_S8_S8_S8_S8_S8_S8_S8_EEEEPS9_S9_NSD_9__find_if7functorIS9_EEEE10hipError_tPvRmT1_T2_T3_mT4_P12ihipStream_tbEUlT_E0_NS1_11comp_targetILNS1_3genE2ELNS1_11target_archE906ELNS1_3gpuE6ELNS1_3repE0EEENS1_30default_config_static_selectorELNS0_4arch9wavefront6targetE0EEEvS14_,comdat
	.protected	_ZN7rocprim17ROCPRIM_400000_NS6detail17trampoline_kernelINS0_14default_configENS1_22reduce_config_selectorIN6thrust23THRUST_200600_302600_NS5tupleIblNS6_9null_typeES8_S8_S8_S8_S8_S8_S8_EEEEZNS1_11reduce_implILb1ES3_NS6_12zip_iteratorINS7_INS6_11hip_rocprim26transform_input_iterator_tIbNSD_35transform_pair_of_input_iterators_tIbNS6_6detail15normal_iteratorINS6_10device_ptrIKyEEEESL_NS6_8equal_toIyEEEENSG_9not_fun_tINSD_8identityEEEEENSD_19counting_iterator_tIlEES8_S8_S8_S8_S8_S8_S8_S8_EEEEPS9_S9_NSD_9__find_if7functorIS9_EEEE10hipError_tPvRmT1_T2_T3_mT4_P12ihipStream_tbEUlT_E0_NS1_11comp_targetILNS1_3genE2ELNS1_11target_archE906ELNS1_3gpuE6ELNS1_3repE0EEENS1_30default_config_static_selectorELNS0_4arch9wavefront6targetE0EEEvS14_ ; -- Begin function _ZN7rocprim17ROCPRIM_400000_NS6detail17trampoline_kernelINS0_14default_configENS1_22reduce_config_selectorIN6thrust23THRUST_200600_302600_NS5tupleIblNS6_9null_typeES8_S8_S8_S8_S8_S8_S8_EEEEZNS1_11reduce_implILb1ES3_NS6_12zip_iteratorINS7_INS6_11hip_rocprim26transform_input_iterator_tIbNSD_35transform_pair_of_input_iterators_tIbNS6_6detail15normal_iteratorINS6_10device_ptrIKyEEEESL_NS6_8equal_toIyEEEENSG_9not_fun_tINSD_8identityEEEEENSD_19counting_iterator_tIlEES8_S8_S8_S8_S8_S8_S8_S8_EEEEPS9_S9_NSD_9__find_if7functorIS9_EEEE10hipError_tPvRmT1_T2_T3_mT4_P12ihipStream_tbEUlT_E0_NS1_11comp_targetILNS1_3genE2ELNS1_11target_archE906ELNS1_3gpuE6ELNS1_3repE0EEENS1_30default_config_static_selectorELNS0_4arch9wavefront6targetE0EEEvS14_
	.globl	_ZN7rocprim17ROCPRIM_400000_NS6detail17trampoline_kernelINS0_14default_configENS1_22reduce_config_selectorIN6thrust23THRUST_200600_302600_NS5tupleIblNS6_9null_typeES8_S8_S8_S8_S8_S8_S8_EEEEZNS1_11reduce_implILb1ES3_NS6_12zip_iteratorINS7_INS6_11hip_rocprim26transform_input_iterator_tIbNSD_35transform_pair_of_input_iterators_tIbNS6_6detail15normal_iteratorINS6_10device_ptrIKyEEEESL_NS6_8equal_toIyEEEENSG_9not_fun_tINSD_8identityEEEEENSD_19counting_iterator_tIlEES8_S8_S8_S8_S8_S8_S8_S8_EEEEPS9_S9_NSD_9__find_if7functorIS9_EEEE10hipError_tPvRmT1_T2_T3_mT4_P12ihipStream_tbEUlT_E0_NS1_11comp_targetILNS1_3genE2ELNS1_11target_archE906ELNS1_3gpuE6ELNS1_3repE0EEENS1_30default_config_static_selectorELNS0_4arch9wavefront6targetE0EEEvS14_
	.p2align	8
	.type	_ZN7rocprim17ROCPRIM_400000_NS6detail17trampoline_kernelINS0_14default_configENS1_22reduce_config_selectorIN6thrust23THRUST_200600_302600_NS5tupleIblNS6_9null_typeES8_S8_S8_S8_S8_S8_S8_EEEEZNS1_11reduce_implILb1ES3_NS6_12zip_iteratorINS7_INS6_11hip_rocprim26transform_input_iterator_tIbNSD_35transform_pair_of_input_iterators_tIbNS6_6detail15normal_iteratorINS6_10device_ptrIKyEEEESL_NS6_8equal_toIyEEEENSG_9not_fun_tINSD_8identityEEEEENSD_19counting_iterator_tIlEES8_S8_S8_S8_S8_S8_S8_S8_EEEEPS9_S9_NSD_9__find_if7functorIS9_EEEE10hipError_tPvRmT1_T2_T3_mT4_P12ihipStream_tbEUlT_E0_NS1_11comp_targetILNS1_3genE2ELNS1_11target_archE906ELNS1_3gpuE6ELNS1_3repE0EEENS1_30default_config_static_selectorELNS0_4arch9wavefront6targetE0EEEvS14_,@function
_ZN7rocprim17ROCPRIM_400000_NS6detail17trampoline_kernelINS0_14default_configENS1_22reduce_config_selectorIN6thrust23THRUST_200600_302600_NS5tupleIblNS6_9null_typeES8_S8_S8_S8_S8_S8_S8_EEEEZNS1_11reduce_implILb1ES3_NS6_12zip_iteratorINS7_INS6_11hip_rocprim26transform_input_iterator_tIbNSD_35transform_pair_of_input_iterators_tIbNS6_6detail15normal_iteratorINS6_10device_ptrIKyEEEESL_NS6_8equal_toIyEEEENSG_9not_fun_tINSD_8identityEEEEENSD_19counting_iterator_tIlEES8_S8_S8_S8_S8_S8_S8_S8_EEEEPS9_S9_NSD_9__find_if7functorIS9_EEEE10hipError_tPvRmT1_T2_T3_mT4_P12ihipStream_tbEUlT_E0_NS1_11comp_targetILNS1_3genE2ELNS1_11target_archE906ELNS1_3gpuE6ELNS1_3repE0EEENS1_30default_config_static_selectorELNS0_4arch9wavefront6targetE0EEEvS14_: ; @_ZN7rocprim17ROCPRIM_400000_NS6detail17trampoline_kernelINS0_14default_configENS1_22reduce_config_selectorIN6thrust23THRUST_200600_302600_NS5tupleIblNS6_9null_typeES8_S8_S8_S8_S8_S8_S8_EEEEZNS1_11reduce_implILb1ES3_NS6_12zip_iteratorINS7_INS6_11hip_rocprim26transform_input_iterator_tIbNSD_35transform_pair_of_input_iterators_tIbNS6_6detail15normal_iteratorINS6_10device_ptrIKyEEEESL_NS6_8equal_toIyEEEENSG_9not_fun_tINSD_8identityEEEEENSD_19counting_iterator_tIlEES8_S8_S8_S8_S8_S8_S8_S8_EEEEPS9_S9_NSD_9__find_if7functorIS9_EEEE10hipError_tPvRmT1_T2_T3_mT4_P12ihipStream_tbEUlT_E0_NS1_11comp_targetILNS1_3genE2ELNS1_11target_archE906ELNS1_3gpuE6ELNS1_3repE0EEENS1_30default_config_static_selectorELNS0_4arch9wavefront6targetE0EEEvS14_
; %bb.0:
	.section	.rodata,"a",@progbits
	.p2align	6, 0x0
	.amdhsa_kernel _ZN7rocprim17ROCPRIM_400000_NS6detail17trampoline_kernelINS0_14default_configENS1_22reduce_config_selectorIN6thrust23THRUST_200600_302600_NS5tupleIblNS6_9null_typeES8_S8_S8_S8_S8_S8_S8_EEEEZNS1_11reduce_implILb1ES3_NS6_12zip_iteratorINS7_INS6_11hip_rocprim26transform_input_iterator_tIbNSD_35transform_pair_of_input_iterators_tIbNS6_6detail15normal_iteratorINS6_10device_ptrIKyEEEESL_NS6_8equal_toIyEEEENSG_9not_fun_tINSD_8identityEEEEENSD_19counting_iterator_tIlEES8_S8_S8_S8_S8_S8_S8_S8_EEEEPS9_S9_NSD_9__find_if7functorIS9_EEEE10hipError_tPvRmT1_T2_T3_mT4_P12ihipStream_tbEUlT_E0_NS1_11comp_targetILNS1_3genE2ELNS1_11target_archE906ELNS1_3gpuE6ELNS1_3repE0EEENS1_30default_config_static_selectorELNS0_4arch9wavefront6targetE0EEEvS14_
		.amdhsa_group_segment_fixed_size 0
		.amdhsa_private_segment_fixed_size 0
		.amdhsa_kernarg_size 104
		.amdhsa_user_sgpr_count 6
		.amdhsa_user_sgpr_private_segment_buffer 1
		.amdhsa_user_sgpr_dispatch_ptr 0
		.amdhsa_user_sgpr_queue_ptr 0
		.amdhsa_user_sgpr_kernarg_segment_ptr 1
		.amdhsa_user_sgpr_dispatch_id 0
		.amdhsa_user_sgpr_flat_scratch_init 0
		.amdhsa_user_sgpr_private_segment_size 0
		.amdhsa_wavefront_size32 1
		.amdhsa_uses_dynamic_stack 0
		.amdhsa_system_sgpr_private_segment_wavefront_offset 0
		.amdhsa_system_sgpr_workgroup_id_x 1
		.amdhsa_system_sgpr_workgroup_id_y 0
		.amdhsa_system_sgpr_workgroup_id_z 0
		.amdhsa_system_sgpr_workgroup_info 0
		.amdhsa_system_vgpr_workitem_id 0
		.amdhsa_next_free_vgpr 1
		.amdhsa_next_free_sgpr 1
		.amdhsa_reserve_vcc 0
		.amdhsa_reserve_flat_scratch 0
		.amdhsa_float_round_mode_32 0
		.amdhsa_float_round_mode_16_64 0
		.amdhsa_float_denorm_mode_32 3
		.amdhsa_float_denorm_mode_16_64 3
		.amdhsa_dx10_clamp 1
		.amdhsa_ieee_mode 1
		.amdhsa_fp16_overflow 0
		.amdhsa_workgroup_processor_mode 1
		.amdhsa_memory_ordered 1
		.amdhsa_forward_progress 1
		.amdhsa_shared_vgpr_count 0
		.amdhsa_exception_fp_ieee_invalid_op 0
		.amdhsa_exception_fp_denorm_src 0
		.amdhsa_exception_fp_ieee_div_zero 0
		.amdhsa_exception_fp_ieee_overflow 0
		.amdhsa_exception_fp_ieee_underflow 0
		.amdhsa_exception_fp_ieee_inexact 0
		.amdhsa_exception_int_div_zero 0
	.end_amdhsa_kernel
	.section	.text._ZN7rocprim17ROCPRIM_400000_NS6detail17trampoline_kernelINS0_14default_configENS1_22reduce_config_selectorIN6thrust23THRUST_200600_302600_NS5tupleIblNS6_9null_typeES8_S8_S8_S8_S8_S8_S8_EEEEZNS1_11reduce_implILb1ES3_NS6_12zip_iteratorINS7_INS6_11hip_rocprim26transform_input_iterator_tIbNSD_35transform_pair_of_input_iterators_tIbNS6_6detail15normal_iteratorINS6_10device_ptrIKyEEEESL_NS6_8equal_toIyEEEENSG_9not_fun_tINSD_8identityEEEEENSD_19counting_iterator_tIlEES8_S8_S8_S8_S8_S8_S8_S8_EEEEPS9_S9_NSD_9__find_if7functorIS9_EEEE10hipError_tPvRmT1_T2_T3_mT4_P12ihipStream_tbEUlT_E0_NS1_11comp_targetILNS1_3genE2ELNS1_11target_archE906ELNS1_3gpuE6ELNS1_3repE0EEENS1_30default_config_static_selectorELNS0_4arch9wavefront6targetE0EEEvS14_,"axG",@progbits,_ZN7rocprim17ROCPRIM_400000_NS6detail17trampoline_kernelINS0_14default_configENS1_22reduce_config_selectorIN6thrust23THRUST_200600_302600_NS5tupleIblNS6_9null_typeES8_S8_S8_S8_S8_S8_S8_EEEEZNS1_11reduce_implILb1ES3_NS6_12zip_iteratorINS7_INS6_11hip_rocprim26transform_input_iterator_tIbNSD_35transform_pair_of_input_iterators_tIbNS6_6detail15normal_iteratorINS6_10device_ptrIKyEEEESL_NS6_8equal_toIyEEEENSG_9not_fun_tINSD_8identityEEEEENSD_19counting_iterator_tIlEES8_S8_S8_S8_S8_S8_S8_S8_EEEEPS9_S9_NSD_9__find_if7functorIS9_EEEE10hipError_tPvRmT1_T2_T3_mT4_P12ihipStream_tbEUlT_E0_NS1_11comp_targetILNS1_3genE2ELNS1_11target_archE906ELNS1_3gpuE6ELNS1_3repE0EEENS1_30default_config_static_selectorELNS0_4arch9wavefront6targetE0EEEvS14_,comdat
.Lfunc_end118:
	.size	_ZN7rocprim17ROCPRIM_400000_NS6detail17trampoline_kernelINS0_14default_configENS1_22reduce_config_selectorIN6thrust23THRUST_200600_302600_NS5tupleIblNS6_9null_typeES8_S8_S8_S8_S8_S8_S8_EEEEZNS1_11reduce_implILb1ES3_NS6_12zip_iteratorINS7_INS6_11hip_rocprim26transform_input_iterator_tIbNSD_35transform_pair_of_input_iterators_tIbNS6_6detail15normal_iteratorINS6_10device_ptrIKyEEEESL_NS6_8equal_toIyEEEENSG_9not_fun_tINSD_8identityEEEEENSD_19counting_iterator_tIlEES8_S8_S8_S8_S8_S8_S8_S8_EEEEPS9_S9_NSD_9__find_if7functorIS9_EEEE10hipError_tPvRmT1_T2_T3_mT4_P12ihipStream_tbEUlT_E0_NS1_11comp_targetILNS1_3genE2ELNS1_11target_archE906ELNS1_3gpuE6ELNS1_3repE0EEENS1_30default_config_static_selectorELNS0_4arch9wavefront6targetE0EEEvS14_, .Lfunc_end118-_ZN7rocprim17ROCPRIM_400000_NS6detail17trampoline_kernelINS0_14default_configENS1_22reduce_config_selectorIN6thrust23THRUST_200600_302600_NS5tupleIblNS6_9null_typeES8_S8_S8_S8_S8_S8_S8_EEEEZNS1_11reduce_implILb1ES3_NS6_12zip_iteratorINS7_INS6_11hip_rocprim26transform_input_iterator_tIbNSD_35transform_pair_of_input_iterators_tIbNS6_6detail15normal_iteratorINS6_10device_ptrIKyEEEESL_NS6_8equal_toIyEEEENSG_9not_fun_tINSD_8identityEEEEENSD_19counting_iterator_tIlEES8_S8_S8_S8_S8_S8_S8_S8_EEEEPS9_S9_NSD_9__find_if7functorIS9_EEEE10hipError_tPvRmT1_T2_T3_mT4_P12ihipStream_tbEUlT_E0_NS1_11comp_targetILNS1_3genE2ELNS1_11target_archE906ELNS1_3gpuE6ELNS1_3repE0EEENS1_30default_config_static_selectorELNS0_4arch9wavefront6targetE0EEEvS14_
                                        ; -- End function
	.set _ZN7rocprim17ROCPRIM_400000_NS6detail17trampoline_kernelINS0_14default_configENS1_22reduce_config_selectorIN6thrust23THRUST_200600_302600_NS5tupleIblNS6_9null_typeES8_S8_S8_S8_S8_S8_S8_EEEEZNS1_11reduce_implILb1ES3_NS6_12zip_iteratorINS7_INS6_11hip_rocprim26transform_input_iterator_tIbNSD_35transform_pair_of_input_iterators_tIbNS6_6detail15normal_iteratorINS6_10device_ptrIKyEEEESL_NS6_8equal_toIyEEEENSG_9not_fun_tINSD_8identityEEEEENSD_19counting_iterator_tIlEES8_S8_S8_S8_S8_S8_S8_S8_EEEEPS9_S9_NSD_9__find_if7functorIS9_EEEE10hipError_tPvRmT1_T2_T3_mT4_P12ihipStream_tbEUlT_E0_NS1_11comp_targetILNS1_3genE2ELNS1_11target_archE906ELNS1_3gpuE6ELNS1_3repE0EEENS1_30default_config_static_selectorELNS0_4arch9wavefront6targetE0EEEvS14_.num_vgpr, 0
	.set _ZN7rocprim17ROCPRIM_400000_NS6detail17trampoline_kernelINS0_14default_configENS1_22reduce_config_selectorIN6thrust23THRUST_200600_302600_NS5tupleIblNS6_9null_typeES8_S8_S8_S8_S8_S8_S8_EEEEZNS1_11reduce_implILb1ES3_NS6_12zip_iteratorINS7_INS6_11hip_rocprim26transform_input_iterator_tIbNSD_35transform_pair_of_input_iterators_tIbNS6_6detail15normal_iteratorINS6_10device_ptrIKyEEEESL_NS6_8equal_toIyEEEENSG_9not_fun_tINSD_8identityEEEEENSD_19counting_iterator_tIlEES8_S8_S8_S8_S8_S8_S8_S8_EEEEPS9_S9_NSD_9__find_if7functorIS9_EEEE10hipError_tPvRmT1_T2_T3_mT4_P12ihipStream_tbEUlT_E0_NS1_11comp_targetILNS1_3genE2ELNS1_11target_archE906ELNS1_3gpuE6ELNS1_3repE0EEENS1_30default_config_static_selectorELNS0_4arch9wavefront6targetE0EEEvS14_.num_agpr, 0
	.set _ZN7rocprim17ROCPRIM_400000_NS6detail17trampoline_kernelINS0_14default_configENS1_22reduce_config_selectorIN6thrust23THRUST_200600_302600_NS5tupleIblNS6_9null_typeES8_S8_S8_S8_S8_S8_S8_EEEEZNS1_11reduce_implILb1ES3_NS6_12zip_iteratorINS7_INS6_11hip_rocprim26transform_input_iterator_tIbNSD_35transform_pair_of_input_iterators_tIbNS6_6detail15normal_iteratorINS6_10device_ptrIKyEEEESL_NS6_8equal_toIyEEEENSG_9not_fun_tINSD_8identityEEEEENSD_19counting_iterator_tIlEES8_S8_S8_S8_S8_S8_S8_S8_EEEEPS9_S9_NSD_9__find_if7functorIS9_EEEE10hipError_tPvRmT1_T2_T3_mT4_P12ihipStream_tbEUlT_E0_NS1_11comp_targetILNS1_3genE2ELNS1_11target_archE906ELNS1_3gpuE6ELNS1_3repE0EEENS1_30default_config_static_selectorELNS0_4arch9wavefront6targetE0EEEvS14_.numbered_sgpr, 0
	.set _ZN7rocprim17ROCPRIM_400000_NS6detail17trampoline_kernelINS0_14default_configENS1_22reduce_config_selectorIN6thrust23THRUST_200600_302600_NS5tupleIblNS6_9null_typeES8_S8_S8_S8_S8_S8_S8_EEEEZNS1_11reduce_implILb1ES3_NS6_12zip_iteratorINS7_INS6_11hip_rocprim26transform_input_iterator_tIbNSD_35transform_pair_of_input_iterators_tIbNS6_6detail15normal_iteratorINS6_10device_ptrIKyEEEESL_NS6_8equal_toIyEEEENSG_9not_fun_tINSD_8identityEEEEENSD_19counting_iterator_tIlEES8_S8_S8_S8_S8_S8_S8_S8_EEEEPS9_S9_NSD_9__find_if7functorIS9_EEEE10hipError_tPvRmT1_T2_T3_mT4_P12ihipStream_tbEUlT_E0_NS1_11comp_targetILNS1_3genE2ELNS1_11target_archE906ELNS1_3gpuE6ELNS1_3repE0EEENS1_30default_config_static_selectorELNS0_4arch9wavefront6targetE0EEEvS14_.num_named_barrier, 0
	.set _ZN7rocprim17ROCPRIM_400000_NS6detail17trampoline_kernelINS0_14default_configENS1_22reduce_config_selectorIN6thrust23THRUST_200600_302600_NS5tupleIblNS6_9null_typeES8_S8_S8_S8_S8_S8_S8_EEEEZNS1_11reduce_implILb1ES3_NS6_12zip_iteratorINS7_INS6_11hip_rocprim26transform_input_iterator_tIbNSD_35transform_pair_of_input_iterators_tIbNS6_6detail15normal_iteratorINS6_10device_ptrIKyEEEESL_NS6_8equal_toIyEEEENSG_9not_fun_tINSD_8identityEEEEENSD_19counting_iterator_tIlEES8_S8_S8_S8_S8_S8_S8_S8_EEEEPS9_S9_NSD_9__find_if7functorIS9_EEEE10hipError_tPvRmT1_T2_T3_mT4_P12ihipStream_tbEUlT_E0_NS1_11comp_targetILNS1_3genE2ELNS1_11target_archE906ELNS1_3gpuE6ELNS1_3repE0EEENS1_30default_config_static_selectorELNS0_4arch9wavefront6targetE0EEEvS14_.private_seg_size, 0
	.set _ZN7rocprim17ROCPRIM_400000_NS6detail17trampoline_kernelINS0_14default_configENS1_22reduce_config_selectorIN6thrust23THRUST_200600_302600_NS5tupleIblNS6_9null_typeES8_S8_S8_S8_S8_S8_S8_EEEEZNS1_11reduce_implILb1ES3_NS6_12zip_iteratorINS7_INS6_11hip_rocprim26transform_input_iterator_tIbNSD_35transform_pair_of_input_iterators_tIbNS6_6detail15normal_iteratorINS6_10device_ptrIKyEEEESL_NS6_8equal_toIyEEEENSG_9not_fun_tINSD_8identityEEEEENSD_19counting_iterator_tIlEES8_S8_S8_S8_S8_S8_S8_S8_EEEEPS9_S9_NSD_9__find_if7functorIS9_EEEE10hipError_tPvRmT1_T2_T3_mT4_P12ihipStream_tbEUlT_E0_NS1_11comp_targetILNS1_3genE2ELNS1_11target_archE906ELNS1_3gpuE6ELNS1_3repE0EEENS1_30default_config_static_selectorELNS0_4arch9wavefront6targetE0EEEvS14_.uses_vcc, 0
	.set _ZN7rocprim17ROCPRIM_400000_NS6detail17trampoline_kernelINS0_14default_configENS1_22reduce_config_selectorIN6thrust23THRUST_200600_302600_NS5tupleIblNS6_9null_typeES8_S8_S8_S8_S8_S8_S8_EEEEZNS1_11reduce_implILb1ES3_NS6_12zip_iteratorINS7_INS6_11hip_rocprim26transform_input_iterator_tIbNSD_35transform_pair_of_input_iterators_tIbNS6_6detail15normal_iteratorINS6_10device_ptrIKyEEEESL_NS6_8equal_toIyEEEENSG_9not_fun_tINSD_8identityEEEEENSD_19counting_iterator_tIlEES8_S8_S8_S8_S8_S8_S8_S8_EEEEPS9_S9_NSD_9__find_if7functorIS9_EEEE10hipError_tPvRmT1_T2_T3_mT4_P12ihipStream_tbEUlT_E0_NS1_11comp_targetILNS1_3genE2ELNS1_11target_archE906ELNS1_3gpuE6ELNS1_3repE0EEENS1_30default_config_static_selectorELNS0_4arch9wavefront6targetE0EEEvS14_.uses_flat_scratch, 0
	.set _ZN7rocprim17ROCPRIM_400000_NS6detail17trampoline_kernelINS0_14default_configENS1_22reduce_config_selectorIN6thrust23THRUST_200600_302600_NS5tupleIblNS6_9null_typeES8_S8_S8_S8_S8_S8_S8_EEEEZNS1_11reduce_implILb1ES3_NS6_12zip_iteratorINS7_INS6_11hip_rocprim26transform_input_iterator_tIbNSD_35transform_pair_of_input_iterators_tIbNS6_6detail15normal_iteratorINS6_10device_ptrIKyEEEESL_NS6_8equal_toIyEEEENSG_9not_fun_tINSD_8identityEEEEENSD_19counting_iterator_tIlEES8_S8_S8_S8_S8_S8_S8_S8_EEEEPS9_S9_NSD_9__find_if7functorIS9_EEEE10hipError_tPvRmT1_T2_T3_mT4_P12ihipStream_tbEUlT_E0_NS1_11comp_targetILNS1_3genE2ELNS1_11target_archE906ELNS1_3gpuE6ELNS1_3repE0EEENS1_30default_config_static_selectorELNS0_4arch9wavefront6targetE0EEEvS14_.has_dyn_sized_stack, 0
	.set _ZN7rocprim17ROCPRIM_400000_NS6detail17trampoline_kernelINS0_14default_configENS1_22reduce_config_selectorIN6thrust23THRUST_200600_302600_NS5tupleIblNS6_9null_typeES8_S8_S8_S8_S8_S8_S8_EEEEZNS1_11reduce_implILb1ES3_NS6_12zip_iteratorINS7_INS6_11hip_rocprim26transform_input_iterator_tIbNSD_35transform_pair_of_input_iterators_tIbNS6_6detail15normal_iteratorINS6_10device_ptrIKyEEEESL_NS6_8equal_toIyEEEENSG_9not_fun_tINSD_8identityEEEEENSD_19counting_iterator_tIlEES8_S8_S8_S8_S8_S8_S8_S8_EEEEPS9_S9_NSD_9__find_if7functorIS9_EEEE10hipError_tPvRmT1_T2_T3_mT4_P12ihipStream_tbEUlT_E0_NS1_11comp_targetILNS1_3genE2ELNS1_11target_archE906ELNS1_3gpuE6ELNS1_3repE0EEENS1_30default_config_static_selectorELNS0_4arch9wavefront6targetE0EEEvS14_.has_recursion, 0
	.set _ZN7rocprim17ROCPRIM_400000_NS6detail17trampoline_kernelINS0_14default_configENS1_22reduce_config_selectorIN6thrust23THRUST_200600_302600_NS5tupleIblNS6_9null_typeES8_S8_S8_S8_S8_S8_S8_EEEEZNS1_11reduce_implILb1ES3_NS6_12zip_iteratorINS7_INS6_11hip_rocprim26transform_input_iterator_tIbNSD_35transform_pair_of_input_iterators_tIbNS6_6detail15normal_iteratorINS6_10device_ptrIKyEEEESL_NS6_8equal_toIyEEEENSG_9not_fun_tINSD_8identityEEEEENSD_19counting_iterator_tIlEES8_S8_S8_S8_S8_S8_S8_S8_EEEEPS9_S9_NSD_9__find_if7functorIS9_EEEE10hipError_tPvRmT1_T2_T3_mT4_P12ihipStream_tbEUlT_E0_NS1_11comp_targetILNS1_3genE2ELNS1_11target_archE906ELNS1_3gpuE6ELNS1_3repE0EEENS1_30default_config_static_selectorELNS0_4arch9wavefront6targetE0EEEvS14_.has_indirect_call, 0
	.section	.AMDGPU.csdata,"",@progbits
; Kernel info:
; codeLenInByte = 0
; TotalNumSgprs: 0
; NumVgprs: 0
; ScratchSize: 0
; MemoryBound: 0
; FloatMode: 240
; IeeeMode: 1
; LDSByteSize: 0 bytes/workgroup (compile time only)
; SGPRBlocks: 0
; VGPRBlocks: 0
; NumSGPRsForWavesPerEU: 1
; NumVGPRsForWavesPerEU: 1
; Occupancy: 16
; WaveLimiterHint : 0
; COMPUTE_PGM_RSRC2:SCRATCH_EN: 0
; COMPUTE_PGM_RSRC2:USER_SGPR: 6
; COMPUTE_PGM_RSRC2:TRAP_HANDLER: 0
; COMPUTE_PGM_RSRC2:TGID_X_EN: 1
; COMPUTE_PGM_RSRC2:TGID_Y_EN: 0
; COMPUTE_PGM_RSRC2:TGID_Z_EN: 0
; COMPUTE_PGM_RSRC2:TIDIG_COMP_CNT: 0
	.section	.text._ZN7rocprim17ROCPRIM_400000_NS6detail17trampoline_kernelINS0_14default_configENS1_22reduce_config_selectorIN6thrust23THRUST_200600_302600_NS5tupleIblNS6_9null_typeES8_S8_S8_S8_S8_S8_S8_EEEEZNS1_11reduce_implILb1ES3_NS6_12zip_iteratorINS7_INS6_11hip_rocprim26transform_input_iterator_tIbNSD_35transform_pair_of_input_iterators_tIbNS6_6detail15normal_iteratorINS6_10device_ptrIKyEEEESL_NS6_8equal_toIyEEEENSG_9not_fun_tINSD_8identityEEEEENSD_19counting_iterator_tIlEES8_S8_S8_S8_S8_S8_S8_S8_EEEEPS9_S9_NSD_9__find_if7functorIS9_EEEE10hipError_tPvRmT1_T2_T3_mT4_P12ihipStream_tbEUlT_E0_NS1_11comp_targetILNS1_3genE10ELNS1_11target_archE1201ELNS1_3gpuE5ELNS1_3repE0EEENS1_30default_config_static_selectorELNS0_4arch9wavefront6targetE0EEEvS14_,"axG",@progbits,_ZN7rocprim17ROCPRIM_400000_NS6detail17trampoline_kernelINS0_14default_configENS1_22reduce_config_selectorIN6thrust23THRUST_200600_302600_NS5tupleIblNS6_9null_typeES8_S8_S8_S8_S8_S8_S8_EEEEZNS1_11reduce_implILb1ES3_NS6_12zip_iteratorINS7_INS6_11hip_rocprim26transform_input_iterator_tIbNSD_35transform_pair_of_input_iterators_tIbNS6_6detail15normal_iteratorINS6_10device_ptrIKyEEEESL_NS6_8equal_toIyEEEENSG_9not_fun_tINSD_8identityEEEEENSD_19counting_iterator_tIlEES8_S8_S8_S8_S8_S8_S8_S8_EEEEPS9_S9_NSD_9__find_if7functorIS9_EEEE10hipError_tPvRmT1_T2_T3_mT4_P12ihipStream_tbEUlT_E0_NS1_11comp_targetILNS1_3genE10ELNS1_11target_archE1201ELNS1_3gpuE5ELNS1_3repE0EEENS1_30default_config_static_selectorELNS0_4arch9wavefront6targetE0EEEvS14_,comdat
	.protected	_ZN7rocprim17ROCPRIM_400000_NS6detail17trampoline_kernelINS0_14default_configENS1_22reduce_config_selectorIN6thrust23THRUST_200600_302600_NS5tupleIblNS6_9null_typeES8_S8_S8_S8_S8_S8_S8_EEEEZNS1_11reduce_implILb1ES3_NS6_12zip_iteratorINS7_INS6_11hip_rocprim26transform_input_iterator_tIbNSD_35transform_pair_of_input_iterators_tIbNS6_6detail15normal_iteratorINS6_10device_ptrIKyEEEESL_NS6_8equal_toIyEEEENSG_9not_fun_tINSD_8identityEEEEENSD_19counting_iterator_tIlEES8_S8_S8_S8_S8_S8_S8_S8_EEEEPS9_S9_NSD_9__find_if7functorIS9_EEEE10hipError_tPvRmT1_T2_T3_mT4_P12ihipStream_tbEUlT_E0_NS1_11comp_targetILNS1_3genE10ELNS1_11target_archE1201ELNS1_3gpuE5ELNS1_3repE0EEENS1_30default_config_static_selectorELNS0_4arch9wavefront6targetE0EEEvS14_ ; -- Begin function _ZN7rocprim17ROCPRIM_400000_NS6detail17trampoline_kernelINS0_14default_configENS1_22reduce_config_selectorIN6thrust23THRUST_200600_302600_NS5tupleIblNS6_9null_typeES8_S8_S8_S8_S8_S8_S8_EEEEZNS1_11reduce_implILb1ES3_NS6_12zip_iteratorINS7_INS6_11hip_rocprim26transform_input_iterator_tIbNSD_35transform_pair_of_input_iterators_tIbNS6_6detail15normal_iteratorINS6_10device_ptrIKyEEEESL_NS6_8equal_toIyEEEENSG_9not_fun_tINSD_8identityEEEEENSD_19counting_iterator_tIlEES8_S8_S8_S8_S8_S8_S8_S8_EEEEPS9_S9_NSD_9__find_if7functorIS9_EEEE10hipError_tPvRmT1_T2_T3_mT4_P12ihipStream_tbEUlT_E0_NS1_11comp_targetILNS1_3genE10ELNS1_11target_archE1201ELNS1_3gpuE5ELNS1_3repE0EEENS1_30default_config_static_selectorELNS0_4arch9wavefront6targetE0EEEvS14_
	.globl	_ZN7rocprim17ROCPRIM_400000_NS6detail17trampoline_kernelINS0_14default_configENS1_22reduce_config_selectorIN6thrust23THRUST_200600_302600_NS5tupleIblNS6_9null_typeES8_S8_S8_S8_S8_S8_S8_EEEEZNS1_11reduce_implILb1ES3_NS6_12zip_iteratorINS7_INS6_11hip_rocprim26transform_input_iterator_tIbNSD_35transform_pair_of_input_iterators_tIbNS6_6detail15normal_iteratorINS6_10device_ptrIKyEEEESL_NS6_8equal_toIyEEEENSG_9not_fun_tINSD_8identityEEEEENSD_19counting_iterator_tIlEES8_S8_S8_S8_S8_S8_S8_S8_EEEEPS9_S9_NSD_9__find_if7functorIS9_EEEE10hipError_tPvRmT1_T2_T3_mT4_P12ihipStream_tbEUlT_E0_NS1_11comp_targetILNS1_3genE10ELNS1_11target_archE1201ELNS1_3gpuE5ELNS1_3repE0EEENS1_30default_config_static_selectorELNS0_4arch9wavefront6targetE0EEEvS14_
	.p2align	8
	.type	_ZN7rocprim17ROCPRIM_400000_NS6detail17trampoline_kernelINS0_14default_configENS1_22reduce_config_selectorIN6thrust23THRUST_200600_302600_NS5tupleIblNS6_9null_typeES8_S8_S8_S8_S8_S8_S8_EEEEZNS1_11reduce_implILb1ES3_NS6_12zip_iteratorINS7_INS6_11hip_rocprim26transform_input_iterator_tIbNSD_35transform_pair_of_input_iterators_tIbNS6_6detail15normal_iteratorINS6_10device_ptrIKyEEEESL_NS6_8equal_toIyEEEENSG_9not_fun_tINSD_8identityEEEEENSD_19counting_iterator_tIlEES8_S8_S8_S8_S8_S8_S8_S8_EEEEPS9_S9_NSD_9__find_if7functorIS9_EEEE10hipError_tPvRmT1_T2_T3_mT4_P12ihipStream_tbEUlT_E0_NS1_11comp_targetILNS1_3genE10ELNS1_11target_archE1201ELNS1_3gpuE5ELNS1_3repE0EEENS1_30default_config_static_selectorELNS0_4arch9wavefront6targetE0EEEvS14_,@function
_ZN7rocprim17ROCPRIM_400000_NS6detail17trampoline_kernelINS0_14default_configENS1_22reduce_config_selectorIN6thrust23THRUST_200600_302600_NS5tupleIblNS6_9null_typeES8_S8_S8_S8_S8_S8_S8_EEEEZNS1_11reduce_implILb1ES3_NS6_12zip_iteratorINS7_INS6_11hip_rocprim26transform_input_iterator_tIbNSD_35transform_pair_of_input_iterators_tIbNS6_6detail15normal_iteratorINS6_10device_ptrIKyEEEESL_NS6_8equal_toIyEEEENSG_9not_fun_tINSD_8identityEEEEENSD_19counting_iterator_tIlEES8_S8_S8_S8_S8_S8_S8_S8_EEEEPS9_S9_NSD_9__find_if7functorIS9_EEEE10hipError_tPvRmT1_T2_T3_mT4_P12ihipStream_tbEUlT_E0_NS1_11comp_targetILNS1_3genE10ELNS1_11target_archE1201ELNS1_3gpuE5ELNS1_3repE0EEENS1_30default_config_static_selectorELNS0_4arch9wavefront6targetE0EEEvS14_: ; @_ZN7rocprim17ROCPRIM_400000_NS6detail17trampoline_kernelINS0_14default_configENS1_22reduce_config_selectorIN6thrust23THRUST_200600_302600_NS5tupleIblNS6_9null_typeES8_S8_S8_S8_S8_S8_S8_EEEEZNS1_11reduce_implILb1ES3_NS6_12zip_iteratorINS7_INS6_11hip_rocprim26transform_input_iterator_tIbNSD_35transform_pair_of_input_iterators_tIbNS6_6detail15normal_iteratorINS6_10device_ptrIKyEEEESL_NS6_8equal_toIyEEEENSG_9not_fun_tINSD_8identityEEEEENSD_19counting_iterator_tIlEES8_S8_S8_S8_S8_S8_S8_S8_EEEEPS9_S9_NSD_9__find_if7functorIS9_EEEE10hipError_tPvRmT1_T2_T3_mT4_P12ihipStream_tbEUlT_E0_NS1_11comp_targetILNS1_3genE10ELNS1_11target_archE1201ELNS1_3gpuE5ELNS1_3repE0EEENS1_30default_config_static_selectorELNS0_4arch9wavefront6targetE0EEEvS14_
; %bb.0:
	.section	.rodata,"a",@progbits
	.p2align	6, 0x0
	.amdhsa_kernel _ZN7rocprim17ROCPRIM_400000_NS6detail17trampoline_kernelINS0_14default_configENS1_22reduce_config_selectorIN6thrust23THRUST_200600_302600_NS5tupleIblNS6_9null_typeES8_S8_S8_S8_S8_S8_S8_EEEEZNS1_11reduce_implILb1ES3_NS6_12zip_iteratorINS7_INS6_11hip_rocprim26transform_input_iterator_tIbNSD_35transform_pair_of_input_iterators_tIbNS6_6detail15normal_iteratorINS6_10device_ptrIKyEEEESL_NS6_8equal_toIyEEEENSG_9not_fun_tINSD_8identityEEEEENSD_19counting_iterator_tIlEES8_S8_S8_S8_S8_S8_S8_S8_EEEEPS9_S9_NSD_9__find_if7functorIS9_EEEE10hipError_tPvRmT1_T2_T3_mT4_P12ihipStream_tbEUlT_E0_NS1_11comp_targetILNS1_3genE10ELNS1_11target_archE1201ELNS1_3gpuE5ELNS1_3repE0EEENS1_30default_config_static_selectorELNS0_4arch9wavefront6targetE0EEEvS14_
		.amdhsa_group_segment_fixed_size 0
		.amdhsa_private_segment_fixed_size 0
		.amdhsa_kernarg_size 104
		.amdhsa_user_sgpr_count 6
		.amdhsa_user_sgpr_private_segment_buffer 1
		.amdhsa_user_sgpr_dispatch_ptr 0
		.amdhsa_user_sgpr_queue_ptr 0
		.amdhsa_user_sgpr_kernarg_segment_ptr 1
		.amdhsa_user_sgpr_dispatch_id 0
		.amdhsa_user_sgpr_flat_scratch_init 0
		.amdhsa_user_sgpr_private_segment_size 0
		.amdhsa_wavefront_size32 1
		.amdhsa_uses_dynamic_stack 0
		.amdhsa_system_sgpr_private_segment_wavefront_offset 0
		.amdhsa_system_sgpr_workgroup_id_x 1
		.amdhsa_system_sgpr_workgroup_id_y 0
		.amdhsa_system_sgpr_workgroup_id_z 0
		.amdhsa_system_sgpr_workgroup_info 0
		.amdhsa_system_vgpr_workitem_id 0
		.amdhsa_next_free_vgpr 1
		.amdhsa_next_free_sgpr 1
		.amdhsa_reserve_vcc 0
		.amdhsa_reserve_flat_scratch 0
		.amdhsa_float_round_mode_32 0
		.amdhsa_float_round_mode_16_64 0
		.amdhsa_float_denorm_mode_32 3
		.amdhsa_float_denorm_mode_16_64 3
		.amdhsa_dx10_clamp 1
		.amdhsa_ieee_mode 1
		.amdhsa_fp16_overflow 0
		.amdhsa_workgroup_processor_mode 1
		.amdhsa_memory_ordered 1
		.amdhsa_forward_progress 1
		.amdhsa_shared_vgpr_count 0
		.amdhsa_exception_fp_ieee_invalid_op 0
		.amdhsa_exception_fp_denorm_src 0
		.amdhsa_exception_fp_ieee_div_zero 0
		.amdhsa_exception_fp_ieee_overflow 0
		.amdhsa_exception_fp_ieee_underflow 0
		.amdhsa_exception_fp_ieee_inexact 0
		.amdhsa_exception_int_div_zero 0
	.end_amdhsa_kernel
	.section	.text._ZN7rocprim17ROCPRIM_400000_NS6detail17trampoline_kernelINS0_14default_configENS1_22reduce_config_selectorIN6thrust23THRUST_200600_302600_NS5tupleIblNS6_9null_typeES8_S8_S8_S8_S8_S8_S8_EEEEZNS1_11reduce_implILb1ES3_NS6_12zip_iteratorINS7_INS6_11hip_rocprim26transform_input_iterator_tIbNSD_35transform_pair_of_input_iterators_tIbNS6_6detail15normal_iteratorINS6_10device_ptrIKyEEEESL_NS6_8equal_toIyEEEENSG_9not_fun_tINSD_8identityEEEEENSD_19counting_iterator_tIlEES8_S8_S8_S8_S8_S8_S8_S8_EEEEPS9_S9_NSD_9__find_if7functorIS9_EEEE10hipError_tPvRmT1_T2_T3_mT4_P12ihipStream_tbEUlT_E0_NS1_11comp_targetILNS1_3genE10ELNS1_11target_archE1201ELNS1_3gpuE5ELNS1_3repE0EEENS1_30default_config_static_selectorELNS0_4arch9wavefront6targetE0EEEvS14_,"axG",@progbits,_ZN7rocprim17ROCPRIM_400000_NS6detail17trampoline_kernelINS0_14default_configENS1_22reduce_config_selectorIN6thrust23THRUST_200600_302600_NS5tupleIblNS6_9null_typeES8_S8_S8_S8_S8_S8_S8_EEEEZNS1_11reduce_implILb1ES3_NS6_12zip_iteratorINS7_INS6_11hip_rocprim26transform_input_iterator_tIbNSD_35transform_pair_of_input_iterators_tIbNS6_6detail15normal_iteratorINS6_10device_ptrIKyEEEESL_NS6_8equal_toIyEEEENSG_9not_fun_tINSD_8identityEEEEENSD_19counting_iterator_tIlEES8_S8_S8_S8_S8_S8_S8_S8_EEEEPS9_S9_NSD_9__find_if7functorIS9_EEEE10hipError_tPvRmT1_T2_T3_mT4_P12ihipStream_tbEUlT_E0_NS1_11comp_targetILNS1_3genE10ELNS1_11target_archE1201ELNS1_3gpuE5ELNS1_3repE0EEENS1_30default_config_static_selectorELNS0_4arch9wavefront6targetE0EEEvS14_,comdat
.Lfunc_end119:
	.size	_ZN7rocprim17ROCPRIM_400000_NS6detail17trampoline_kernelINS0_14default_configENS1_22reduce_config_selectorIN6thrust23THRUST_200600_302600_NS5tupleIblNS6_9null_typeES8_S8_S8_S8_S8_S8_S8_EEEEZNS1_11reduce_implILb1ES3_NS6_12zip_iteratorINS7_INS6_11hip_rocprim26transform_input_iterator_tIbNSD_35transform_pair_of_input_iterators_tIbNS6_6detail15normal_iteratorINS6_10device_ptrIKyEEEESL_NS6_8equal_toIyEEEENSG_9not_fun_tINSD_8identityEEEEENSD_19counting_iterator_tIlEES8_S8_S8_S8_S8_S8_S8_S8_EEEEPS9_S9_NSD_9__find_if7functorIS9_EEEE10hipError_tPvRmT1_T2_T3_mT4_P12ihipStream_tbEUlT_E0_NS1_11comp_targetILNS1_3genE10ELNS1_11target_archE1201ELNS1_3gpuE5ELNS1_3repE0EEENS1_30default_config_static_selectorELNS0_4arch9wavefront6targetE0EEEvS14_, .Lfunc_end119-_ZN7rocprim17ROCPRIM_400000_NS6detail17trampoline_kernelINS0_14default_configENS1_22reduce_config_selectorIN6thrust23THRUST_200600_302600_NS5tupleIblNS6_9null_typeES8_S8_S8_S8_S8_S8_S8_EEEEZNS1_11reduce_implILb1ES3_NS6_12zip_iteratorINS7_INS6_11hip_rocprim26transform_input_iterator_tIbNSD_35transform_pair_of_input_iterators_tIbNS6_6detail15normal_iteratorINS6_10device_ptrIKyEEEESL_NS6_8equal_toIyEEEENSG_9not_fun_tINSD_8identityEEEEENSD_19counting_iterator_tIlEES8_S8_S8_S8_S8_S8_S8_S8_EEEEPS9_S9_NSD_9__find_if7functorIS9_EEEE10hipError_tPvRmT1_T2_T3_mT4_P12ihipStream_tbEUlT_E0_NS1_11comp_targetILNS1_3genE10ELNS1_11target_archE1201ELNS1_3gpuE5ELNS1_3repE0EEENS1_30default_config_static_selectorELNS0_4arch9wavefront6targetE0EEEvS14_
                                        ; -- End function
	.set _ZN7rocprim17ROCPRIM_400000_NS6detail17trampoline_kernelINS0_14default_configENS1_22reduce_config_selectorIN6thrust23THRUST_200600_302600_NS5tupleIblNS6_9null_typeES8_S8_S8_S8_S8_S8_S8_EEEEZNS1_11reduce_implILb1ES3_NS6_12zip_iteratorINS7_INS6_11hip_rocprim26transform_input_iterator_tIbNSD_35transform_pair_of_input_iterators_tIbNS6_6detail15normal_iteratorINS6_10device_ptrIKyEEEESL_NS6_8equal_toIyEEEENSG_9not_fun_tINSD_8identityEEEEENSD_19counting_iterator_tIlEES8_S8_S8_S8_S8_S8_S8_S8_EEEEPS9_S9_NSD_9__find_if7functorIS9_EEEE10hipError_tPvRmT1_T2_T3_mT4_P12ihipStream_tbEUlT_E0_NS1_11comp_targetILNS1_3genE10ELNS1_11target_archE1201ELNS1_3gpuE5ELNS1_3repE0EEENS1_30default_config_static_selectorELNS0_4arch9wavefront6targetE0EEEvS14_.num_vgpr, 0
	.set _ZN7rocprim17ROCPRIM_400000_NS6detail17trampoline_kernelINS0_14default_configENS1_22reduce_config_selectorIN6thrust23THRUST_200600_302600_NS5tupleIblNS6_9null_typeES8_S8_S8_S8_S8_S8_S8_EEEEZNS1_11reduce_implILb1ES3_NS6_12zip_iteratorINS7_INS6_11hip_rocprim26transform_input_iterator_tIbNSD_35transform_pair_of_input_iterators_tIbNS6_6detail15normal_iteratorINS6_10device_ptrIKyEEEESL_NS6_8equal_toIyEEEENSG_9not_fun_tINSD_8identityEEEEENSD_19counting_iterator_tIlEES8_S8_S8_S8_S8_S8_S8_S8_EEEEPS9_S9_NSD_9__find_if7functorIS9_EEEE10hipError_tPvRmT1_T2_T3_mT4_P12ihipStream_tbEUlT_E0_NS1_11comp_targetILNS1_3genE10ELNS1_11target_archE1201ELNS1_3gpuE5ELNS1_3repE0EEENS1_30default_config_static_selectorELNS0_4arch9wavefront6targetE0EEEvS14_.num_agpr, 0
	.set _ZN7rocprim17ROCPRIM_400000_NS6detail17trampoline_kernelINS0_14default_configENS1_22reduce_config_selectorIN6thrust23THRUST_200600_302600_NS5tupleIblNS6_9null_typeES8_S8_S8_S8_S8_S8_S8_EEEEZNS1_11reduce_implILb1ES3_NS6_12zip_iteratorINS7_INS6_11hip_rocprim26transform_input_iterator_tIbNSD_35transform_pair_of_input_iterators_tIbNS6_6detail15normal_iteratorINS6_10device_ptrIKyEEEESL_NS6_8equal_toIyEEEENSG_9not_fun_tINSD_8identityEEEEENSD_19counting_iterator_tIlEES8_S8_S8_S8_S8_S8_S8_S8_EEEEPS9_S9_NSD_9__find_if7functorIS9_EEEE10hipError_tPvRmT1_T2_T3_mT4_P12ihipStream_tbEUlT_E0_NS1_11comp_targetILNS1_3genE10ELNS1_11target_archE1201ELNS1_3gpuE5ELNS1_3repE0EEENS1_30default_config_static_selectorELNS0_4arch9wavefront6targetE0EEEvS14_.numbered_sgpr, 0
	.set _ZN7rocprim17ROCPRIM_400000_NS6detail17trampoline_kernelINS0_14default_configENS1_22reduce_config_selectorIN6thrust23THRUST_200600_302600_NS5tupleIblNS6_9null_typeES8_S8_S8_S8_S8_S8_S8_EEEEZNS1_11reduce_implILb1ES3_NS6_12zip_iteratorINS7_INS6_11hip_rocprim26transform_input_iterator_tIbNSD_35transform_pair_of_input_iterators_tIbNS6_6detail15normal_iteratorINS6_10device_ptrIKyEEEESL_NS6_8equal_toIyEEEENSG_9not_fun_tINSD_8identityEEEEENSD_19counting_iterator_tIlEES8_S8_S8_S8_S8_S8_S8_S8_EEEEPS9_S9_NSD_9__find_if7functorIS9_EEEE10hipError_tPvRmT1_T2_T3_mT4_P12ihipStream_tbEUlT_E0_NS1_11comp_targetILNS1_3genE10ELNS1_11target_archE1201ELNS1_3gpuE5ELNS1_3repE0EEENS1_30default_config_static_selectorELNS0_4arch9wavefront6targetE0EEEvS14_.num_named_barrier, 0
	.set _ZN7rocprim17ROCPRIM_400000_NS6detail17trampoline_kernelINS0_14default_configENS1_22reduce_config_selectorIN6thrust23THRUST_200600_302600_NS5tupleIblNS6_9null_typeES8_S8_S8_S8_S8_S8_S8_EEEEZNS1_11reduce_implILb1ES3_NS6_12zip_iteratorINS7_INS6_11hip_rocprim26transform_input_iterator_tIbNSD_35transform_pair_of_input_iterators_tIbNS6_6detail15normal_iteratorINS6_10device_ptrIKyEEEESL_NS6_8equal_toIyEEEENSG_9not_fun_tINSD_8identityEEEEENSD_19counting_iterator_tIlEES8_S8_S8_S8_S8_S8_S8_S8_EEEEPS9_S9_NSD_9__find_if7functorIS9_EEEE10hipError_tPvRmT1_T2_T3_mT4_P12ihipStream_tbEUlT_E0_NS1_11comp_targetILNS1_3genE10ELNS1_11target_archE1201ELNS1_3gpuE5ELNS1_3repE0EEENS1_30default_config_static_selectorELNS0_4arch9wavefront6targetE0EEEvS14_.private_seg_size, 0
	.set _ZN7rocprim17ROCPRIM_400000_NS6detail17trampoline_kernelINS0_14default_configENS1_22reduce_config_selectorIN6thrust23THRUST_200600_302600_NS5tupleIblNS6_9null_typeES8_S8_S8_S8_S8_S8_S8_EEEEZNS1_11reduce_implILb1ES3_NS6_12zip_iteratorINS7_INS6_11hip_rocprim26transform_input_iterator_tIbNSD_35transform_pair_of_input_iterators_tIbNS6_6detail15normal_iteratorINS6_10device_ptrIKyEEEESL_NS6_8equal_toIyEEEENSG_9not_fun_tINSD_8identityEEEEENSD_19counting_iterator_tIlEES8_S8_S8_S8_S8_S8_S8_S8_EEEEPS9_S9_NSD_9__find_if7functorIS9_EEEE10hipError_tPvRmT1_T2_T3_mT4_P12ihipStream_tbEUlT_E0_NS1_11comp_targetILNS1_3genE10ELNS1_11target_archE1201ELNS1_3gpuE5ELNS1_3repE0EEENS1_30default_config_static_selectorELNS0_4arch9wavefront6targetE0EEEvS14_.uses_vcc, 0
	.set _ZN7rocprim17ROCPRIM_400000_NS6detail17trampoline_kernelINS0_14default_configENS1_22reduce_config_selectorIN6thrust23THRUST_200600_302600_NS5tupleIblNS6_9null_typeES8_S8_S8_S8_S8_S8_S8_EEEEZNS1_11reduce_implILb1ES3_NS6_12zip_iteratorINS7_INS6_11hip_rocprim26transform_input_iterator_tIbNSD_35transform_pair_of_input_iterators_tIbNS6_6detail15normal_iteratorINS6_10device_ptrIKyEEEESL_NS6_8equal_toIyEEEENSG_9not_fun_tINSD_8identityEEEEENSD_19counting_iterator_tIlEES8_S8_S8_S8_S8_S8_S8_S8_EEEEPS9_S9_NSD_9__find_if7functorIS9_EEEE10hipError_tPvRmT1_T2_T3_mT4_P12ihipStream_tbEUlT_E0_NS1_11comp_targetILNS1_3genE10ELNS1_11target_archE1201ELNS1_3gpuE5ELNS1_3repE0EEENS1_30default_config_static_selectorELNS0_4arch9wavefront6targetE0EEEvS14_.uses_flat_scratch, 0
	.set _ZN7rocprim17ROCPRIM_400000_NS6detail17trampoline_kernelINS0_14default_configENS1_22reduce_config_selectorIN6thrust23THRUST_200600_302600_NS5tupleIblNS6_9null_typeES8_S8_S8_S8_S8_S8_S8_EEEEZNS1_11reduce_implILb1ES3_NS6_12zip_iteratorINS7_INS6_11hip_rocprim26transform_input_iterator_tIbNSD_35transform_pair_of_input_iterators_tIbNS6_6detail15normal_iteratorINS6_10device_ptrIKyEEEESL_NS6_8equal_toIyEEEENSG_9not_fun_tINSD_8identityEEEEENSD_19counting_iterator_tIlEES8_S8_S8_S8_S8_S8_S8_S8_EEEEPS9_S9_NSD_9__find_if7functorIS9_EEEE10hipError_tPvRmT1_T2_T3_mT4_P12ihipStream_tbEUlT_E0_NS1_11comp_targetILNS1_3genE10ELNS1_11target_archE1201ELNS1_3gpuE5ELNS1_3repE0EEENS1_30default_config_static_selectorELNS0_4arch9wavefront6targetE0EEEvS14_.has_dyn_sized_stack, 0
	.set _ZN7rocprim17ROCPRIM_400000_NS6detail17trampoline_kernelINS0_14default_configENS1_22reduce_config_selectorIN6thrust23THRUST_200600_302600_NS5tupleIblNS6_9null_typeES8_S8_S8_S8_S8_S8_S8_EEEEZNS1_11reduce_implILb1ES3_NS6_12zip_iteratorINS7_INS6_11hip_rocprim26transform_input_iterator_tIbNSD_35transform_pair_of_input_iterators_tIbNS6_6detail15normal_iteratorINS6_10device_ptrIKyEEEESL_NS6_8equal_toIyEEEENSG_9not_fun_tINSD_8identityEEEEENSD_19counting_iterator_tIlEES8_S8_S8_S8_S8_S8_S8_S8_EEEEPS9_S9_NSD_9__find_if7functorIS9_EEEE10hipError_tPvRmT1_T2_T3_mT4_P12ihipStream_tbEUlT_E0_NS1_11comp_targetILNS1_3genE10ELNS1_11target_archE1201ELNS1_3gpuE5ELNS1_3repE0EEENS1_30default_config_static_selectorELNS0_4arch9wavefront6targetE0EEEvS14_.has_recursion, 0
	.set _ZN7rocprim17ROCPRIM_400000_NS6detail17trampoline_kernelINS0_14default_configENS1_22reduce_config_selectorIN6thrust23THRUST_200600_302600_NS5tupleIblNS6_9null_typeES8_S8_S8_S8_S8_S8_S8_EEEEZNS1_11reduce_implILb1ES3_NS6_12zip_iteratorINS7_INS6_11hip_rocprim26transform_input_iterator_tIbNSD_35transform_pair_of_input_iterators_tIbNS6_6detail15normal_iteratorINS6_10device_ptrIKyEEEESL_NS6_8equal_toIyEEEENSG_9not_fun_tINSD_8identityEEEEENSD_19counting_iterator_tIlEES8_S8_S8_S8_S8_S8_S8_S8_EEEEPS9_S9_NSD_9__find_if7functorIS9_EEEE10hipError_tPvRmT1_T2_T3_mT4_P12ihipStream_tbEUlT_E0_NS1_11comp_targetILNS1_3genE10ELNS1_11target_archE1201ELNS1_3gpuE5ELNS1_3repE0EEENS1_30default_config_static_selectorELNS0_4arch9wavefront6targetE0EEEvS14_.has_indirect_call, 0
	.section	.AMDGPU.csdata,"",@progbits
; Kernel info:
; codeLenInByte = 0
; TotalNumSgprs: 0
; NumVgprs: 0
; ScratchSize: 0
; MemoryBound: 0
; FloatMode: 240
; IeeeMode: 1
; LDSByteSize: 0 bytes/workgroup (compile time only)
; SGPRBlocks: 0
; VGPRBlocks: 0
; NumSGPRsForWavesPerEU: 1
; NumVGPRsForWavesPerEU: 1
; Occupancy: 16
; WaveLimiterHint : 0
; COMPUTE_PGM_RSRC2:SCRATCH_EN: 0
; COMPUTE_PGM_RSRC2:USER_SGPR: 6
; COMPUTE_PGM_RSRC2:TRAP_HANDLER: 0
; COMPUTE_PGM_RSRC2:TGID_X_EN: 1
; COMPUTE_PGM_RSRC2:TGID_Y_EN: 0
; COMPUTE_PGM_RSRC2:TGID_Z_EN: 0
; COMPUTE_PGM_RSRC2:TIDIG_COMP_CNT: 0
	.section	.text._ZN7rocprim17ROCPRIM_400000_NS6detail17trampoline_kernelINS0_14default_configENS1_22reduce_config_selectorIN6thrust23THRUST_200600_302600_NS5tupleIblNS6_9null_typeES8_S8_S8_S8_S8_S8_S8_EEEEZNS1_11reduce_implILb1ES3_NS6_12zip_iteratorINS7_INS6_11hip_rocprim26transform_input_iterator_tIbNSD_35transform_pair_of_input_iterators_tIbNS6_6detail15normal_iteratorINS6_10device_ptrIKyEEEESL_NS6_8equal_toIyEEEENSG_9not_fun_tINSD_8identityEEEEENSD_19counting_iterator_tIlEES8_S8_S8_S8_S8_S8_S8_S8_EEEEPS9_S9_NSD_9__find_if7functorIS9_EEEE10hipError_tPvRmT1_T2_T3_mT4_P12ihipStream_tbEUlT_E0_NS1_11comp_targetILNS1_3genE10ELNS1_11target_archE1200ELNS1_3gpuE4ELNS1_3repE0EEENS1_30default_config_static_selectorELNS0_4arch9wavefront6targetE0EEEvS14_,"axG",@progbits,_ZN7rocprim17ROCPRIM_400000_NS6detail17trampoline_kernelINS0_14default_configENS1_22reduce_config_selectorIN6thrust23THRUST_200600_302600_NS5tupleIblNS6_9null_typeES8_S8_S8_S8_S8_S8_S8_EEEEZNS1_11reduce_implILb1ES3_NS6_12zip_iteratorINS7_INS6_11hip_rocprim26transform_input_iterator_tIbNSD_35transform_pair_of_input_iterators_tIbNS6_6detail15normal_iteratorINS6_10device_ptrIKyEEEESL_NS6_8equal_toIyEEEENSG_9not_fun_tINSD_8identityEEEEENSD_19counting_iterator_tIlEES8_S8_S8_S8_S8_S8_S8_S8_EEEEPS9_S9_NSD_9__find_if7functorIS9_EEEE10hipError_tPvRmT1_T2_T3_mT4_P12ihipStream_tbEUlT_E0_NS1_11comp_targetILNS1_3genE10ELNS1_11target_archE1200ELNS1_3gpuE4ELNS1_3repE0EEENS1_30default_config_static_selectorELNS0_4arch9wavefront6targetE0EEEvS14_,comdat
	.protected	_ZN7rocprim17ROCPRIM_400000_NS6detail17trampoline_kernelINS0_14default_configENS1_22reduce_config_selectorIN6thrust23THRUST_200600_302600_NS5tupleIblNS6_9null_typeES8_S8_S8_S8_S8_S8_S8_EEEEZNS1_11reduce_implILb1ES3_NS6_12zip_iteratorINS7_INS6_11hip_rocprim26transform_input_iterator_tIbNSD_35transform_pair_of_input_iterators_tIbNS6_6detail15normal_iteratorINS6_10device_ptrIKyEEEESL_NS6_8equal_toIyEEEENSG_9not_fun_tINSD_8identityEEEEENSD_19counting_iterator_tIlEES8_S8_S8_S8_S8_S8_S8_S8_EEEEPS9_S9_NSD_9__find_if7functorIS9_EEEE10hipError_tPvRmT1_T2_T3_mT4_P12ihipStream_tbEUlT_E0_NS1_11comp_targetILNS1_3genE10ELNS1_11target_archE1200ELNS1_3gpuE4ELNS1_3repE0EEENS1_30default_config_static_selectorELNS0_4arch9wavefront6targetE0EEEvS14_ ; -- Begin function _ZN7rocprim17ROCPRIM_400000_NS6detail17trampoline_kernelINS0_14default_configENS1_22reduce_config_selectorIN6thrust23THRUST_200600_302600_NS5tupleIblNS6_9null_typeES8_S8_S8_S8_S8_S8_S8_EEEEZNS1_11reduce_implILb1ES3_NS6_12zip_iteratorINS7_INS6_11hip_rocprim26transform_input_iterator_tIbNSD_35transform_pair_of_input_iterators_tIbNS6_6detail15normal_iteratorINS6_10device_ptrIKyEEEESL_NS6_8equal_toIyEEEENSG_9not_fun_tINSD_8identityEEEEENSD_19counting_iterator_tIlEES8_S8_S8_S8_S8_S8_S8_S8_EEEEPS9_S9_NSD_9__find_if7functorIS9_EEEE10hipError_tPvRmT1_T2_T3_mT4_P12ihipStream_tbEUlT_E0_NS1_11comp_targetILNS1_3genE10ELNS1_11target_archE1200ELNS1_3gpuE4ELNS1_3repE0EEENS1_30default_config_static_selectorELNS0_4arch9wavefront6targetE0EEEvS14_
	.globl	_ZN7rocprim17ROCPRIM_400000_NS6detail17trampoline_kernelINS0_14default_configENS1_22reduce_config_selectorIN6thrust23THRUST_200600_302600_NS5tupleIblNS6_9null_typeES8_S8_S8_S8_S8_S8_S8_EEEEZNS1_11reduce_implILb1ES3_NS6_12zip_iteratorINS7_INS6_11hip_rocprim26transform_input_iterator_tIbNSD_35transform_pair_of_input_iterators_tIbNS6_6detail15normal_iteratorINS6_10device_ptrIKyEEEESL_NS6_8equal_toIyEEEENSG_9not_fun_tINSD_8identityEEEEENSD_19counting_iterator_tIlEES8_S8_S8_S8_S8_S8_S8_S8_EEEEPS9_S9_NSD_9__find_if7functorIS9_EEEE10hipError_tPvRmT1_T2_T3_mT4_P12ihipStream_tbEUlT_E0_NS1_11comp_targetILNS1_3genE10ELNS1_11target_archE1200ELNS1_3gpuE4ELNS1_3repE0EEENS1_30default_config_static_selectorELNS0_4arch9wavefront6targetE0EEEvS14_
	.p2align	8
	.type	_ZN7rocprim17ROCPRIM_400000_NS6detail17trampoline_kernelINS0_14default_configENS1_22reduce_config_selectorIN6thrust23THRUST_200600_302600_NS5tupleIblNS6_9null_typeES8_S8_S8_S8_S8_S8_S8_EEEEZNS1_11reduce_implILb1ES3_NS6_12zip_iteratorINS7_INS6_11hip_rocprim26transform_input_iterator_tIbNSD_35transform_pair_of_input_iterators_tIbNS6_6detail15normal_iteratorINS6_10device_ptrIKyEEEESL_NS6_8equal_toIyEEEENSG_9not_fun_tINSD_8identityEEEEENSD_19counting_iterator_tIlEES8_S8_S8_S8_S8_S8_S8_S8_EEEEPS9_S9_NSD_9__find_if7functorIS9_EEEE10hipError_tPvRmT1_T2_T3_mT4_P12ihipStream_tbEUlT_E0_NS1_11comp_targetILNS1_3genE10ELNS1_11target_archE1200ELNS1_3gpuE4ELNS1_3repE0EEENS1_30default_config_static_selectorELNS0_4arch9wavefront6targetE0EEEvS14_,@function
_ZN7rocprim17ROCPRIM_400000_NS6detail17trampoline_kernelINS0_14default_configENS1_22reduce_config_selectorIN6thrust23THRUST_200600_302600_NS5tupleIblNS6_9null_typeES8_S8_S8_S8_S8_S8_S8_EEEEZNS1_11reduce_implILb1ES3_NS6_12zip_iteratorINS7_INS6_11hip_rocprim26transform_input_iterator_tIbNSD_35transform_pair_of_input_iterators_tIbNS6_6detail15normal_iteratorINS6_10device_ptrIKyEEEESL_NS6_8equal_toIyEEEENSG_9not_fun_tINSD_8identityEEEEENSD_19counting_iterator_tIlEES8_S8_S8_S8_S8_S8_S8_S8_EEEEPS9_S9_NSD_9__find_if7functorIS9_EEEE10hipError_tPvRmT1_T2_T3_mT4_P12ihipStream_tbEUlT_E0_NS1_11comp_targetILNS1_3genE10ELNS1_11target_archE1200ELNS1_3gpuE4ELNS1_3repE0EEENS1_30default_config_static_selectorELNS0_4arch9wavefront6targetE0EEEvS14_: ; @_ZN7rocprim17ROCPRIM_400000_NS6detail17trampoline_kernelINS0_14default_configENS1_22reduce_config_selectorIN6thrust23THRUST_200600_302600_NS5tupleIblNS6_9null_typeES8_S8_S8_S8_S8_S8_S8_EEEEZNS1_11reduce_implILb1ES3_NS6_12zip_iteratorINS7_INS6_11hip_rocprim26transform_input_iterator_tIbNSD_35transform_pair_of_input_iterators_tIbNS6_6detail15normal_iteratorINS6_10device_ptrIKyEEEESL_NS6_8equal_toIyEEEENSG_9not_fun_tINSD_8identityEEEEENSD_19counting_iterator_tIlEES8_S8_S8_S8_S8_S8_S8_S8_EEEEPS9_S9_NSD_9__find_if7functorIS9_EEEE10hipError_tPvRmT1_T2_T3_mT4_P12ihipStream_tbEUlT_E0_NS1_11comp_targetILNS1_3genE10ELNS1_11target_archE1200ELNS1_3gpuE4ELNS1_3repE0EEENS1_30default_config_static_selectorELNS0_4arch9wavefront6targetE0EEEvS14_
; %bb.0:
	.section	.rodata,"a",@progbits
	.p2align	6, 0x0
	.amdhsa_kernel _ZN7rocprim17ROCPRIM_400000_NS6detail17trampoline_kernelINS0_14default_configENS1_22reduce_config_selectorIN6thrust23THRUST_200600_302600_NS5tupleIblNS6_9null_typeES8_S8_S8_S8_S8_S8_S8_EEEEZNS1_11reduce_implILb1ES3_NS6_12zip_iteratorINS7_INS6_11hip_rocprim26transform_input_iterator_tIbNSD_35transform_pair_of_input_iterators_tIbNS6_6detail15normal_iteratorINS6_10device_ptrIKyEEEESL_NS6_8equal_toIyEEEENSG_9not_fun_tINSD_8identityEEEEENSD_19counting_iterator_tIlEES8_S8_S8_S8_S8_S8_S8_S8_EEEEPS9_S9_NSD_9__find_if7functorIS9_EEEE10hipError_tPvRmT1_T2_T3_mT4_P12ihipStream_tbEUlT_E0_NS1_11comp_targetILNS1_3genE10ELNS1_11target_archE1200ELNS1_3gpuE4ELNS1_3repE0EEENS1_30default_config_static_selectorELNS0_4arch9wavefront6targetE0EEEvS14_
		.amdhsa_group_segment_fixed_size 0
		.amdhsa_private_segment_fixed_size 0
		.amdhsa_kernarg_size 104
		.amdhsa_user_sgpr_count 6
		.amdhsa_user_sgpr_private_segment_buffer 1
		.amdhsa_user_sgpr_dispatch_ptr 0
		.amdhsa_user_sgpr_queue_ptr 0
		.amdhsa_user_sgpr_kernarg_segment_ptr 1
		.amdhsa_user_sgpr_dispatch_id 0
		.amdhsa_user_sgpr_flat_scratch_init 0
		.amdhsa_user_sgpr_private_segment_size 0
		.amdhsa_wavefront_size32 1
		.amdhsa_uses_dynamic_stack 0
		.amdhsa_system_sgpr_private_segment_wavefront_offset 0
		.amdhsa_system_sgpr_workgroup_id_x 1
		.amdhsa_system_sgpr_workgroup_id_y 0
		.amdhsa_system_sgpr_workgroup_id_z 0
		.amdhsa_system_sgpr_workgroup_info 0
		.amdhsa_system_vgpr_workitem_id 0
		.amdhsa_next_free_vgpr 1
		.amdhsa_next_free_sgpr 1
		.amdhsa_reserve_vcc 0
		.amdhsa_reserve_flat_scratch 0
		.amdhsa_float_round_mode_32 0
		.amdhsa_float_round_mode_16_64 0
		.amdhsa_float_denorm_mode_32 3
		.amdhsa_float_denorm_mode_16_64 3
		.amdhsa_dx10_clamp 1
		.amdhsa_ieee_mode 1
		.amdhsa_fp16_overflow 0
		.amdhsa_workgroup_processor_mode 1
		.amdhsa_memory_ordered 1
		.amdhsa_forward_progress 1
		.amdhsa_shared_vgpr_count 0
		.amdhsa_exception_fp_ieee_invalid_op 0
		.amdhsa_exception_fp_denorm_src 0
		.amdhsa_exception_fp_ieee_div_zero 0
		.amdhsa_exception_fp_ieee_overflow 0
		.amdhsa_exception_fp_ieee_underflow 0
		.amdhsa_exception_fp_ieee_inexact 0
		.amdhsa_exception_int_div_zero 0
	.end_amdhsa_kernel
	.section	.text._ZN7rocprim17ROCPRIM_400000_NS6detail17trampoline_kernelINS0_14default_configENS1_22reduce_config_selectorIN6thrust23THRUST_200600_302600_NS5tupleIblNS6_9null_typeES8_S8_S8_S8_S8_S8_S8_EEEEZNS1_11reduce_implILb1ES3_NS6_12zip_iteratorINS7_INS6_11hip_rocprim26transform_input_iterator_tIbNSD_35transform_pair_of_input_iterators_tIbNS6_6detail15normal_iteratorINS6_10device_ptrIKyEEEESL_NS6_8equal_toIyEEEENSG_9not_fun_tINSD_8identityEEEEENSD_19counting_iterator_tIlEES8_S8_S8_S8_S8_S8_S8_S8_EEEEPS9_S9_NSD_9__find_if7functorIS9_EEEE10hipError_tPvRmT1_T2_T3_mT4_P12ihipStream_tbEUlT_E0_NS1_11comp_targetILNS1_3genE10ELNS1_11target_archE1200ELNS1_3gpuE4ELNS1_3repE0EEENS1_30default_config_static_selectorELNS0_4arch9wavefront6targetE0EEEvS14_,"axG",@progbits,_ZN7rocprim17ROCPRIM_400000_NS6detail17trampoline_kernelINS0_14default_configENS1_22reduce_config_selectorIN6thrust23THRUST_200600_302600_NS5tupleIblNS6_9null_typeES8_S8_S8_S8_S8_S8_S8_EEEEZNS1_11reduce_implILb1ES3_NS6_12zip_iteratorINS7_INS6_11hip_rocprim26transform_input_iterator_tIbNSD_35transform_pair_of_input_iterators_tIbNS6_6detail15normal_iteratorINS6_10device_ptrIKyEEEESL_NS6_8equal_toIyEEEENSG_9not_fun_tINSD_8identityEEEEENSD_19counting_iterator_tIlEES8_S8_S8_S8_S8_S8_S8_S8_EEEEPS9_S9_NSD_9__find_if7functorIS9_EEEE10hipError_tPvRmT1_T2_T3_mT4_P12ihipStream_tbEUlT_E0_NS1_11comp_targetILNS1_3genE10ELNS1_11target_archE1200ELNS1_3gpuE4ELNS1_3repE0EEENS1_30default_config_static_selectorELNS0_4arch9wavefront6targetE0EEEvS14_,comdat
.Lfunc_end120:
	.size	_ZN7rocprim17ROCPRIM_400000_NS6detail17trampoline_kernelINS0_14default_configENS1_22reduce_config_selectorIN6thrust23THRUST_200600_302600_NS5tupleIblNS6_9null_typeES8_S8_S8_S8_S8_S8_S8_EEEEZNS1_11reduce_implILb1ES3_NS6_12zip_iteratorINS7_INS6_11hip_rocprim26transform_input_iterator_tIbNSD_35transform_pair_of_input_iterators_tIbNS6_6detail15normal_iteratorINS6_10device_ptrIKyEEEESL_NS6_8equal_toIyEEEENSG_9not_fun_tINSD_8identityEEEEENSD_19counting_iterator_tIlEES8_S8_S8_S8_S8_S8_S8_S8_EEEEPS9_S9_NSD_9__find_if7functorIS9_EEEE10hipError_tPvRmT1_T2_T3_mT4_P12ihipStream_tbEUlT_E0_NS1_11comp_targetILNS1_3genE10ELNS1_11target_archE1200ELNS1_3gpuE4ELNS1_3repE0EEENS1_30default_config_static_selectorELNS0_4arch9wavefront6targetE0EEEvS14_, .Lfunc_end120-_ZN7rocprim17ROCPRIM_400000_NS6detail17trampoline_kernelINS0_14default_configENS1_22reduce_config_selectorIN6thrust23THRUST_200600_302600_NS5tupleIblNS6_9null_typeES8_S8_S8_S8_S8_S8_S8_EEEEZNS1_11reduce_implILb1ES3_NS6_12zip_iteratorINS7_INS6_11hip_rocprim26transform_input_iterator_tIbNSD_35transform_pair_of_input_iterators_tIbNS6_6detail15normal_iteratorINS6_10device_ptrIKyEEEESL_NS6_8equal_toIyEEEENSG_9not_fun_tINSD_8identityEEEEENSD_19counting_iterator_tIlEES8_S8_S8_S8_S8_S8_S8_S8_EEEEPS9_S9_NSD_9__find_if7functorIS9_EEEE10hipError_tPvRmT1_T2_T3_mT4_P12ihipStream_tbEUlT_E0_NS1_11comp_targetILNS1_3genE10ELNS1_11target_archE1200ELNS1_3gpuE4ELNS1_3repE0EEENS1_30default_config_static_selectorELNS0_4arch9wavefront6targetE0EEEvS14_
                                        ; -- End function
	.set _ZN7rocprim17ROCPRIM_400000_NS6detail17trampoline_kernelINS0_14default_configENS1_22reduce_config_selectorIN6thrust23THRUST_200600_302600_NS5tupleIblNS6_9null_typeES8_S8_S8_S8_S8_S8_S8_EEEEZNS1_11reduce_implILb1ES3_NS6_12zip_iteratorINS7_INS6_11hip_rocprim26transform_input_iterator_tIbNSD_35transform_pair_of_input_iterators_tIbNS6_6detail15normal_iteratorINS6_10device_ptrIKyEEEESL_NS6_8equal_toIyEEEENSG_9not_fun_tINSD_8identityEEEEENSD_19counting_iterator_tIlEES8_S8_S8_S8_S8_S8_S8_S8_EEEEPS9_S9_NSD_9__find_if7functorIS9_EEEE10hipError_tPvRmT1_T2_T3_mT4_P12ihipStream_tbEUlT_E0_NS1_11comp_targetILNS1_3genE10ELNS1_11target_archE1200ELNS1_3gpuE4ELNS1_3repE0EEENS1_30default_config_static_selectorELNS0_4arch9wavefront6targetE0EEEvS14_.num_vgpr, 0
	.set _ZN7rocprim17ROCPRIM_400000_NS6detail17trampoline_kernelINS0_14default_configENS1_22reduce_config_selectorIN6thrust23THRUST_200600_302600_NS5tupleIblNS6_9null_typeES8_S8_S8_S8_S8_S8_S8_EEEEZNS1_11reduce_implILb1ES3_NS6_12zip_iteratorINS7_INS6_11hip_rocprim26transform_input_iterator_tIbNSD_35transform_pair_of_input_iterators_tIbNS6_6detail15normal_iteratorINS6_10device_ptrIKyEEEESL_NS6_8equal_toIyEEEENSG_9not_fun_tINSD_8identityEEEEENSD_19counting_iterator_tIlEES8_S8_S8_S8_S8_S8_S8_S8_EEEEPS9_S9_NSD_9__find_if7functorIS9_EEEE10hipError_tPvRmT1_T2_T3_mT4_P12ihipStream_tbEUlT_E0_NS1_11comp_targetILNS1_3genE10ELNS1_11target_archE1200ELNS1_3gpuE4ELNS1_3repE0EEENS1_30default_config_static_selectorELNS0_4arch9wavefront6targetE0EEEvS14_.num_agpr, 0
	.set _ZN7rocprim17ROCPRIM_400000_NS6detail17trampoline_kernelINS0_14default_configENS1_22reduce_config_selectorIN6thrust23THRUST_200600_302600_NS5tupleIblNS6_9null_typeES8_S8_S8_S8_S8_S8_S8_EEEEZNS1_11reduce_implILb1ES3_NS6_12zip_iteratorINS7_INS6_11hip_rocprim26transform_input_iterator_tIbNSD_35transform_pair_of_input_iterators_tIbNS6_6detail15normal_iteratorINS6_10device_ptrIKyEEEESL_NS6_8equal_toIyEEEENSG_9not_fun_tINSD_8identityEEEEENSD_19counting_iterator_tIlEES8_S8_S8_S8_S8_S8_S8_S8_EEEEPS9_S9_NSD_9__find_if7functorIS9_EEEE10hipError_tPvRmT1_T2_T3_mT4_P12ihipStream_tbEUlT_E0_NS1_11comp_targetILNS1_3genE10ELNS1_11target_archE1200ELNS1_3gpuE4ELNS1_3repE0EEENS1_30default_config_static_selectorELNS0_4arch9wavefront6targetE0EEEvS14_.numbered_sgpr, 0
	.set _ZN7rocprim17ROCPRIM_400000_NS6detail17trampoline_kernelINS0_14default_configENS1_22reduce_config_selectorIN6thrust23THRUST_200600_302600_NS5tupleIblNS6_9null_typeES8_S8_S8_S8_S8_S8_S8_EEEEZNS1_11reduce_implILb1ES3_NS6_12zip_iteratorINS7_INS6_11hip_rocprim26transform_input_iterator_tIbNSD_35transform_pair_of_input_iterators_tIbNS6_6detail15normal_iteratorINS6_10device_ptrIKyEEEESL_NS6_8equal_toIyEEEENSG_9not_fun_tINSD_8identityEEEEENSD_19counting_iterator_tIlEES8_S8_S8_S8_S8_S8_S8_S8_EEEEPS9_S9_NSD_9__find_if7functorIS9_EEEE10hipError_tPvRmT1_T2_T3_mT4_P12ihipStream_tbEUlT_E0_NS1_11comp_targetILNS1_3genE10ELNS1_11target_archE1200ELNS1_3gpuE4ELNS1_3repE0EEENS1_30default_config_static_selectorELNS0_4arch9wavefront6targetE0EEEvS14_.num_named_barrier, 0
	.set _ZN7rocprim17ROCPRIM_400000_NS6detail17trampoline_kernelINS0_14default_configENS1_22reduce_config_selectorIN6thrust23THRUST_200600_302600_NS5tupleIblNS6_9null_typeES8_S8_S8_S8_S8_S8_S8_EEEEZNS1_11reduce_implILb1ES3_NS6_12zip_iteratorINS7_INS6_11hip_rocprim26transform_input_iterator_tIbNSD_35transform_pair_of_input_iterators_tIbNS6_6detail15normal_iteratorINS6_10device_ptrIKyEEEESL_NS6_8equal_toIyEEEENSG_9not_fun_tINSD_8identityEEEEENSD_19counting_iterator_tIlEES8_S8_S8_S8_S8_S8_S8_S8_EEEEPS9_S9_NSD_9__find_if7functorIS9_EEEE10hipError_tPvRmT1_T2_T3_mT4_P12ihipStream_tbEUlT_E0_NS1_11comp_targetILNS1_3genE10ELNS1_11target_archE1200ELNS1_3gpuE4ELNS1_3repE0EEENS1_30default_config_static_selectorELNS0_4arch9wavefront6targetE0EEEvS14_.private_seg_size, 0
	.set _ZN7rocprim17ROCPRIM_400000_NS6detail17trampoline_kernelINS0_14default_configENS1_22reduce_config_selectorIN6thrust23THRUST_200600_302600_NS5tupleIblNS6_9null_typeES8_S8_S8_S8_S8_S8_S8_EEEEZNS1_11reduce_implILb1ES3_NS6_12zip_iteratorINS7_INS6_11hip_rocprim26transform_input_iterator_tIbNSD_35transform_pair_of_input_iterators_tIbNS6_6detail15normal_iteratorINS6_10device_ptrIKyEEEESL_NS6_8equal_toIyEEEENSG_9not_fun_tINSD_8identityEEEEENSD_19counting_iterator_tIlEES8_S8_S8_S8_S8_S8_S8_S8_EEEEPS9_S9_NSD_9__find_if7functorIS9_EEEE10hipError_tPvRmT1_T2_T3_mT4_P12ihipStream_tbEUlT_E0_NS1_11comp_targetILNS1_3genE10ELNS1_11target_archE1200ELNS1_3gpuE4ELNS1_3repE0EEENS1_30default_config_static_selectorELNS0_4arch9wavefront6targetE0EEEvS14_.uses_vcc, 0
	.set _ZN7rocprim17ROCPRIM_400000_NS6detail17trampoline_kernelINS0_14default_configENS1_22reduce_config_selectorIN6thrust23THRUST_200600_302600_NS5tupleIblNS6_9null_typeES8_S8_S8_S8_S8_S8_S8_EEEEZNS1_11reduce_implILb1ES3_NS6_12zip_iteratorINS7_INS6_11hip_rocprim26transform_input_iterator_tIbNSD_35transform_pair_of_input_iterators_tIbNS6_6detail15normal_iteratorINS6_10device_ptrIKyEEEESL_NS6_8equal_toIyEEEENSG_9not_fun_tINSD_8identityEEEEENSD_19counting_iterator_tIlEES8_S8_S8_S8_S8_S8_S8_S8_EEEEPS9_S9_NSD_9__find_if7functorIS9_EEEE10hipError_tPvRmT1_T2_T3_mT4_P12ihipStream_tbEUlT_E0_NS1_11comp_targetILNS1_3genE10ELNS1_11target_archE1200ELNS1_3gpuE4ELNS1_3repE0EEENS1_30default_config_static_selectorELNS0_4arch9wavefront6targetE0EEEvS14_.uses_flat_scratch, 0
	.set _ZN7rocprim17ROCPRIM_400000_NS6detail17trampoline_kernelINS0_14default_configENS1_22reduce_config_selectorIN6thrust23THRUST_200600_302600_NS5tupleIblNS6_9null_typeES8_S8_S8_S8_S8_S8_S8_EEEEZNS1_11reduce_implILb1ES3_NS6_12zip_iteratorINS7_INS6_11hip_rocprim26transform_input_iterator_tIbNSD_35transform_pair_of_input_iterators_tIbNS6_6detail15normal_iteratorINS6_10device_ptrIKyEEEESL_NS6_8equal_toIyEEEENSG_9not_fun_tINSD_8identityEEEEENSD_19counting_iterator_tIlEES8_S8_S8_S8_S8_S8_S8_S8_EEEEPS9_S9_NSD_9__find_if7functorIS9_EEEE10hipError_tPvRmT1_T2_T3_mT4_P12ihipStream_tbEUlT_E0_NS1_11comp_targetILNS1_3genE10ELNS1_11target_archE1200ELNS1_3gpuE4ELNS1_3repE0EEENS1_30default_config_static_selectorELNS0_4arch9wavefront6targetE0EEEvS14_.has_dyn_sized_stack, 0
	.set _ZN7rocprim17ROCPRIM_400000_NS6detail17trampoline_kernelINS0_14default_configENS1_22reduce_config_selectorIN6thrust23THRUST_200600_302600_NS5tupleIblNS6_9null_typeES8_S8_S8_S8_S8_S8_S8_EEEEZNS1_11reduce_implILb1ES3_NS6_12zip_iteratorINS7_INS6_11hip_rocprim26transform_input_iterator_tIbNSD_35transform_pair_of_input_iterators_tIbNS6_6detail15normal_iteratorINS6_10device_ptrIKyEEEESL_NS6_8equal_toIyEEEENSG_9not_fun_tINSD_8identityEEEEENSD_19counting_iterator_tIlEES8_S8_S8_S8_S8_S8_S8_S8_EEEEPS9_S9_NSD_9__find_if7functorIS9_EEEE10hipError_tPvRmT1_T2_T3_mT4_P12ihipStream_tbEUlT_E0_NS1_11comp_targetILNS1_3genE10ELNS1_11target_archE1200ELNS1_3gpuE4ELNS1_3repE0EEENS1_30default_config_static_selectorELNS0_4arch9wavefront6targetE0EEEvS14_.has_recursion, 0
	.set _ZN7rocprim17ROCPRIM_400000_NS6detail17trampoline_kernelINS0_14default_configENS1_22reduce_config_selectorIN6thrust23THRUST_200600_302600_NS5tupleIblNS6_9null_typeES8_S8_S8_S8_S8_S8_S8_EEEEZNS1_11reduce_implILb1ES3_NS6_12zip_iteratorINS7_INS6_11hip_rocprim26transform_input_iterator_tIbNSD_35transform_pair_of_input_iterators_tIbNS6_6detail15normal_iteratorINS6_10device_ptrIKyEEEESL_NS6_8equal_toIyEEEENSG_9not_fun_tINSD_8identityEEEEENSD_19counting_iterator_tIlEES8_S8_S8_S8_S8_S8_S8_S8_EEEEPS9_S9_NSD_9__find_if7functorIS9_EEEE10hipError_tPvRmT1_T2_T3_mT4_P12ihipStream_tbEUlT_E0_NS1_11comp_targetILNS1_3genE10ELNS1_11target_archE1200ELNS1_3gpuE4ELNS1_3repE0EEENS1_30default_config_static_selectorELNS0_4arch9wavefront6targetE0EEEvS14_.has_indirect_call, 0
	.section	.AMDGPU.csdata,"",@progbits
; Kernel info:
; codeLenInByte = 0
; TotalNumSgprs: 0
; NumVgprs: 0
; ScratchSize: 0
; MemoryBound: 0
; FloatMode: 240
; IeeeMode: 1
; LDSByteSize: 0 bytes/workgroup (compile time only)
; SGPRBlocks: 0
; VGPRBlocks: 0
; NumSGPRsForWavesPerEU: 1
; NumVGPRsForWavesPerEU: 1
; Occupancy: 16
; WaveLimiterHint : 0
; COMPUTE_PGM_RSRC2:SCRATCH_EN: 0
; COMPUTE_PGM_RSRC2:USER_SGPR: 6
; COMPUTE_PGM_RSRC2:TRAP_HANDLER: 0
; COMPUTE_PGM_RSRC2:TGID_X_EN: 1
; COMPUTE_PGM_RSRC2:TGID_Y_EN: 0
; COMPUTE_PGM_RSRC2:TGID_Z_EN: 0
; COMPUTE_PGM_RSRC2:TIDIG_COMP_CNT: 0
	.section	.text._ZN7rocprim17ROCPRIM_400000_NS6detail17trampoline_kernelINS0_14default_configENS1_22reduce_config_selectorIN6thrust23THRUST_200600_302600_NS5tupleIblNS6_9null_typeES8_S8_S8_S8_S8_S8_S8_EEEEZNS1_11reduce_implILb1ES3_NS6_12zip_iteratorINS7_INS6_11hip_rocprim26transform_input_iterator_tIbNSD_35transform_pair_of_input_iterators_tIbNS6_6detail15normal_iteratorINS6_10device_ptrIKyEEEESL_NS6_8equal_toIyEEEENSG_9not_fun_tINSD_8identityEEEEENSD_19counting_iterator_tIlEES8_S8_S8_S8_S8_S8_S8_S8_EEEEPS9_S9_NSD_9__find_if7functorIS9_EEEE10hipError_tPvRmT1_T2_T3_mT4_P12ihipStream_tbEUlT_E0_NS1_11comp_targetILNS1_3genE9ELNS1_11target_archE1100ELNS1_3gpuE3ELNS1_3repE0EEENS1_30default_config_static_selectorELNS0_4arch9wavefront6targetE0EEEvS14_,"axG",@progbits,_ZN7rocprim17ROCPRIM_400000_NS6detail17trampoline_kernelINS0_14default_configENS1_22reduce_config_selectorIN6thrust23THRUST_200600_302600_NS5tupleIblNS6_9null_typeES8_S8_S8_S8_S8_S8_S8_EEEEZNS1_11reduce_implILb1ES3_NS6_12zip_iteratorINS7_INS6_11hip_rocprim26transform_input_iterator_tIbNSD_35transform_pair_of_input_iterators_tIbNS6_6detail15normal_iteratorINS6_10device_ptrIKyEEEESL_NS6_8equal_toIyEEEENSG_9not_fun_tINSD_8identityEEEEENSD_19counting_iterator_tIlEES8_S8_S8_S8_S8_S8_S8_S8_EEEEPS9_S9_NSD_9__find_if7functorIS9_EEEE10hipError_tPvRmT1_T2_T3_mT4_P12ihipStream_tbEUlT_E0_NS1_11comp_targetILNS1_3genE9ELNS1_11target_archE1100ELNS1_3gpuE3ELNS1_3repE0EEENS1_30default_config_static_selectorELNS0_4arch9wavefront6targetE0EEEvS14_,comdat
	.protected	_ZN7rocprim17ROCPRIM_400000_NS6detail17trampoline_kernelINS0_14default_configENS1_22reduce_config_selectorIN6thrust23THRUST_200600_302600_NS5tupleIblNS6_9null_typeES8_S8_S8_S8_S8_S8_S8_EEEEZNS1_11reduce_implILb1ES3_NS6_12zip_iteratorINS7_INS6_11hip_rocprim26transform_input_iterator_tIbNSD_35transform_pair_of_input_iterators_tIbNS6_6detail15normal_iteratorINS6_10device_ptrIKyEEEESL_NS6_8equal_toIyEEEENSG_9not_fun_tINSD_8identityEEEEENSD_19counting_iterator_tIlEES8_S8_S8_S8_S8_S8_S8_S8_EEEEPS9_S9_NSD_9__find_if7functorIS9_EEEE10hipError_tPvRmT1_T2_T3_mT4_P12ihipStream_tbEUlT_E0_NS1_11comp_targetILNS1_3genE9ELNS1_11target_archE1100ELNS1_3gpuE3ELNS1_3repE0EEENS1_30default_config_static_selectorELNS0_4arch9wavefront6targetE0EEEvS14_ ; -- Begin function _ZN7rocprim17ROCPRIM_400000_NS6detail17trampoline_kernelINS0_14default_configENS1_22reduce_config_selectorIN6thrust23THRUST_200600_302600_NS5tupleIblNS6_9null_typeES8_S8_S8_S8_S8_S8_S8_EEEEZNS1_11reduce_implILb1ES3_NS6_12zip_iteratorINS7_INS6_11hip_rocprim26transform_input_iterator_tIbNSD_35transform_pair_of_input_iterators_tIbNS6_6detail15normal_iteratorINS6_10device_ptrIKyEEEESL_NS6_8equal_toIyEEEENSG_9not_fun_tINSD_8identityEEEEENSD_19counting_iterator_tIlEES8_S8_S8_S8_S8_S8_S8_S8_EEEEPS9_S9_NSD_9__find_if7functorIS9_EEEE10hipError_tPvRmT1_T2_T3_mT4_P12ihipStream_tbEUlT_E0_NS1_11comp_targetILNS1_3genE9ELNS1_11target_archE1100ELNS1_3gpuE3ELNS1_3repE0EEENS1_30default_config_static_selectorELNS0_4arch9wavefront6targetE0EEEvS14_
	.globl	_ZN7rocprim17ROCPRIM_400000_NS6detail17trampoline_kernelINS0_14default_configENS1_22reduce_config_selectorIN6thrust23THRUST_200600_302600_NS5tupleIblNS6_9null_typeES8_S8_S8_S8_S8_S8_S8_EEEEZNS1_11reduce_implILb1ES3_NS6_12zip_iteratorINS7_INS6_11hip_rocprim26transform_input_iterator_tIbNSD_35transform_pair_of_input_iterators_tIbNS6_6detail15normal_iteratorINS6_10device_ptrIKyEEEESL_NS6_8equal_toIyEEEENSG_9not_fun_tINSD_8identityEEEEENSD_19counting_iterator_tIlEES8_S8_S8_S8_S8_S8_S8_S8_EEEEPS9_S9_NSD_9__find_if7functorIS9_EEEE10hipError_tPvRmT1_T2_T3_mT4_P12ihipStream_tbEUlT_E0_NS1_11comp_targetILNS1_3genE9ELNS1_11target_archE1100ELNS1_3gpuE3ELNS1_3repE0EEENS1_30default_config_static_selectorELNS0_4arch9wavefront6targetE0EEEvS14_
	.p2align	8
	.type	_ZN7rocprim17ROCPRIM_400000_NS6detail17trampoline_kernelINS0_14default_configENS1_22reduce_config_selectorIN6thrust23THRUST_200600_302600_NS5tupleIblNS6_9null_typeES8_S8_S8_S8_S8_S8_S8_EEEEZNS1_11reduce_implILb1ES3_NS6_12zip_iteratorINS7_INS6_11hip_rocprim26transform_input_iterator_tIbNSD_35transform_pair_of_input_iterators_tIbNS6_6detail15normal_iteratorINS6_10device_ptrIKyEEEESL_NS6_8equal_toIyEEEENSG_9not_fun_tINSD_8identityEEEEENSD_19counting_iterator_tIlEES8_S8_S8_S8_S8_S8_S8_S8_EEEEPS9_S9_NSD_9__find_if7functorIS9_EEEE10hipError_tPvRmT1_T2_T3_mT4_P12ihipStream_tbEUlT_E0_NS1_11comp_targetILNS1_3genE9ELNS1_11target_archE1100ELNS1_3gpuE3ELNS1_3repE0EEENS1_30default_config_static_selectorELNS0_4arch9wavefront6targetE0EEEvS14_,@function
_ZN7rocprim17ROCPRIM_400000_NS6detail17trampoline_kernelINS0_14default_configENS1_22reduce_config_selectorIN6thrust23THRUST_200600_302600_NS5tupleIblNS6_9null_typeES8_S8_S8_S8_S8_S8_S8_EEEEZNS1_11reduce_implILb1ES3_NS6_12zip_iteratorINS7_INS6_11hip_rocprim26transform_input_iterator_tIbNSD_35transform_pair_of_input_iterators_tIbNS6_6detail15normal_iteratorINS6_10device_ptrIKyEEEESL_NS6_8equal_toIyEEEENSG_9not_fun_tINSD_8identityEEEEENSD_19counting_iterator_tIlEES8_S8_S8_S8_S8_S8_S8_S8_EEEEPS9_S9_NSD_9__find_if7functorIS9_EEEE10hipError_tPvRmT1_T2_T3_mT4_P12ihipStream_tbEUlT_E0_NS1_11comp_targetILNS1_3genE9ELNS1_11target_archE1100ELNS1_3gpuE3ELNS1_3repE0EEENS1_30default_config_static_selectorELNS0_4arch9wavefront6targetE0EEEvS14_: ; @_ZN7rocprim17ROCPRIM_400000_NS6detail17trampoline_kernelINS0_14default_configENS1_22reduce_config_selectorIN6thrust23THRUST_200600_302600_NS5tupleIblNS6_9null_typeES8_S8_S8_S8_S8_S8_S8_EEEEZNS1_11reduce_implILb1ES3_NS6_12zip_iteratorINS7_INS6_11hip_rocprim26transform_input_iterator_tIbNSD_35transform_pair_of_input_iterators_tIbNS6_6detail15normal_iteratorINS6_10device_ptrIKyEEEESL_NS6_8equal_toIyEEEENSG_9not_fun_tINSD_8identityEEEEENSD_19counting_iterator_tIlEES8_S8_S8_S8_S8_S8_S8_S8_EEEEPS9_S9_NSD_9__find_if7functorIS9_EEEE10hipError_tPvRmT1_T2_T3_mT4_P12ihipStream_tbEUlT_E0_NS1_11comp_targetILNS1_3genE9ELNS1_11target_archE1100ELNS1_3gpuE3ELNS1_3repE0EEENS1_30default_config_static_selectorELNS0_4arch9wavefront6targetE0EEEvS14_
; %bb.0:
	.section	.rodata,"a",@progbits
	.p2align	6, 0x0
	.amdhsa_kernel _ZN7rocprim17ROCPRIM_400000_NS6detail17trampoline_kernelINS0_14default_configENS1_22reduce_config_selectorIN6thrust23THRUST_200600_302600_NS5tupleIblNS6_9null_typeES8_S8_S8_S8_S8_S8_S8_EEEEZNS1_11reduce_implILb1ES3_NS6_12zip_iteratorINS7_INS6_11hip_rocprim26transform_input_iterator_tIbNSD_35transform_pair_of_input_iterators_tIbNS6_6detail15normal_iteratorINS6_10device_ptrIKyEEEESL_NS6_8equal_toIyEEEENSG_9not_fun_tINSD_8identityEEEEENSD_19counting_iterator_tIlEES8_S8_S8_S8_S8_S8_S8_S8_EEEEPS9_S9_NSD_9__find_if7functorIS9_EEEE10hipError_tPvRmT1_T2_T3_mT4_P12ihipStream_tbEUlT_E0_NS1_11comp_targetILNS1_3genE9ELNS1_11target_archE1100ELNS1_3gpuE3ELNS1_3repE0EEENS1_30default_config_static_selectorELNS0_4arch9wavefront6targetE0EEEvS14_
		.amdhsa_group_segment_fixed_size 0
		.amdhsa_private_segment_fixed_size 0
		.amdhsa_kernarg_size 104
		.amdhsa_user_sgpr_count 6
		.amdhsa_user_sgpr_private_segment_buffer 1
		.amdhsa_user_sgpr_dispatch_ptr 0
		.amdhsa_user_sgpr_queue_ptr 0
		.amdhsa_user_sgpr_kernarg_segment_ptr 1
		.amdhsa_user_sgpr_dispatch_id 0
		.amdhsa_user_sgpr_flat_scratch_init 0
		.amdhsa_user_sgpr_private_segment_size 0
		.amdhsa_wavefront_size32 1
		.amdhsa_uses_dynamic_stack 0
		.amdhsa_system_sgpr_private_segment_wavefront_offset 0
		.amdhsa_system_sgpr_workgroup_id_x 1
		.amdhsa_system_sgpr_workgroup_id_y 0
		.amdhsa_system_sgpr_workgroup_id_z 0
		.amdhsa_system_sgpr_workgroup_info 0
		.amdhsa_system_vgpr_workitem_id 0
		.amdhsa_next_free_vgpr 1
		.amdhsa_next_free_sgpr 1
		.amdhsa_reserve_vcc 0
		.amdhsa_reserve_flat_scratch 0
		.amdhsa_float_round_mode_32 0
		.amdhsa_float_round_mode_16_64 0
		.amdhsa_float_denorm_mode_32 3
		.amdhsa_float_denorm_mode_16_64 3
		.amdhsa_dx10_clamp 1
		.amdhsa_ieee_mode 1
		.amdhsa_fp16_overflow 0
		.amdhsa_workgroup_processor_mode 1
		.amdhsa_memory_ordered 1
		.amdhsa_forward_progress 1
		.amdhsa_shared_vgpr_count 0
		.amdhsa_exception_fp_ieee_invalid_op 0
		.amdhsa_exception_fp_denorm_src 0
		.amdhsa_exception_fp_ieee_div_zero 0
		.amdhsa_exception_fp_ieee_overflow 0
		.amdhsa_exception_fp_ieee_underflow 0
		.amdhsa_exception_fp_ieee_inexact 0
		.amdhsa_exception_int_div_zero 0
	.end_amdhsa_kernel
	.section	.text._ZN7rocprim17ROCPRIM_400000_NS6detail17trampoline_kernelINS0_14default_configENS1_22reduce_config_selectorIN6thrust23THRUST_200600_302600_NS5tupleIblNS6_9null_typeES8_S8_S8_S8_S8_S8_S8_EEEEZNS1_11reduce_implILb1ES3_NS6_12zip_iteratorINS7_INS6_11hip_rocprim26transform_input_iterator_tIbNSD_35transform_pair_of_input_iterators_tIbNS6_6detail15normal_iteratorINS6_10device_ptrIKyEEEESL_NS6_8equal_toIyEEEENSG_9not_fun_tINSD_8identityEEEEENSD_19counting_iterator_tIlEES8_S8_S8_S8_S8_S8_S8_S8_EEEEPS9_S9_NSD_9__find_if7functorIS9_EEEE10hipError_tPvRmT1_T2_T3_mT4_P12ihipStream_tbEUlT_E0_NS1_11comp_targetILNS1_3genE9ELNS1_11target_archE1100ELNS1_3gpuE3ELNS1_3repE0EEENS1_30default_config_static_selectorELNS0_4arch9wavefront6targetE0EEEvS14_,"axG",@progbits,_ZN7rocprim17ROCPRIM_400000_NS6detail17trampoline_kernelINS0_14default_configENS1_22reduce_config_selectorIN6thrust23THRUST_200600_302600_NS5tupleIblNS6_9null_typeES8_S8_S8_S8_S8_S8_S8_EEEEZNS1_11reduce_implILb1ES3_NS6_12zip_iteratorINS7_INS6_11hip_rocprim26transform_input_iterator_tIbNSD_35transform_pair_of_input_iterators_tIbNS6_6detail15normal_iteratorINS6_10device_ptrIKyEEEESL_NS6_8equal_toIyEEEENSG_9not_fun_tINSD_8identityEEEEENSD_19counting_iterator_tIlEES8_S8_S8_S8_S8_S8_S8_S8_EEEEPS9_S9_NSD_9__find_if7functorIS9_EEEE10hipError_tPvRmT1_T2_T3_mT4_P12ihipStream_tbEUlT_E0_NS1_11comp_targetILNS1_3genE9ELNS1_11target_archE1100ELNS1_3gpuE3ELNS1_3repE0EEENS1_30default_config_static_selectorELNS0_4arch9wavefront6targetE0EEEvS14_,comdat
.Lfunc_end121:
	.size	_ZN7rocprim17ROCPRIM_400000_NS6detail17trampoline_kernelINS0_14default_configENS1_22reduce_config_selectorIN6thrust23THRUST_200600_302600_NS5tupleIblNS6_9null_typeES8_S8_S8_S8_S8_S8_S8_EEEEZNS1_11reduce_implILb1ES3_NS6_12zip_iteratorINS7_INS6_11hip_rocprim26transform_input_iterator_tIbNSD_35transform_pair_of_input_iterators_tIbNS6_6detail15normal_iteratorINS6_10device_ptrIKyEEEESL_NS6_8equal_toIyEEEENSG_9not_fun_tINSD_8identityEEEEENSD_19counting_iterator_tIlEES8_S8_S8_S8_S8_S8_S8_S8_EEEEPS9_S9_NSD_9__find_if7functorIS9_EEEE10hipError_tPvRmT1_T2_T3_mT4_P12ihipStream_tbEUlT_E0_NS1_11comp_targetILNS1_3genE9ELNS1_11target_archE1100ELNS1_3gpuE3ELNS1_3repE0EEENS1_30default_config_static_selectorELNS0_4arch9wavefront6targetE0EEEvS14_, .Lfunc_end121-_ZN7rocprim17ROCPRIM_400000_NS6detail17trampoline_kernelINS0_14default_configENS1_22reduce_config_selectorIN6thrust23THRUST_200600_302600_NS5tupleIblNS6_9null_typeES8_S8_S8_S8_S8_S8_S8_EEEEZNS1_11reduce_implILb1ES3_NS6_12zip_iteratorINS7_INS6_11hip_rocprim26transform_input_iterator_tIbNSD_35transform_pair_of_input_iterators_tIbNS6_6detail15normal_iteratorINS6_10device_ptrIKyEEEESL_NS6_8equal_toIyEEEENSG_9not_fun_tINSD_8identityEEEEENSD_19counting_iterator_tIlEES8_S8_S8_S8_S8_S8_S8_S8_EEEEPS9_S9_NSD_9__find_if7functorIS9_EEEE10hipError_tPvRmT1_T2_T3_mT4_P12ihipStream_tbEUlT_E0_NS1_11comp_targetILNS1_3genE9ELNS1_11target_archE1100ELNS1_3gpuE3ELNS1_3repE0EEENS1_30default_config_static_selectorELNS0_4arch9wavefront6targetE0EEEvS14_
                                        ; -- End function
	.set _ZN7rocprim17ROCPRIM_400000_NS6detail17trampoline_kernelINS0_14default_configENS1_22reduce_config_selectorIN6thrust23THRUST_200600_302600_NS5tupleIblNS6_9null_typeES8_S8_S8_S8_S8_S8_S8_EEEEZNS1_11reduce_implILb1ES3_NS6_12zip_iteratorINS7_INS6_11hip_rocprim26transform_input_iterator_tIbNSD_35transform_pair_of_input_iterators_tIbNS6_6detail15normal_iteratorINS6_10device_ptrIKyEEEESL_NS6_8equal_toIyEEEENSG_9not_fun_tINSD_8identityEEEEENSD_19counting_iterator_tIlEES8_S8_S8_S8_S8_S8_S8_S8_EEEEPS9_S9_NSD_9__find_if7functorIS9_EEEE10hipError_tPvRmT1_T2_T3_mT4_P12ihipStream_tbEUlT_E0_NS1_11comp_targetILNS1_3genE9ELNS1_11target_archE1100ELNS1_3gpuE3ELNS1_3repE0EEENS1_30default_config_static_selectorELNS0_4arch9wavefront6targetE0EEEvS14_.num_vgpr, 0
	.set _ZN7rocprim17ROCPRIM_400000_NS6detail17trampoline_kernelINS0_14default_configENS1_22reduce_config_selectorIN6thrust23THRUST_200600_302600_NS5tupleIblNS6_9null_typeES8_S8_S8_S8_S8_S8_S8_EEEEZNS1_11reduce_implILb1ES3_NS6_12zip_iteratorINS7_INS6_11hip_rocprim26transform_input_iterator_tIbNSD_35transform_pair_of_input_iterators_tIbNS6_6detail15normal_iteratorINS6_10device_ptrIKyEEEESL_NS6_8equal_toIyEEEENSG_9not_fun_tINSD_8identityEEEEENSD_19counting_iterator_tIlEES8_S8_S8_S8_S8_S8_S8_S8_EEEEPS9_S9_NSD_9__find_if7functorIS9_EEEE10hipError_tPvRmT1_T2_T3_mT4_P12ihipStream_tbEUlT_E0_NS1_11comp_targetILNS1_3genE9ELNS1_11target_archE1100ELNS1_3gpuE3ELNS1_3repE0EEENS1_30default_config_static_selectorELNS0_4arch9wavefront6targetE0EEEvS14_.num_agpr, 0
	.set _ZN7rocprim17ROCPRIM_400000_NS6detail17trampoline_kernelINS0_14default_configENS1_22reduce_config_selectorIN6thrust23THRUST_200600_302600_NS5tupleIblNS6_9null_typeES8_S8_S8_S8_S8_S8_S8_EEEEZNS1_11reduce_implILb1ES3_NS6_12zip_iteratorINS7_INS6_11hip_rocprim26transform_input_iterator_tIbNSD_35transform_pair_of_input_iterators_tIbNS6_6detail15normal_iteratorINS6_10device_ptrIKyEEEESL_NS6_8equal_toIyEEEENSG_9not_fun_tINSD_8identityEEEEENSD_19counting_iterator_tIlEES8_S8_S8_S8_S8_S8_S8_S8_EEEEPS9_S9_NSD_9__find_if7functorIS9_EEEE10hipError_tPvRmT1_T2_T3_mT4_P12ihipStream_tbEUlT_E0_NS1_11comp_targetILNS1_3genE9ELNS1_11target_archE1100ELNS1_3gpuE3ELNS1_3repE0EEENS1_30default_config_static_selectorELNS0_4arch9wavefront6targetE0EEEvS14_.numbered_sgpr, 0
	.set _ZN7rocprim17ROCPRIM_400000_NS6detail17trampoline_kernelINS0_14default_configENS1_22reduce_config_selectorIN6thrust23THRUST_200600_302600_NS5tupleIblNS6_9null_typeES8_S8_S8_S8_S8_S8_S8_EEEEZNS1_11reduce_implILb1ES3_NS6_12zip_iteratorINS7_INS6_11hip_rocprim26transform_input_iterator_tIbNSD_35transform_pair_of_input_iterators_tIbNS6_6detail15normal_iteratorINS6_10device_ptrIKyEEEESL_NS6_8equal_toIyEEEENSG_9not_fun_tINSD_8identityEEEEENSD_19counting_iterator_tIlEES8_S8_S8_S8_S8_S8_S8_S8_EEEEPS9_S9_NSD_9__find_if7functorIS9_EEEE10hipError_tPvRmT1_T2_T3_mT4_P12ihipStream_tbEUlT_E0_NS1_11comp_targetILNS1_3genE9ELNS1_11target_archE1100ELNS1_3gpuE3ELNS1_3repE0EEENS1_30default_config_static_selectorELNS0_4arch9wavefront6targetE0EEEvS14_.num_named_barrier, 0
	.set _ZN7rocprim17ROCPRIM_400000_NS6detail17trampoline_kernelINS0_14default_configENS1_22reduce_config_selectorIN6thrust23THRUST_200600_302600_NS5tupleIblNS6_9null_typeES8_S8_S8_S8_S8_S8_S8_EEEEZNS1_11reduce_implILb1ES3_NS6_12zip_iteratorINS7_INS6_11hip_rocprim26transform_input_iterator_tIbNSD_35transform_pair_of_input_iterators_tIbNS6_6detail15normal_iteratorINS6_10device_ptrIKyEEEESL_NS6_8equal_toIyEEEENSG_9not_fun_tINSD_8identityEEEEENSD_19counting_iterator_tIlEES8_S8_S8_S8_S8_S8_S8_S8_EEEEPS9_S9_NSD_9__find_if7functorIS9_EEEE10hipError_tPvRmT1_T2_T3_mT4_P12ihipStream_tbEUlT_E0_NS1_11comp_targetILNS1_3genE9ELNS1_11target_archE1100ELNS1_3gpuE3ELNS1_3repE0EEENS1_30default_config_static_selectorELNS0_4arch9wavefront6targetE0EEEvS14_.private_seg_size, 0
	.set _ZN7rocprim17ROCPRIM_400000_NS6detail17trampoline_kernelINS0_14default_configENS1_22reduce_config_selectorIN6thrust23THRUST_200600_302600_NS5tupleIblNS6_9null_typeES8_S8_S8_S8_S8_S8_S8_EEEEZNS1_11reduce_implILb1ES3_NS6_12zip_iteratorINS7_INS6_11hip_rocprim26transform_input_iterator_tIbNSD_35transform_pair_of_input_iterators_tIbNS6_6detail15normal_iteratorINS6_10device_ptrIKyEEEESL_NS6_8equal_toIyEEEENSG_9not_fun_tINSD_8identityEEEEENSD_19counting_iterator_tIlEES8_S8_S8_S8_S8_S8_S8_S8_EEEEPS9_S9_NSD_9__find_if7functorIS9_EEEE10hipError_tPvRmT1_T2_T3_mT4_P12ihipStream_tbEUlT_E0_NS1_11comp_targetILNS1_3genE9ELNS1_11target_archE1100ELNS1_3gpuE3ELNS1_3repE0EEENS1_30default_config_static_selectorELNS0_4arch9wavefront6targetE0EEEvS14_.uses_vcc, 0
	.set _ZN7rocprim17ROCPRIM_400000_NS6detail17trampoline_kernelINS0_14default_configENS1_22reduce_config_selectorIN6thrust23THRUST_200600_302600_NS5tupleIblNS6_9null_typeES8_S8_S8_S8_S8_S8_S8_EEEEZNS1_11reduce_implILb1ES3_NS6_12zip_iteratorINS7_INS6_11hip_rocprim26transform_input_iterator_tIbNSD_35transform_pair_of_input_iterators_tIbNS6_6detail15normal_iteratorINS6_10device_ptrIKyEEEESL_NS6_8equal_toIyEEEENSG_9not_fun_tINSD_8identityEEEEENSD_19counting_iterator_tIlEES8_S8_S8_S8_S8_S8_S8_S8_EEEEPS9_S9_NSD_9__find_if7functorIS9_EEEE10hipError_tPvRmT1_T2_T3_mT4_P12ihipStream_tbEUlT_E0_NS1_11comp_targetILNS1_3genE9ELNS1_11target_archE1100ELNS1_3gpuE3ELNS1_3repE0EEENS1_30default_config_static_selectorELNS0_4arch9wavefront6targetE0EEEvS14_.uses_flat_scratch, 0
	.set _ZN7rocprim17ROCPRIM_400000_NS6detail17trampoline_kernelINS0_14default_configENS1_22reduce_config_selectorIN6thrust23THRUST_200600_302600_NS5tupleIblNS6_9null_typeES8_S8_S8_S8_S8_S8_S8_EEEEZNS1_11reduce_implILb1ES3_NS6_12zip_iteratorINS7_INS6_11hip_rocprim26transform_input_iterator_tIbNSD_35transform_pair_of_input_iterators_tIbNS6_6detail15normal_iteratorINS6_10device_ptrIKyEEEESL_NS6_8equal_toIyEEEENSG_9not_fun_tINSD_8identityEEEEENSD_19counting_iterator_tIlEES8_S8_S8_S8_S8_S8_S8_S8_EEEEPS9_S9_NSD_9__find_if7functorIS9_EEEE10hipError_tPvRmT1_T2_T3_mT4_P12ihipStream_tbEUlT_E0_NS1_11comp_targetILNS1_3genE9ELNS1_11target_archE1100ELNS1_3gpuE3ELNS1_3repE0EEENS1_30default_config_static_selectorELNS0_4arch9wavefront6targetE0EEEvS14_.has_dyn_sized_stack, 0
	.set _ZN7rocprim17ROCPRIM_400000_NS6detail17trampoline_kernelINS0_14default_configENS1_22reduce_config_selectorIN6thrust23THRUST_200600_302600_NS5tupleIblNS6_9null_typeES8_S8_S8_S8_S8_S8_S8_EEEEZNS1_11reduce_implILb1ES3_NS6_12zip_iteratorINS7_INS6_11hip_rocprim26transform_input_iterator_tIbNSD_35transform_pair_of_input_iterators_tIbNS6_6detail15normal_iteratorINS6_10device_ptrIKyEEEESL_NS6_8equal_toIyEEEENSG_9not_fun_tINSD_8identityEEEEENSD_19counting_iterator_tIlEES8_S8_S8_S8_S8_S8_S8_S8_EEEEPS9_S9_NSD_9__find_if7functorIS9_EEEE10hipError_tPvRmT1_T2_T3_mT4_P12ihipStream_tbEUlT_E0_NS1_11comp_targetILNS1_3genE9ELNS1_11target_archE1100ELNS1_3gpuE3ELNS1_3repE0EEENS1_30default_config_static_selectorELNS0_4arch9wavefront6targetE0EEEvS14_.has_recursion, 0
	.set _ZN7rocprim17ROCPRIM_400000_NS6detail17trampoline_kernelINS0_14default_configENS1_22reduce_config_selectorIN6thrust23THRUST_200600_302600_NS5tupleIblNS6_9null_typeES8_S8_S8_S8_S8_S8_S8_EEEEZNS1_11reduce_implILb1ES3_NS6_12zip_iteratorINS7_INS6_11hip_rocprim26transform_input_iterator_tIbNSD_35transform_pair_of_input_iterators_tIbNS6_6detail15normal_iteratorINS6_10device_ptrIKyEEEESL_NS6_8equal_toIyEEEENSG_9not_fun_tINSD_8identityEEEEENSD_19counting_iterator_tIlEES8_S8_S8_S8_S8_S8_S8_S8_EEEEPS9_S9_NSD_9__find_if7functorIS9_EEEE10hipError_tPvRmT1_T2_T3_mT4_P12ihipStream_tbEUlT_E0_NS1_11comp_targetILNS1_3genE9ELNS1_11target_archE1100ELNS1_3gpuE3ELNS1_3repE0EEENS1_30default_config_static_selectorELNS0_4arch9wavefront6targetE0EEEvS14_.has_indirect_call, 0
	.section	.AMDGPU.csdata,"",@progbits
; Kernel info:
; codeLenInByte = 0
; TotalNumSgprs: 0
; NumVgprs: 0
; ScratchSize: 0
; MemoryBound: 0
; FloatMode: 240
; IeeeMode: 1
; LDSByteSize: 0 bytes/workgroup (compile time only)
; SGPRBlocks: 0
; VGPRBlocks: 0
; NumSGPRsForWavesPerEU: 1
; NumVGPRsForWavesPerEU: 1
; Occupancy: 16
; WaveLimiterHint : 0
; COMPUTE_PGM_RSRC2:SCRATCH_EN: 0
; COMPUTE_PGM_RSRC2:USER_SGPR: 6
; COMPUTE_PGM_RSRC2:TRAP_HANDLER: 0
; COMPUTE_PGM_RSRC2:TGID_X_EN: 1
; COMPUTE_PGM_RSRC2:TGID_Y_EN: 0
; COMPUTE_PGM_RSRC2:TGID_Z_EN: 0
; COMPUTE_PGM_RSRC2:TIDIG_COMP_CNT: 0
	.section	.text._ZN7rocprim17ROCPRIM_400000_NS6detail17trampoline_kernelINS0_14default_configENS1_22reduce_config_selectorIN6thrust23THRUST_200600_302600_NS5tupleIblNS6_9null_typeES8_S8_S8_S8_S8_S8_S8_EEEEZNS1_11reduce_implILb1ES3_NS6_12zip_iteratorINS7_INS6_11hip_rocprim26transform_input_iterator_tIbNSD_35transform_pair_of_input_iterators_tIbNS6_6detail15normal_iteratorINS6_10device_ptrIKyEEEESL_NS6_8equal_toIyEEEENSG_9not_fun_tINSD_8identityEEEEENSD_19counting_iterator_tIlEES8_S8_S8_S8_S8_S8_S8_S8_EEEEPS9_S9_NSD_9__find_if7functorIS9_EEEE10hipError_tPvRmT1_T2_T3_mT4_P12ihipStream_tbEUlT_E0_NS1_11comp_targetILNS1_3genE8ELNS1_11target_archE1030ELNS1_3gpuE2ELNS1_3repE0EEENS1_30default_config_static_selectorELNS0_4arch9wavefront6targetE0EEEvS14_,"axG",@progbits,_ZN7rocprim17ROCPRIM_400000_NS6detail17trampoline_kernelINS0_14default_configENS1_22reduce_config_selectorIN6thrust23THRUST_200600_302600_NS5tupleIblNS6_9null_typeES8_S8_S8_S8_S8_S8_S8_EEEEZNS1_11reduce_implILb1ES3_NS6_12zip_iteratorINS7_INS6_11hip_rocprim26transform_input_iterator_tIbNSD_35transform_pair_of_input_iterators_tIbNS6_6detail15normal_iteratorINS6_10device_ptrIKyEEEESL_NS6_8equal_toIyEEEENSG_9not_fun_tINSD_8identityEEEEENSD_19counting_iterator_tIlEES8_S8_S8_S8_S8_S8_S8_S8_EEEEPS9_S9_NSD_9__find_if7functorIS9_EEEE10hipError_tPvRmT1_T2_T3_mT4_P12ihipStream_tbEUlT_E0_NS1_11comp_targetILNS1_3genE8ELNS1_11target_archE1030ELNS1_3gpuE2ELNS1_3repE0EEENS1_30default_config_static_selectorELNS0_4arch9wavefront6targetE0EEEvS14_,comdat
	.protected	_ZN7rocprim17ROCPRIM_400000_NS6detail17trampoline_kernelINS0_14default_configENS1_22reduce_config_selectorIN6thrust23THRUST_200600_302600_NS5tupleIblNS6_9null_typeES8_S8_S8_S8_S8_S8_S8_EEEEZNS1_11reduce_implILb1ES3_NS6_12zip_iteratorINS7_INS6_11hip_rocprim26transform_input_iterator_tIbNSD_35transform_pair_of_input_iterators_tIbNS6_6detail15normal_iteratorINS6_10device_ptrIKyEEEESL_NS6_8equal_toIyEEEENSG_9not_fun_tINSD_8identityEEEEENSD_19counting_iterator_tIlEES8_S8_S8_S8_S8_S8_S8_S8_EEEEPS9_S9_NSD_9__find_if7functorIS9_EEEE10hipError_tPvRmT1_T2_T3_mT4_P12ihipStream_tbEUlT_E0_NS1_11comp_targetILNS1_3genE8ELNS1_11target_archE1030ELNS1_3gpuE2ELNS1_3repE0EEENS1_30default_config_static_selectorELNS0_4arch9wavefront6targetE0EEEvS14_ ; -- Begin function _ZN7rocprim17ROCPRIM_400000_NS6detail17trampoline_kernelINS0_14default_configENS1_22reduce_config_selectorIN6thrust23THRUST_200600_302600_NS5tupleIblNS6_9null_typeES8_S8_S8_S8_S8_S8_S8_EEEEZNS1_11reduce_implILb1ES3_NS6_12zip_iteratorINS7_INS6_11hip_rocprim26transform_input_iterator_tIbNSD_35transform_pair_of_input_iterators_tIbNS6_6detail15normal_iteratorINS6_10device_ptrIKyEEEESL_NS6_8equal_toIyEEEENSG_9not_fun_tINSD_8identityEEEEENSD_19counting_iterator_tIlEES8_S8_S8_S8_S8_S8_S8_S8_EEEEPS9_S9_NSD_9__find_if7functorIS9_EEEE10hipError_tPvRmT1_T2_T3_mT4_P12ihipStream_tbEUlT_E0_NS1_11comp_targetILNS1_3genE8ELNS1_11target_archE1030ELNS1_3gpuE2ELNS1_3repE0EEENS1_30default_config_static_selectorELNS0_4arch9wavefront6targetE0EEEvS14_
	.globl	_ZN7rocprim17ROCPRIM_400000_NS6detail17trampoline_kernelINS0_14default_configENS1_22reduce_config_selectorIN6thrust23THRUST_200600_302600_NS5tupleIblNS6_9null_typeES8_S8_S8_S8_S8_S8_S8_EEEEZNS1_11reduce_implILb1ES3_NS6_12zip_iteratorINS7_INS6_11hip_rocprim26transform_input_iterator_tIbNSD_35transform_pair_of_input_iterators_tIbNS6_6detail15normal_iteratorINS6_10device_ptrIKyEEEESL_NS6_8equal_toIyEEEENSG_9not_fun_tINSD_8identityEEEEENSD_19counting_iterator_tIlEES8_S8_S8_S8_S8_S8_S8_S8_EEEEPS9_S9_NSD_9__find_if7functorIS9_EEEE10hipError_tPvRmT1_T2_T3_mT4_P12ihipStream_tbEUlT_E0_NS1_11comp_targetILNS1_3genE8ELNS1_11target_archE1030ELNS1_3gpuE2ELNS1_3repE0EEENS1_30default_config_static_selectorELNS0_4arch9wavefront6targetE0EEEvS14_
	.p2align	8
	.type	_ZN7rocprim17ROCPRIM_400000_NS6detail17trampoline_kernelINS0_14default_configENS1_22reduce_config_selectorIN6thrust23THRUST_200600_302600_NS5tupleIblNS6_9null_typeES8_S8_S8_S8_S8_S8_S8_EEEEZNS1_11reduce_implILb1ES3_NS6_12zip_iteratorINS7_INS6_11hip_rocprim26transform_input_iterator_tIbNSD_35transform_pair_of_input_iterators_tIbNS6_6detail15normal_iteratorINS6_10device_ptrIKyEEEESL_NS6_8equal_toIyEEEENSG_9not_fun_tINSD_8identityEEEEENSD_19counting_iterator_tIlEES8_S8_S8_S8_S8_S8_S8_S8_EEEEPS9_S9_NSD_9__find_if7functorIS9_EEEE10hipError_tPvRmT1_T2_T3_mT4_P12ihipStream_tbEUlT_E0_NS1_11comp_targetILNS1_3genE8ELNS1_11target_archE1030ELNS1_3gpuE2ELNS1_3repE0EEENS1_30default_config_static_selectorELNS0_4arch9wavefront6targetE0EEEvS14_,@function
_ZN7rocprim17ROCPRIM_400000_NS6detail17trampoline_kernelINS0_14default_configENS1_22reduce_config_selectorIN6thrust23THRUST_200600_302600_NS5tupleIblNS6_9null_typeES8_S8_S8_S8_S8_S8_S8_EEEEZNS1_11reduce_implILb1ES3_NS6_12zip_iteratorINS7_INS6_11hip_rocprim26transform_input_iterator_tIbNSD_35transform_pair_of_input_iterators_tIbNS6_6detail15normal_iteratorINS6_10device_ptrIKyEEEESL_NS6_8equal_toIyEEEENSG_9not_fun_tINSD_8identityEEEEENSD_19counting_iterator_tIlEES8_S8_S8_S8_S8_S8_S8_S8_EEEEPS9_S9_NSD_9__find_if7functorIS9_EEEE10hipError_tPvRmT1_T2_T3_mT4_P12ihipStream_tbEUlT_E0_NS1_11comp_targetILNS1_3genE8ELNS1_11target_archE1030ELNS1_3gpuE2ELNS1_3repE0EEENS1_30default_config_static_selectorELNS0_4arch9wavefront6targetE0EEEvS14_: ; @_ZN7rocprim17ROCPRIM_400000_NS6detail17trampoline_kernelINS0_14default_configENS1_22reduce_config_selectorIN6thrust23THRUST_200600_302600_NS5tupleIblNS6_9null_typeES8_S8_S8_S8_S8_S8_S8_EEEEZNS1_11reduce_implILb1ES3_NS6_12zip_iteratorINS7_INS6_11hip_rocprim26transform_input_iterator_tIbNSD_35transform_pair_of_input_iterators_tIbNS6_6detail15normal_iteratorINS6_10device_ptrIKyEEEESL_NS6_8equal_toIyEEEENSG_9not_fun_tINSD_8identityEEEEENSD_19counting_iterator_tIlEES8_S8_S8_S8_S8_S8_S8_S8_EEEEPS9_S9_NSD_9__find_if7functorIS9_EEEE10hipError_tPvRmT1_T2_T3_mT4_P12ihipStream_tbEUlT_E0_NS1_11comp_targetILNS1_3genE8ELNS1_11target_archE1030ELNS1_3gpuE2ELNS1_3repE0EEENS1_30default_config_static_selectorELNS0_4arch9wavefront6targetE0EEEvS14_
; %bb.0:
	s_clause 0x2
	s_load_dwordx8 s[8:15], s[4:5], 0x20
	s_load_dwordx4 s[0:3], s[4:5], 0x0
	s_load_dwordx4 s[16:19], s[4:5], 0x40
	s_mov_b32 s23, 0
	v_mbcnt_lo_u32_b32 v7, -1, 0
	s_mov_b32 s7, s23
	s_waitcnt lgkmcnt(0)
	s_lshl_b64 s[20:21], s[10:11], 3
	s_add_u32 s26, s0, s20
	s_addc_u32 s27, s1, s21
	s_add_u32 s20, s2, s20
	s_addc_u32 s21, s3, s21
	s_lshl_b32 s22, s6, 9
	s_lshr_b64 s[24:25], s[12:13], 9
	s_lshl_b64 s[0:1], s[22:23], 3
	s_add_u32 s2, s26, s0
	s_addc_u32 s3, s27, s1
	s_add_u32 s20, s20, s0
	s_addc_u32 s21, s21, s1
	;; [unrolled: 2-line block ×4, first 2 shown]
	s_cmp_lg_u64 s[24:25], s[6:7]
	s_cbranch_scc0 .LBB122_18
; %bb.1:
	v_lshlrev_b32_e32 v8, 3, v0
	v_add_co_u32 v1, s0, s2, v8
	v_add_co_ci_u32_e64 v2, null, s3, 0, s0
	v_add_co_u32 v3, s0, s20, v8
	v_add_co_ci_u32_e64 v4, null, s21, 0, s0
	v_add_co_u32 v1, vcc_lo, 0x800, v1
	v_add_co_ci_u32_e64 v2, null, 0, v2, vcc_lo
	v_add_co_u32 v3, vcc_lo, 0x800, v3
	v_add_co_ci_u32_e64 v4, null, 0, v4, vcc_lo
	s_clause 0x1
	global_load_dwordx2 v[5:6], v8, s[2:3]
	global_load_dwordx2 v[8:9], v8, s[20:21]
	global_load_dwordx2 v[1:2], v[1:2], off
	global_load_dwordx2 v[3:4], v[3:4], off
	v_add_co_u32 v10, s0, s10, v0
	v_add_co_ci_u32_e64 v11, null, s11, 0, s0
	v_add_co_u32 v12, vcc_lo, 0x100, v10
	v_add_co_ci_u32_e64 v13, null, 0, v11, vcc_lo
	s_waitcnt vmcnt(2)
	v_cmp_ne_u64_e32 vcc_lo, v[5:6], v[8:9]
	s_waitcnt vmcnt(0)
	v_cmp_ne_u64_e64 s0, v[1:2], v[3:4]
	v_cndmask_b32_e32 v5, v13, v11, vcc_lo
	v_cndmask_b32_e32 v4, v12, v10, vcc_lo
	s_or_b32 s0, vcc_lo, s0
	v_cndmask_b32_e64 v3, 0, 1, s0
	v_mov_b32_dpp v2, v5 quad_perm:[1,0,3,2] row_mask:0xf bank_mask:0xf
	v_mov_b32_dpp v1, v4 quad_perm:[1,0,3,2] row_mask:0xf bank_mask:0xf
	;; [unrolled: 1-line block ×3, first 2 shown]
	v_cmp_lt_i64_e32 vcc_lo, v[4:5], v[1:2]
	v_and_b32_e32 v6, 1, v6
	s_and_b32 vcc_lo, s0, vcc_lo
	v_cndmask_b32_e32 v1, v1, v4, vcc_lo
	v_cndmask_b32_e32 v2, v2, v5, vcc_lo
	v_cmp_eq_u32_e32 vcc_lo, 1, v6
	v_cndmask_b32_e32 v2, v5, v2, vcc_lo
	v_cndmask_b32_e32 v1, v4, v1, vcc_lo
	v_cndmask_b32_e64 v5, v3, 1, vcc_lo
	v_mov_b32_dpp v4, v2 quad_perm:[2,3,0,1] row_mask:0xf bank_mask:0xf
	v_mov_b32_dpp v3, v1 quad_perm:[2,3,0,1] row_mask:0xf bank_mask:0xf
	v_and_b32_e32 v8, 1, v5
	v_mov_b32_dpp v6, v5 quad_perm:[2,3,0,1] row_mask:0xf bank_mask:0xf
	v_cmp_lt_i64_e32 vcc_lo, v[1:2], v[3:4]
	v_cmp_eq_u32_e64 s0, 1, v8
	v_and_b32_e32 v6, 1, v6
	s_and_b32 vcc_lo, s0, vcc_lo
	v_cmp_eq_u32_e64 s1, 1, v6
	v_cndmask_b32_e32 v3, v3, v1, vcc_lo
	v_cndmask_b32_e32 v4, v4, v2, vcc_lo
	v_cndmask_b32_e64 v5, v5, 1, s1
	v_cndmask_b32_e64 v1, v1, v3, s1
	;; [unrolled: 1-line block ×3, first 2 shown]
	v_and_b32_e32 v8, 1, v5
	v_mov_b32_dpp v3, v1 row_ror:4 row_mask:0xf bank_mask:0xf
	v_mov_b32_dpp v4, v2 row_ror:4 row_mask:0xf bank_mask:0xf
	;; [unrolled: 1-line block ×3, first 2 shown]
	v_cmp_eq_u32_e64 s0, 1, v8
	v_cmp_lt_i64_e32 vcc_lo, v[1:2], v[3:4]
	v_and_b32_e32 v6, 1, v6
	s_and_b32 vcc_lo, s0, vcc_lo
	v_cmp_eq_u32_e64 s1, 1, v6
	v_cndmask_b32_e32 v3, v3, v1, vcc_lo
	v_cndmask_b32_e32 v4, v4, v2, vcc_lo
	v_cndmask_b32_e64 v5, v5, 1, s1
	v_cndmask_b32_e64 v1, v1, v3, s1
	;; [unrolled: 1-line block ×3, first 2 shown]
	v_and_b32_e32 v8, 1, v5
	v_mov_b32_dpp v3, v1 row_ror:8 row_mask:0xf bank_mask:0xf
	v_mov_b32_dpp v4, v2 row_ror:8 row_mask:0xf bank_mask:0xf
	;; [unrolled: 1-line block ×3, first 2 shown]
	v_cmp_eq_u32_e64 s0, 1, v8
	v_cmp_lt_i64_e32 vcc_lo, v[1:2], v[3:4]
	v_and_b32_e32 v6, 1, v6
	s_and_b32 vcc_lo, s0, vcc_lo
	v_cmp_eq_u32_e64 s1, 1, v6
	v_cndmask_b32_e32 v3, v3, v1, vcc_lo
	v_cndmask_b32_e32 v4, v4, v2, vcc_lo
	v_cndmask_b32_e64 v5, v5, 1, s1
	v_cndmask_b32_e64 v1, v1, v3, s1
	;; [unrolled: 1-line block ×3, first 2 shown]
	ds_swizzle_b32 v6, v5 offset:swizzle(BROADCAST,32,15)
	ds_swizzle_b32 v3, v1 offset:swizzle(BROADCAST,32,15)
	;; [unrolled: 1-line block ×3, first 2 shown]
	v_and_b32_e32 v8, 1, v5
	v_cmp_eq_u32_e64 s0, 1, v8
	s_waitcnt lgkmcnt(2)
	v_and_b32_e32 v6, 1, v6
	s_waitcnt lgkmcnt(0)
	v_cmp_lt_i64_e32 vcc_lo, v[1:2], v[3:4]
	v_cmp_eq_u32_e64 s1, 1, v6
	v_mov_b32_e32 v6, 0
	s_and_b32 vcc_lo, s0, vcc_lo
	s_mov_b32 s0, exec_lo
	v_cndmask_b32_e32 v3, v3, v1, vcc_lo
	v_cndmask_b32_e32 v4, v4, v2, vcc_lo
	v_cndmask_b32_e64 v5, v5, 1, s1
	v_cndmask_b32_e64 v1, v1, v3, s1
	;; [unrolled: 1-line block ×3, first 2 shown]
	ds_bpermute_b32 v8, v6, v5 offset:124
	ds_bpermute_b32 v1, v6, v1 offset:124
	ds_bpermute_b32 v2, v6, v2 offset:124
	v_cmpx_eq_u32_e32 0, v7
	s_cbranch_execz .LBB122_3
; %bb.2:
	v_lshrrev_b32_e32 v3, 1, v0
	v_and_b32_e32 v3, 0x70, v3
	s_waitcnt lgkmcnt(2)
	ds_write_b8 v3, v8
	s_waitcnt lgkmcnt(1)
	ds_write_b64 v3, v[1:2] offset:8
.LBB122_3:
	s_or_b32 exec_lo, exec_lo, s0
	s_mov_b32 s0, exec_lo
	s_waitcnt lgkmcnt(0)
	s_barrier
	buffer_gl0_inv
	v_cmpx_gt_u32_e32 32, v0
	s_cbranch_execz .LBB122_17
; %bb.4:
	v_and_b32_e32 v8, 7, v7
	v_lshlrev_b32_e32 v1, 4, v8
	v_cmp_ne_u32_e32 vcc_lo, 7, v8
	ds_read_u8 v10, v1
	ds_read_b64 v[3:4], v1 offset:8
	v_add_co_ci_u32_e64 v2, null, 0, v7, vcc_lo
	v_lshlrev_b32_e32 v2, 2, v2
	s_waitcnt lgkmcnt(1)
	v_and_b32_e32 v1, 0xff, v10
	s_waitcnt lgkmcnt(0)
	ds_bpermute_b32 v5, v2, v3
	ds_bpermute_b32 v6, v2, v4
	;; [unrolled: 1-line block ×3, first 2 shown]
	s_waitcnt lgkmcnt(0)
	v_and_b32_e32 v1, v10, v11
	v_and_b32_e32 v1, 1, v1
	v_cmp_eq_u32_e32 vcc_lo, 1, v1
                                        ; implicit-def: $vgpr1_vgpr2
	s_and_saveexec_b32 s1, vcc_lo
	s_xor_b32 s1, exec_lo, s1
; %bb.5:
	v_cmp_lt_i64_e32 vcc_lo, v[5:6], v[3:4]
                                        ; implicit-def: $vgpr10
                                        ; implicit-def: $vgpr11
	v_cndmask_b32_e32 v2, v4, v6, vcc_lo
	v_cndmask_b32_e32 v1, v3, v5, vcc_lo
                                        ; implicit-def: $vgpr5_vgpr6
                                        ; implicit-def: $vgpr3_vgpr4
; %bb.6:
	s_or_saveexec_b32 s1, s1
	v_mov_b32_e32 v9, 1
	s_xor_b32 exec_lo, exec_lo, s1
; %bb.7:
	v_and_b32_e32 v1, 1, v10
	v_and_b32_e32 v9, 0xff, v11
	v_cmp_eq_u32_e32 vcc_lo, 1, v1
	v_cndmask_b32_e32 v2, v6, v4, vcc_lo
	v_cndmask_b32_e32 v1, v5, v3, vcc_lo
	v_cndmask_b32_e64 v9, v9, 1, vcc_lo
; %bb.8:
	s_or_b32 exec_lo, exec_lo, s1
	v_cmp_gt_u32_e32 vcc_lo, 6, v8
	v_cndmask_b32_e64 v3, 0, 2, vcc_lo
	v_add_lshl_u32 v3, v3, v7, 2
	ds_bpermute_b32 v8, v3, v9
	ds_bpermute_b32 v5, v3, v1
	;; [unrolled: 1-line block ×3, first 2 shown]
	s_waitcnt lgkmcnt(2)
	v_and_b32_e32 v3, v9, v8
	v_and_b32_e32 v3, 1, v3
	v_cmp_eq_u32_e32 vcc_lo, 1, v3
                                        ; implicit-def: $vgpr3_vgpr4
	s_and_saveexec_b32 s1, vcc_lo
	s_xor_b32 s1, exec_lo, s1
	s_cbranch_execz .LBB122_10
; %bb.9:
	s_waitcnt lgkmcnt(0)
	v_cmp_lt_i64_e32 vcc_lo, v[5:6], v[1:2]
                                        ; implicit-def: $vgpr9
                                        ; implicit-def: $vgpr8
	v_cndmask_b32_e32 v4, v2, v6, vcc_lo
	v_cndmask_b32_e32 v3, v1, v5, vcc_lo
                                        ; implicit-def: $vgpr5_vgpr6
                                        ; implicit-def: $vgpr1_vgpr2
.LBB122_10:
	s_or_saveexec_b32 s1, s1
	v_lshlrev_b32_e32 v11, 2, v7
	v_mov_b32_e32 v10, 1
	s_xor_b32 exec_lo, exec_lo, s1
	s_cbranch_execz .LBB122_12
; %bb.11:
	v_and_b32_e32 v3, 1, v9
	v_and_b32_e32 v8, 0xff, v8
	v_cmp_eq_u32_e32 vcc_lo, 1, v3
	s_waitcnt lgkmcnt(0)
	v_cndmask_b32_e32 v4, v6, v2, vcc_lo
	v_cndmask_b32_e32 v3, v5, v1, vcc_lo
	v_cndmask_b32_e64 v10, v8, 1, vcc_lo
.LBB122_12:
	s_or_b32 exec_lo, exec_lo, s1
	v_or_b32_e32 v1, 16, v11
	ds_bpermute_b32 v9, v1, v10
	s_waitcnt lgkmcnt(2)
	ds_bpermute_b32 v5, v1, v3
	s_waitcnt lgkmcnt(2)
	;; [unrolled: 2-line block ×3, first 2 shown]
	v_and_b32_e32 v1, v10, v9
	v_and_b32_e32 v1, 1, v1
	v_cmp_eq_u32_e32 vcc_lo, 1, v1
                                        ; implicit-def: $vgpr1_vgpr2
	s_and_saveexec_b32 s1, vcc_lo
	s_xor_b32 s1, exec_lo, s1
	s_cbranch_execz .LBB122_14
; %bb.13:
	s_waitcnt lgkmcnt(0)
	v_cmp_lt_i64_e32 vcc_lo, v[5:6], v[3:4]
                                        ; implicit-def: $vgpr10
                                        ; implicit-def: $vgpr9
	v_cndmask_b32_e32 v2, v4, v6, vcc_lo
	v_cndmask_b32_e32 v1, v3, v5, vcc_lo
                                        ; implicit-def: $vgpr5_vgpr6
                                        ; implicit-def: $vgpr3_vgpr4
.LBB122_14:
	s_or_saveexec_b32 s1, s1
	v_mov_b32_e32 v8, 1
	s_xor_b32 exec_lo, exec_lo, s1
	s_cbranch_execz .LBB122_16
; %bb.15:
	v_and_b32_e32 v1, 1, v10
	v_cmp_eq_u32_e32 vcc_lo, 1, v1
	s_waitcnt lgkmcnt(0)
	v_cndmask_b32_e32 v2, v6, v4, vcc_lo
	v_cndmask_b32_e32 v1, v5, v3, vcc_lo
	v_cndmask_b32_e64 v8, v9, 1, vcc_lo
.LBB122_16:
	s_or_b32 exec_lo, exec_lo, s1
.LBB122_17:
	s_or_b32 exec_lo, exec_lo, s0
	s_load_dwordx2 s[8:9], s[4:5], 0x58
	s_branch .LBB122_76
.LBB122_18:
                                        ; implicit-def: $vgpr1_vgpr2
                                        ; implicit-def: $vgpr8
	s_load_dwordx2 s[8:9], s[4:5], 0x58
	s_cbranch_execz .LBB122_76
; %bb.19:
	v_mov_b32_e32 v3, 0
	v_mov_b32_e32 v1, 0
	s_waitcnt lgkmcnt(0)
	v_mov_b32_e32 v5, 0
	v_mov_b32_e32 v4, 0
	;; [unrolled: 1-line block ×4, first 2 shown]
	s_sub_i32 s22, s12, s22
	s_mov_b32 s0, exec_lo
	v_cmpx_gt_u32_e64 s22, v0
	s_cbranch_execz .LBB122_21
; %bb.20:
	v_lshlrev_b32_e32 v1, 3, v0
	s_clause 0x1
	global_load_dwordx2 v[8:9], v1, s[2:3]
	global_load_dwordx2 v[10:11], v1, s[20:21]
	v_add_co_u32 v1, s1, s10, v0
	v_add_co_ci_u32_e64 v2, null, s11, 0, s1
	s_waitcnt vmcnt(0)
	v_cmp_ne_u64_e32 vcc_lo, v[8:9], v[10:11]
	v_cndmask_b32_e64 v6, 0, 1, vcc_lo
.LBB122_21:
	s_or_b32 exec_lo, exec_lo, s0
	v_or_b32_e32 v8, 0x100, v0
	v_cmp_gt_u32_e32 vcc_lo, s22, v8
	s_and_saveexec_b32 s1, vcc_lo
	s_cbranch_execz .LBB122_23
; %bb.22:
	v_lshlrev_b32_e32 v3, 3, v8
	s_clause 0x1
	global_load_dwordx2 v[9:10], v3, s[2:3]
	global_load_dwordx2 v[11:12], v3, s[20:21]
	v_add_co_u32 v3, s0, s10, v8
	v_add_co_ci_u32_e64 v4, null, s11, 0, s0
	s_waitcnt vmcnt(0)
	v_cmp_ne_u64_e64 s0, v[9:10], v[11:12]
	v_cndmask_b32_e64 v5, 0, 1, s0
.LBB122_23:
	s_or_b32 exec_lo, exec_lo, s1
	v_and_b32_e32 v8, 1, v5
	v_cmp_lt_i64_e64 s0, v[3:4], v[1:2]
	v_and_b32_e32 v9, 1, v6
	v_and_b32_e32 v5, 0xffff, v5
	;; [unrolled: 1-line block ×3, first 2 shown]
	v_cmp_eq_u32_e64 s1, 1, v8
	v_cmp_eq_u32_e64 s2, 1, v9
	s_and_b32 s0, s1, s0
	s_mov_b32 s1, exec_lo
	v_cndmask_b32_e64 v8, v2, v4, s0
	v_cndmask_b32_e64 v9, v1, v3, s0
	v_cmp_ne_u32_e64 s0, 31, v7
	v_cndmask_b32_e64 v5, v5, 1, s2
	v_cndmask_b32_e64 v4, v4, v8, s2
	;; [unrolled: 1-line block ×3, first 2 shown]
	v_add_co_ci_u32_e64 v10, null, 0, v7, s0
	v_cndmask_b32_e32 v8, v6, v5, vcc_lo
	v_cndmask_b32_e32 v2, v2, v4, vcc_lo
	;; [unrolled: 1-line block ×3, first 2 shown]
	v_lshlrev_b32_e32 v9, 2, v10
	v_and_b32_e32 v5, 0xe0, v0
	s_min_u32 s0, s22, 0x100
	ds_bpermute_b32 v6, v9, v8
	ds_bpermute_b32 v3, v9, v1
	;; [unrolled: 1-line block ×3, first 2 shown]
	v_sub_nc_u32_e64 v5, s0, v5 clamp
	v_add_nc_u32_e32 v9, 1, v7
	v_cmpx_lt_u32_e64 v9, v5
	s_cbranch_execz .LBB122_29
; %bb.24:
	s_waitcnt lgkmcnt(2)
	v_and_b32_e32 v9, v8, v6
	s_mov_b32 s2, exec_lo
	v_cmpx_ne_u32_e32 0, v9
	s_xor_b32 s2, exec_lo, s2
	s_cbranch_execz .LBB122_26
; %bb.25:
	s_waitcnt lgkmcnt(0)
	v_cmp_lt_i64_e32 vcc_lo, v[3:4], v[1:2]
                                        ; implicit-def: $vgpr8
                                        ; implicit-def: $vgpr6
	v_cndmask_b32_e32 v2, v2, v4, vcc_lo
	v_cndmask_b32_e32 v1, v1, v3, vcc_lo
                                        ; implicit-def: $vgpr3_vgpr4
.LBB122_26:
	s_or_saveexec_b32 s2, s2
	v_mov_b32_e32 v9, 1
	s_xor_b32 exec_lo, exec_lo, s2
	s_cbranch_execz .LBB122_28
; %bb.27:
	v_and_b32_e32 v8, 1, v8
	v_and_b32_e32 v6, 0xff, v6
	v_cmp_eq_u32_e32 vcc_lo, 1, v8
	s_waitcnt lgkmcnt(0)
	v_cndmask_b32_e32 v2, v4, v2, vcc_lo
	v_cndmask_b32_e32 v1, v3, v1, vcc_lo
	v_cndmask_b32_e64 v9, v6, 1, vcc_lo
.LBB122_28:
	s_or_b32 exec_lo, exec_lo, s2
	v_mov_b32_e32 v8, v9
.LBB122_29:
	s_or_b32 exec_lo, exec_lo, s1
	v_cmp_gt_u32_e32 vcc_lo, 30, v7
	v_add_nc_u32_e32 v9, 2, v7
	s_mov_b32 s1, exec_lo
	s_waitcnt lgkmcnt(1)
	v_cndmask_b32_e64 v3, 0, 2, vcc_lo
	s_waitcnt lgkmcnt(0)
	v_add_lshl_u32 v4, v3, v7, 2
	ds_bpermute_b32 v6, v4, v8
	ds_bpermute_b32 v3, v4, v1
	ds_bpermute_b32 v4, v4, v2
	v_cmpx_lt_u32_e64 v9, v5
	s_cbranch_execz .LBB122_35
; %bb.30:
	s_waitcnt lgkmcnt(2)
	v_and_b32_e32 v9, v8, v6
	s_mov_b32 s2, exec_lo
	v_and_b32_e32 v9, 1, v9
	v_cmpx_eq_u32_e32 1, v9
	s_xor_b32 s2, exec_lo, s2
	s_cbranch_execz .LBB122_32
; %bb.31:
	s_waitcnt lgkmcnt(0)
	v_cmp_lt_i64_e32 vcc_lo, v[3:4], v[1:2]
                                        ; implicit-def: $vgpr8
                                        ; implicit-def: $vgpr6
	v_cndmask_b32_e32 v2, v2, v4, vcc_lo
	v_cndmask_b32_e32 v1, v1, v3, vcc_lo
                                        ; implicit-def: $vgpr3_vgpr4
.LBB122_32:
	s_or_saveexec_b32 s2, s2
	v_mov_b32_e32 v9, 1
	s_xor_b32 exec_lo, exec_lo, s2
	s_cbranch_execz .LBB122_34
; %bb.33:
	v_and_b32_e32 v8, 1, v8
	v_and_b32_e32 v6, 0xff, v6
	v_cmp_eq_u32_e32 vcc_lo, 1, v8
	s_waitcnt lgkmcnt(0)
	v_cndmask_b32_e32 v2, v4, v2, vcc_lo
	v_cndmask_b32_e32 v1, v3, v1, vcc_lo
	v_cndmask_b32_e64 v9, v6, 1, vcc_lo
.LBB122_34:
	s_or_b32 exec_lo, exec_lo, s2
	v_mov_b32_e32 v8, v9
.LBB122_35:
	s_or_b32 exec_lo, exec_lo, s1
	v_cmp_gt_u32_e32 vcc_lo, 28, v7
	v_add_nc_u32_e32 v9, 4, v7
	s_mov_b32 s1, exec_lo
	s_waitcnt lgkmcnt(1)
	v_cndmask_b32_e64 v3, 0, 4, vcc_lo
	s_waitcnt lgkmcnt(0)
	v_add_lshl_u32 v4, v3, v7, 2
	ds_bpermute_b32 v6, v4, v8
	ds_bpermute_b32 v3, v4, v1
	ds_bpermute_b32 v4, v4, v2
	v_cmpx_lt_u32_e64 v9, v5
	s_cbranch_execz .LBB122_41
; %bb.36:
	s_waitcnt lgkmcnt(2)
	v_and_b32_e32 v9, v8, v6
	s_mov_b32 s2, exec_lo
	v_and_b32_e32 v9, 1, v9
	v_cmpx_eq_u32_e32 1, v9
	s_xor_b32 s2, exec_lo, s2
	s_cbranch_execz .LBB122_38
; %bb.37:
	s_waitcnt lgkmcnt(0)
	v_cmp_lt_i64_e32 vcc_lo, v[3:4], v[1:2]
                                        ; implicit-def: $vgpr8
                                        ; implicit-def: $vgpr6
	v_cndmask_b32_e32 v2, v2, v4, vcc_lo
	v_cndmask_b32_e32 v1, v1, v3, vcc_lo
                                        ; implicit-def: $vgpr3_vgpr4
.LBB122_38:
	s_or_saveexec_b32 s2, s2
	v_mov_b32_e32 v9, 1
	s_xor_b32 exec_lo, exec_lo, s2
	s_cbranch_execz .LBB122_40
; %bb.39:
	v_and_b32_e32 v8, 1, v8
	v_and_b32_e32 v6, 0xff, v6
	v_cmp_eq_u32_e32 vcc_lo, 1, v8
	s_waitcnt lgkmcnt(0)
	v_cndmask_b32_e32 v2, v4, v2, vcc_lo
	v_cndmask_b32_e32 v1, v3, v1, vcc_lo
	v_cndmask_b32_e64 v9, v6, 1, vcc_lo
.LBB122_40:
	s_or_b32 exec_lo, exec_lo, s2
	v_mov_b32_e32 v8, v9
.LBB122_41:
	;; [unrolled: 46-line block ×3, first 2 shown]
	s_or_b32 exec_lo, exec_lo, s1
	s_waitcnt lgkmcnt(2)
	v_lshlrev_b32_e32 v6, 2, v7
	v_add_nc_u32_e32 v10, 16, v7
	s_waitcnt lgkmcnt(0)
	v_or_b32_e32 v4, 64, v6
	v_cmp_lt_u32_e32 vcc_lo, v10, v5
	v_mov_b32_e32 v5, v8
	ds_bpermute_b32 v9, v4, v8
	ds_bpermute_b32 v3, v4, v1
	;; [unrolled: 1-line block ×3, first 2 shown]
	s_and_saveexec_b32 s1, vcc_lo
	s_cbranch_execz .LBB122_53
; %bb.48:
	s_waitcnt lgkmcnt(2)
	v_and_b32_e32 v5, v8, v9
	s_mov_b32 s2, exec_lo
	v_and_b32_e32 v5, 1, v5
	v_cmpx_eq_u32_e32 1, v5
	s_xor_b32 s2, exec_lo, s2
	s_cbranch_execz .LBB122_50
; %bb.49:
	s_waitcnt lgkmcnt(0)
	v_cmp_lt_i64_e32 vcc_lo, v[3:4], v[1:2]
                                        ; implicit-def: $vgpr8
                                        ; implicit-def: $vgpr9
	v_cndmask_b32_e32 v2, v2, v4, vcc_lo
	v_cndmask_b32_e32 v1, v1, v3, vcc_lo
                                        ; implicit-def: $vgpr3_vgpr4
.LBB122_50:
	s_or_saveexec_b32 s2, s2
	v_mov_b32_e32 v5, 1
	s_xor_b32 exec_lo, exec_lo, s2
	s_cbranch_execz .LBB122_52
; %bb.51:
	v_and_b32_e32 v5, 1, v8
	v_cmp_eq_u32_e32 vcc_lo, 1, v5
	v_cndmask_b32_e64 v5, v9, 1, vcc_lo
	s_waitcnt lgkmcnt(0)
	v_cndmask_b32_e32 v2, v4, v2, vcc_lo
	v_cndmask_b32_e32 v1, v3, v1, vcc_lo
.LBB122_52:
	s_or_b32 exec_lo, exec_lo, s2
	v_and_b32_e32 v8, 0xff, v5
.LBB122_53:
	s_or_b32 exec_lo, exec_lo, s1
	s_mov_b32 s1, exec_lo
	v_cmpx_eq_u32_e32 0, v7
	s_cbranch_execz .LBB122_55
; %bb.54:
	s_waitcnt lgkmcnt(1)
	v_lshrrev_b32_e32 v3, 1, v0
	v_and_b32_e32 v3, 0x70, v3
	ds_write_b8 v3, v5 offset:128
	ds_write_b64 v3, v[1:2] offset:136
.LBB122_55:
	s_or_b32 exec_lo, exec_lo, s1
	s_mov_b32 s1, exec_lo
	s_waitcnt lgkmcnt(0)
	s_barrier
	buffer_gl0_inv
	v_cmpx_gt_u32_e32 8, v0
	s_cbranch_execz .LBB122_75
; %bb.56:
	v_lshlrev_b32_e32 v1, 4, v7
	v_and_b32_e32 v5, 7, v7
	s_add_i32 s0, s0, 31
	s_mov_b32 s2, exec_lo
	s_lshr_b32 s0, s0, 5
	ds_read_u8 v9, v1 offset:128
	ds_read_b64 v[1:2], v1 offset:136
	v_cmp_ne_u32_e32 vcc_lo, 7, v5
	v_add_nc_u32_e32 v11, 1, v5
	v_add_co_ci_u32_e64 v3, null, 0, v7, vcc_lo
	v_lshlrev_b32_e32 v4, 2, v3
	s_waitcnt lgkmcnt(1)
	v_and_b32_e32 v8, 0xff, v9
	s_waitcnt lgkmcnt(0)
	ds_bpermute_b32 v3, v4, v1
	ds_bpermute_b32 v10, v4, v8
	;; [unrolled: 1-line block ×3, first 2 shown]
	v_cmpx_gt_u32_e64 s0, v11
	s_cbranch_execz .LBB122_62
; %bb.57:
	s_waitcnt lgkmcnt(1)
	v_and_b32_e32 v8, v8, v10
	s_mov_b32 s3, exec_lo
	v_and_b32_e32 v8, 1, v8
	v_cmpx_eq_u32_e32 1, v8
	s_xor_b32 s3, exec_lo, s3
	s_cbranch_execz .LBB122_59
; %bb.58:
	s_waitcnt lgkmcnt(0)
	v_cmp_lt_i64_e32 vcc_lo, v[3:4], v[1:2]
                                        ; implicit-def: $vgpr9
                                        ; implicit-def: $vgpr10
	v_cndmask_b32_e32 v2, v2, v4, vcc_lo
	v_cndmask_b32_e32 v1, v1, v3, vcc_lo
                                        ; implicit-def: $vgpr3_vgpr4
.LBB122_59:
	s_or_saveexec_b32 s3, s3
	v_mov_b32_e32 v8, 1
	s_xor_b32 exec_lo, exec_lo, s3
	s_cbranch_execz .LBB122_61
; %bb.60:
	v_and_b32_e32 v8, 1, v9
	v_cmp_eq_u32_e32 vcc_lo, 1, v8
	v_and_b32_e32 v8, 0xff, v10
	s_waitcnt lgkmcnt(0)
	v_cndmask_b32_e32 v2, v4, v2, vcc_lo
	v_cndmask_b32_e32 v1, v3, v1, vcc_lo
	v_cndmask_b32_e64 v8, v8, 1, vcc_lo
.LBB122_61:
	s_or_b32 exec_lo, exec_lo, s3
.LBB122_62:
	s_or_b32 exec_lo, exec_lo, s2
	v_cmp_gt_u32_e32 vcc_lo, 6, v5
	v_add_nc_u32_e32 v9, 2, v5
	s_mov_b32 s2, exec_lo
	s_waitcnt lgkmcnt(2)
	v_cndmask_b32_e64 v3, 0, 2, vcc_lo
	s_waitcnt lgkmcnt(0)
	v_add_lshl_u32 v4, v3, v7, 2
	ds_bpermute_b32 v7, v4, v8
	ds_bpermute_b32 v3, v4, v1
	;; [unrolled: 1-line block ×3, first 2 shown]
	v_cmpx_gt_u32_e64 s0, v9
	s_cbranch_execz .LBB122_68
; %bb.63:
	s_waitcnt lgkmcnt(2)
	v_and_b32_e32 v9, v8, v7
	s_mov_b32 s3, exec_lo
	v_and_b32_e32 v9, 1, v9
	v_cmpx_eq_u32_e32 1, v9
	s_xor_b32 s3, exec_lo, s3
	s_cbranch_execz .LBB122_65
; %bb.64:
	s_waitcnt lgkmcnt(0)
	v_cmp_lt_i64_e32 vcc_lo, v[3:4], v[1:2]
                                        ; implicit-def: $vgpr8
                                        ; implicit-def: $vgpr7
	v_cndmask_b32_e32 v2, v2, v4, vcc_lo
	v_cndmask_b32_e32 v1, v1, v3, vcc_lo
                                        ; implicit-def: $vgpr3_vgpr4
.LBB122_65:
	s_or_saveexec_b32 s3, s3
	v_mov_b32_e32 v9, 1
	s_xor_b32 exec_lo, exec_lo, s3
	s_cbranch_execz .LBB122_67
; %bb.66:
	v_and_b32_e32 v8, 1, v8
	v_and_b32_e32 v7, 0xff, v7
	v_cmp_eq_u32_e32 vcc_lo, 1, v8
	s_waitcnt lgkmcnt(0)
	v_cndmask_b32_e32 v2, v4, v2, vcc_lo
	v_cndmask_b32_e32 v1, v3, v1, vcc_lo
	v_cndmask_b32_e64 v9, v7, 1, vcc_lo
.LBB122_67:
	s_or_b32 exec_lo, exec_lo, s3
	v_mov_b32_e32 v8, v9
.LBB122_68:
	s_or_b32 exec_lo, exec_lo, s2
	s_waitcnt lgkmcnt(0)
	v_or_b32_e32 v4, 16, v6
	v_add_nc_u32_e32 v5, 4, v5
	ds_bpermute_b32 v6, v4, v8
	ds_bpermute_b32 v3, v4, v1
	;; [unrolled: 1-line block ×3, first 2 shown]
	v_cmp_gt_u32_e32 vcc_lo, s0, v5
	s_and_saveexec_b32 s0, vcc_lo
	s_cbranch_execz .LBB122_74
; %bb.69:
	s_waitcnt lgkmcnt(2)
	v_and_b32_e32 v5, v8, v6
	s_mov_b32 s2, exec_lo
	v_and_b32_e32 v5, 1, v5
	v_cmpx_eq_u32_e32 1, v5
	s_xor_b32 s2, exec_lo, s2
	s_cbranch_execz .LBB122_71
; %bb.70:
	s_waitcnt lgkmcnt(0)
	v_cmp_lt_i64_e32 vcc_lo, v[3:4], v[1:2]
                                        ; implicit-def: $vgpr8
                                        ; implicit-def: $vgpr6
	v_cndmask_b32_e32 v2, v2, v4, vcc_lo
	v_cndmask_b32_e32 v1, v1, v3, vcc_lo
                                        ; implicit-def: $vgpr3_vgpr4
.LBB122_71:
	s_or_saveexec_b32 s2, s2
	v_mov_b32_e32 v5, 1
	s_xor_b32 exec_lo, exec_lo, s2
	s_cbranch_execz .LBB122_73
; %bb.72:
	v_and_b32_e32 v5, 1, v8
	v_cmp_eq_u32_e32 vcc_lo, 1, v5
	s_waitcnt lgkmcnt(0)
	v_cndmask_b32_e32 v2, v4, v2, vcc_lo
	v_cndmask_b32_e32 v1, v3, v1, vcc_lo
	v_cndmask_b32_e64 v5, v6, 1, vcc_lo
.LBB122_73:
	s_or_b32 exec_lo, exec_lo, s2
	v_mov_b32_e32 v8, v5
.LBB122_74:
	s_or_b32 exec_lo, exec_lo, s0
.LBB122_75:
	s_or_b32 exec_lo, exec_lo, s1
.LBB122_76:
	s_load_dword s0, s[4:5], 0x50
	s_mov_b32 s1, exec_lo
	v_cmpx_eq_u32_e32 0, v0
	s_cbranch_execz .LBB122_78
; %bb.77:
	s_mul_i32 s1, s18, s17
	s_mul_hi_u32 s2, s18, s16
	s_mul_i32 s3, s19, s16
	s_add_i32 s1, s2, s1
	s_mul_i32 s2, s18, s16
	s_add_i32 s3, s1, s3
	v_mov_b32_e32 v0, 0
	s_lshl_b64 s[2:3], s[2:3], 4
	s_add_u32 s1, s14, s2
	s_addc_u32 s4, s15, s3
	s_cmp_eq_u64 s[12:13], 0
	s_cselect_b32 s5, -1, 0
	s_lshl_b64 s[2:3], s[6:7], 4
	s_waitcnt lgkmcnt(0)
	v_cndmask_b32_e64 v3, v8, s0, s5
	v_cndmask_b32_e64 v2, v2, s9, s5
	v_cndmask_b32_e64 v1, v1, s8, s5
	s_add_u32 s0, s1, s2
	s_addc_u32 s1, s4, s3
	global_store_byte v0, v3, s[0:1]
	global_store_dwordx2 v0, v[1:2], s[0:1] offset:8
.LBB122_78:
	s_endpgm
	.section	.rodata,"a",@progbits
	.p2align	6, 0x0
	.amdhsa_kernel _ZN7rocprim17ROCPRIM_400000_NS6detail17trampoline_kernelINS0_14default_configENS1_22reduce_config_selectorIN6thrust23THRUST_200600_302600_NS5tupleIblNS6_9null_typeES8_S8_S8_S8_S8_S8_S8_EEEEZNS1_11reduce_implILb1ES3_NS6_12zip_iteratorINS7_INS6_11hip_rocprim26transform_input_iterator_tIbNSD_35transform_pair_of_input_iterators_tIbNS6_6detail15normal_iteratorINS6_10device_ptrIKyEEEESL_NS6_8equal_toIyEEEENSG_9not_fun_tINSD_8identityEEEEENSD_19counting_iterator_tIlEES8_S8_S8_S8_S8_S8_S8_S8_EEEEPS9_S9_NSD_9__find_if7functorIS9_EEEE10hipError_tPvRmT1_T2_T3_mT4_P12ihipStream_tbEUlT_E0_NS1_11comp_targetILNS1_3genE8ELNS1_11target_archE1030ELNS1_3gpuE2ELNS1_3repE0EEENS1_30default_config_static_selectorELNS0_4arch9wavefront6targetE0EEEvS14_
		.amdhsa_group_segment_fixed_size 256
		.amdhsa_private_segment_fixed_size 0
		.amdhsa_kernarg_size 104
		.amdhsa_user_sgpr_count 6
		.amdhsa_user_sgpr_private_segment_buffer 1
		.amdhsa_user_sgpr_dispatch_ptr 0
		.amdhsa_user_sgpr_queue_ptr 0
		.amdhsa_user_sgpr_kernarg_segment_ptr 1
		.amdhsa_user_sgpr_dispatch_id 0
		.amdhsa_user_sgpr_flat_scratch_init 0
		.amdhsa_user_sgpr_private_segment_size 0
		.amdhsa_wavefront_size32 1
		.amdhsa_uses_dynamic_stack 0
		.amdhsa_system_sgpr_private_segment_wavefront_offset 0
		.amdhsa_system_sgpr_workgroup_id_x 1
		.amdhsa_system_sgpr_workgroup_id_y 0
		.amdhsa_system_sgpr_workgroup_id_z 0
		.amdhsa_system_sgpr_workgroup_info 0
		.amdhsa_system_vgpr_workitem_id 0
		.amdhsa_next_free_vgpr 14
		.amdhsa_next_free_sgpr 28
		.amdhsa_reserve_vcc 1
		.amdhsa_reserve_flat_scratch 0
		.amdhsa_float_round_mode_32 0
		.amdhsa_float_round_mode_16_64 0
		.amdhsa_float_denorm_mode_32 3
		.amdhsa_float_denorm_mode_16_64 3
		.amdhsa_dx10_clamp 1
		.amdhsa_ieee_mode 1
		.amdhsa_fp16_overflow 0
		.amdhsa_workgroup_processor_mode 1
		.amdhsa_memory_ordered 1
		.amdhsa_forward_progress 1
		.amdhsa_shared_vgpr_count 0
		.amdhsa_exception_fp_ieee_invalid_op 0
		.amdhsa_exception_fp_denorm_src 0
		.amdhsa_exception_fp_ieee_div_zero 0
		.amdhsa_exception_fp_ieee_overflow 0
		.amdhsa_exception_fp_ieee_underflow 0
		.amdhsa_exception_fp_ieee_inexact 0
		.amdhsa_exception_int_div_zero 0
	.end_amdhsa_kernel
	.section	.text._ZN7rocprim17ROCPRIM_400000_NS6detail17trampoline_kernelINS0_14default_configENS1_22reduce_config_selectorIN6thrust23THRUST_200600_302600_NS5tupleIblNS6_9null_typeES8_S8_S8_S8_S8_S8_S8_EEEEZNS1_11reduce_implILb1ES3_NS6_12zip_iteratorINS7_INS6_11hip_rocprim26transform_input_iterator_tIbNSD_35transform_pair_of_input_iterators_tIbNS6_6detail15normal_iteratorINS6_10device_ptrIKyEEEESL_NS6_8equal_toIyEEEENSG_9not_fun_tINSD_8identityEEEEENSD_19counting_iterator_tIlEES8_S8_S8_S8_S8_S8_S8_S8_EEEEPS9_S9_NSD_9__find_if7functorIS9_EEEE10hipError_tPvRmT1_T2_T3_mT4_P12ihipStream_tbEUlT_E0_NS1_11comp_targetILNS1_3genE8ELNS1_11target_archE1030ELNS1_3gpuE2ELNS1_3repE0EEENS1_30default_config_static_selectorELNS0_4arch9wavefront6targetE0EEEvS14_,"axG",@progbits,_ZN7rocprim17ROCPRIM_400000_NS6detail17trampoline_kernelINS0_14default_configENS1_22reduce_config_selectorIN6thrust23THRUST_200600_302600_NS5tupleIblNS6_9null_typeES8_S8_S8_S8_S8_S8_S8_EEEEZNS1_11reduce_implILb1ES3_NS6_12zip_iteratorINS7_INS6_11hip_rocprim26transform_input_iterator_tIbNSD_35transform_pair_of_input_iterators_tIbNS6_6detail15normal_iteratorINS6_10device_ptrIKyEEEESL_NS6_8equal_toIyEEEENSG_9not_fun_tINSD_8identityEEEEENSD_19counting_iterator_tIlEES8_S8_S8_S8_S8_S8_S8_S8_EEEEPS9_S9_NSD_9__find_if7functorIS9_EEEE10hipError_tPvRmT1_T2_T3_mT4_P12ihipStream_tbEUlT_E0_NS1_11comp_targetILNS1_3genE8ELNS1_11target_archE1030ELNS1_3gpuE2ELNS1_3repE0EEENS1_30default_config_static_selectorELNS0_4arch9wavefront6targetE0EEEvS14_,comdat
.Lfunc_end122:
	.size	_ZN7rocprim17ROCPRIM_400000_NS6detail17trampoline_kernelINS0_14default_configENS1_22reduce_config_selectorIN6thrust23THRUST_200600_302600_NS5tupleIblNS6_9null_typeES8_S8_S8_S8_S8_S8_S8_EEEEZNS1_11reduce_implILb1ES3_NS6_12zip_iteratorINS7_INS6_11hip_rocprim26transform_input_iterator_tIbNSD_35transform_pair_of_input_iterators_tIbNS6_6detail15normal_iteratorINS6_10device_ptrIKyEEEESL_NS6_8equal_toIyEEEENSG_9not_fun_tINSD_8identityEEEEENSD_19counting_iterator_tIlEES8_S8_S8_S8_S8_S8_S8_S8_EEEEPS9_S9_NSD_9__find_if7functorIS9_EEEE10hipError_tPvRmT1_T2_T3_mT4_P12ihipStream_tbEUlT_E0_NS1_11comp_targetILNS1_3genE8ELNS1_11target_archE1030ELNS1_3gpuE2ELNS1_3repE0EEENS1_30default_config_static_selectorELNS0_4arch9wavefront6targetE0EEEvS14_, .Lfunc_end122-_ZN7rocprim17ROCPRIM_400000_NS6detail17trampoline_kernelINS0_14default_configENS1_22reduce_config_selectorIN6thrust23THRUST_200600_302600_NS5tupleIblNS6_9null_typeES8_S8_S8_S8_S8_S8_S8_EEEEZNS1_11reduce_implILb1ES3_NS6_12zip_iteratorINS7_INS6_11hip_rocprim26transform_input_iterator_tIbNSD_35transform_pair_of_input_iterators_tIbNS6_6detail15normal_iteratorINS6_10device_ptrIKyEEEESL_NS6_8equal_toIyEEEENSG_9not_fun_tINSD_8identityEEEEENSD_19counting_iterator_tIlEES8_S8_S8_S8_S8_S8_S8_S8_EEEEPS9_S9_NSD_9__find_if7functorIS9_EEEE10hipError_tPvRmT1_T2_T3_mT4_P12ihipStream_tbEUlT_E0_NS1_11comp_targetILNS1_3genE8ELNS1_11target_archE1030ELNS1_3gpuE2ELNS1_3repE0EEENS1_30default_config_static_selectorELNS0_4arch9wavefront6targetE0EEEvS14_
                                        ; -- End function
	.set _ZN7rocprim17ROCPRIM_400000_NS6detail17trampoline_kernelINS0_14default_configENS1_22reduce_config_selectorIN6thrust23THRUST_200600_302600_NS5tupleIblNS6_9null_typeES8_S8_S8_S8_S8_S8_S8_EEEEZNS1_11reduce_implILb1ES3_NS6_12zip_iteratorINS7_INS6_11hip_rocprim26transform_input_iterator_tIbNSD_35transform_pair_of_input_iterators_tIbNS6_6detail15normal_iteratorINS6_10device_ptrIKyEEEESL_NS6_8equal_toIyEEEENSG_9not_fun_tINSD_8identityEEEEENSD_19counting_iterator_tIlEES8_S8_S8_S8_S8_S8_S8_S8_EEEEPS9_S9_NSD_9__find_if7functorIS9_EEEE10hipError_tPvRmT1_T2_T3_mT4_P12ihipStream_tbEUlT_E0_NS1_11comp_targetILNS1_3genE8ELNS1_11target_archE1030ELNS1_3gpuE2ELNS1_3repE0EEENS1_30default_config_static_selectorELNS0_4arch9wavefront6targetE0EEEvS14_.num_vgpr, 14
	.set _ZN7rocprim17ROCPRIM_400000_NS6detail17trampoline_kernelINS0_14default_configENS1_22reduce_config_selectorIN6thrust23THRUST_200600_302600_NS5tupleIblNS6_9null_typeES8_S8_S8_S8_S8_S8_S8_EEEEZNS1_11reduce_implILb1ES3_NS6_12zip_iteratorINS7_INS6_11hip_rocprim26transform_input_iterator_tIbNSD_35transform_pair_of_input_iterators_tIbNS6_6detail15normal_iteratorINS6_10device_ptrIKyEEEESL_NS6_8equal_toIyEEEENSG_9not_fun_tINSD_8identityEEEEENSD_19counting_iterator_tIlEES8_S8_S8_S8_S8_S8_S8_S8_EEEEPS9_S9_NSD_9__find_if7functorIS9_EEEE10hipError_tPvRmT1_T2_T3_mT4_P12ihipStream_tbEUlT_E0_NS1_11comp_targetILNS1_3genE8ELNS1_11target_archE1030ELNS1_3gpuE2ELNS1_3repE0EEENS1_30default_config_static_selectorELNS0_4arch9wavefront6targetE0EEEvS14_.num_agpr, 0
	.set _ZN7rocprim17ROCPRIM_400000_NS6detail17trampoline_kernelINS0_14default_configENS1_22reduce_config_selectorIN6thrust23THRUST_200600_302600_NS5tupleIblNS6_9null_typeES8_S8_S8_S8_S8_S8_S8_EEEEZNS1_11reduce_implILb1ES3_NS6_12zip_iteratorINS7_INS6_11hip_rocprim26transform_input_iterator_tIbNSD_35transform_pair_of_input_iterators_tIbNS6_6detail15normal_iteratorINS6_10device_ptrIKyEEEESL_NS6_8equal_toIyEEEENSG_9not_fun_tINSD_8identityEEEEENSD_19counting_iterator_tIlEES8_S8_S8_S8_S8_S8_S8_S8_EEEEPS9_S9_NSD_9__find_if7functorIS9_EEEE10hipError_tPvRmT1_T2_T3_mT4_P12ihipStream_tbEUlT_E0_NS1_11comp_targetILNS1_3genE8ELNS1_11target_archE1030ELNS1_3gpuE2ELNS1_3repE0EEENS1_30default_config_static_selectorELNS0_4arch9wavefront6targetE0EEEvS14_.numbered_sgpr, 28
	.set _ZN7rocprim17ROCPRIM_400000_NS6detail17trampoline_kernelINS0_14default_configENS1_22reduce_config_selectorIN6thrust23THRUST_200600_302600_NS5tupleIblNS6_9null_typeES8_S8_S8_S8_S8_S8_S8_EEEEZNS1_11reduce_implILb1ES3_NS6_12zip_iteratorINS7_INS6_11hip_rocprim26transform_input_iterator_tIbNSD_35transform_pair_of_input_iterators_tIbNS6_6detail15normal_iteratorINS6_10device_ptrIKyEEEESL_NS6_8equal_toIyEEEENSG_9not_fun_tINSD_8identityEEEEENSD_19counting_iterator_tIlEES8_S8_S8_S8_S8_S8_S8_S8_EEEEPS9_S9_NSD_9__find_if7functorIS9_EEEE10hipError_tPvRmT1_T2_T3_mT4_P12ihipStream_tbEUlT_E0_NS1_11comp_targetILNS1_3genE8ELNS1_11target_archE1030ELNS1_3gpuE2ELNS1_3repE0EEENS1_30default_config_static_selectorELNS0_4arch9wavefront6targetE0EEEvS14_.num_named_barrier, 0
	.set _ZN7rocprim17ROCPRIM_400000_NS6detail17trampoline_kernelINS0_14default_configENS1_22reduce_config_selectorIN6thrust23THRUST_200600_302600_NS5tupleIblNS6_9null_typeES8_S8_S8_S8_S8_S8_S8_EEEEZNS1_11reduce_implILb1ES3_NS6_12zip_iteratorINS7_INS6_11hip_rocprim26transform_input_iterator_tIbNSD_35transform_pair_of_input_iterators_tIbNS6_6detail15normal_iteratorINS6_10device_ptrIKyEEEESL_NS6_8equal_toIyEEEENSG_9not_fun_tINSD_8identityEEEEENSD_19counting_iterator_tIlEES8_S8_S8_S8_S8_S8_S8_S8_EEEEPS9_S9_NSD_9__find_if7functorIS9_EEEE10hipError_tPvRmT1_T2_T3_mT4_P12ihipStream_tbEUlT_E0_NS1_11comp_targetILNS1_3genE8ELNS1_11target_archE1030ELNS1_3gpuE2ELNS1_3repE0EEENS1_30default_config_static_selectorELNS0_4arch9wavefront6targetE0EEEvS14_.private_seg_size, 0
	.set _ZN7rocprim17ROCPRIM_400000_NS6detail17trampoline_kernelINS0_14default_configENS1_22reduce_config_selectorIN6thrust23THRUST_200600_302600_NS5tupleIblNS6_9null_typeES8_S8_S8_S8_S8_S8_S8_EEEEZNS1_11reduce_implILb1ES3_NS6_12zip_iteratorINS7_INS6_11hip_rocprim26transform_input_iterator_tIbNSD_35transform_pair_of_input_iterators_tIbNS6_6detail15normal_iteratorINS6_10device_ptrIKyEEEESL_NS6_8equal_toIyEEEENSG_9not_fun_tINSD_8identityEEEEENSD_19counting_iterator_tIlEES8_S8_S8_S8_S8_S8_S8_S8_EEEEPS9_S9_NSD_9__find_if7functorIS9_EEEE10hipError_tPvRmT1_T2_T3_mT4_P12ihipStream_tbEUlT_E0_NS1_11comp_targetILNS1_3genE8ELNS1_11target_archE1030ELNS1_3gpuE2ELNS1_3repE0EEENS1_30default_config_static_selectorELNS0_4arch9wavefront6targetE0EEEvS14_.uses_vcc, 1
	.set _ZN7rocprim17ROCPRIM_400000_NS6detail17trampoline_kernelINS0_14default_configENS1_22reduce_config_selectorIN6thrust23THRUST_200600_302600_NS5tupleIblNS6_9null_typeES8_S8_S8_S8_S8_S8_S8_EEEEZNS1_11reduce_implILb1ES3_NS6_12zip_iteratorINS7_INS6_11hip_rocprim26transform_input_iterator_tIbNSD_35transform_pair_of_input_iterators_tIbNS6_6detail15normal_iteratorINS6_10device_ptrIKyEEEESL_NS6_8equal_toIyEEEENSG_9not_fun_tINSD_8identityEEEEENSD_19counting_iterator_tIlEES8_S8_S8_S8_S8_S8_S8_S8_EEEEPS9_S9_NSD_9__find_if7functorIS9_EEEE10hipError_tPvRmT1_T2_T3_mT4_P12ihipStream_tbEUlT_E0_NS1_11comp_targetILNS1_3genE8ELNS1_11target_archE1030ELNS1_3gpuE2ELNS1_3repE0EEENS1_30default_config_static_selectorELNS0_4arch9wavefront6targetE0EEEvS14_.uses_flat_scratch, 0
	.set _ZN7rocprim17ROCPRIM_400000_NS6detail17trampoline_kernelINS0_14default_configENS1_22reduce_config_selectorIN6thrust23THRUST_200600_302600_NS5tupleIblNS6_9null_typeES8_S8_S8_S8_S8_S8_S8_EEEEZNS1_11reduce_implILb1ES3_NS6_12zip_iteratorINS7_INS6_11hip_rocprim26transform_input_iterator_tIbNSD_35transform_pair_of_input_iterators_tIbNS6_6detail15normal_iteratorINS6_10device_ptrIKyEEEESL_NS6_8equal_toIyEEEENSG_9not_fun_tINSD_8identityEEEEENSD_19counting_iterator_tIlEES8_S8_S8_S8_S8_S8_S8_S8_EEEEPS9_S9_NSD_9__find_if7functorIS9_EEEE10hipError_tPvRmT1_T2_T3_mT4_P12ihipStream_tbEUlT_E0_NS1_11comp_targetILNS1_3genE8ELNS1_11target_archE1030ELNS1_3gpuE2ELNS1_3repE0EEENS1_30default_config_static_selectorELNS0_4arch9wavefront6targetE0EEEvS14_.has_dyn_sized_stack, 0
	.set _ZN7rocprim17ROCPRIM_400000_NS6detail17trampoline_kernelINS0_14default_configENS1_22reduce_config_selectorIN6thrust23THRUST_200600_302600_NS5tupleIblNS6_9null_typeES8_S8_S8_S8_S8_S8_S8_EEEEZNS1_11reduce_implILb1ES3_NS6_12zip_iteratorINS7_INS6_11hip_rocprim26transform_input_iterator_tIbNSD_35transform_pair_of_input_iterators_tIbNS6_6detail15normal_iteratorINS6_10device_ptrIKyEEEESL_NS6_8equal_toIyEEEENSG_9not_fun_tINSD_8identityEEEEENSD_19counting_iterator_tIlEES8_S8_S8_S8_S8_S8_S8_S8_EEEEPS9_S9_NSD_9__find_if7functorIS9_EEEE10hipError_tPvRmT1_T2_T3_mT4_P12ihipStream_tbEUlT_E0_NS1_11comp_targetILNS1_3genE8ELNS1_11target_archE1030ELNS1_3gpuE2ELNS1_3repE0EEENS1_30default_config_static_selectorELNS0_4arch9wavefront6targetE0EEEvS14_.has_recursion, 0
	.set _ZN7rocprim17ROCPRIM_400000_NS6detail17trampoline_kernelINS0_14default_configENS1_22reduce_config_selectorIN6thrust23THRUST_200600_302600_NS5tupleIblNS6_9null_typeES8_S8_S8_S8_S8_S8_S8_EEEEZNS1_11reduce_implILb1ES3_NS6_12zip_iteratorINS7_INS6_11hip_rocprim26transform_input_iterator_tIbNSD_35transform_pair_of_input_iterators_tIbNS6_6detail15normal_iteratorINS6_10device_ptrIKyEEEESL_NS6_8equal_toIyEEEENSG_9not_fun_tINSD_8identityEEEEENSD_19counting_iterator_tIlEES8_S8_S8_S8_S8_S8_S8_S8_EEEEPS9_S9_NSD_9__find_if7functorIS9_EEEE10hipError_tPvRmT1_T2_T3_mT4_P12ihipStream_tbEUlT_E0_NS1_11comp_targetILNS1_3genE8ELNS1_11target_archE1030ELNS1_3gpuE2ELNS1_3repE0EEENS1_30default_config_static_selectorELNS0_4arch9wavefront6targetE0EEEvS14_.has_indirect_call, 0
	.section	.AMDGPU.csdata,"",@progbits
; Kernel info:
; codeLenInByte = 3248
; TotalNumSgprs: 30
; NumVgprs: 14
; ScratchSize: 0
; MemoryBound: 0
; FloatMode: 240
; IeeeMode: 1
; LDSByteSize: 256 bytes/workgroup (compile time only)
; SGPRBlocks: 0
; VGPRBlocks: 1
; NumSGPRsForWavesPerEU: 30
; NumVGPRsForWavesPerEU: 14
; Occupancy: 16
; WaveLimiterHint : 0
; COMPUTE_PGM_RSRC2:SCRATCH_EN: 0
; COMPUTE_PGM_RSRC2:USER_SGPR: 6
; COMPUTE_PGM_RSRC2:TRAP_HANDLER: 0
; COMPUTE_PGM_RSRC2:TGID_X_EN: 1
; COMPUTE_PGM_RSRC2:TGID_Y_EN: 0
; COMPUTE_PGM_RSRC2:TGID_Z_EN: 0
; COMPUTE_PGM_RSRC2:TIDIG_COMP_CNT: 0
	.section	.text._ZN7rocprim17ROCPRIM_400000_NS6detail17trampoline_kernelINS0_14default_configENS1_22reduce_config_selectorIN6thrust23THRUST_200600_302600_NS5tupleIblNS6_9null_typeES8_S8_S8_S8_S8_S8_S8_EEEEZNS1_11reduce_implILb1ES3_NS6_12zip_iteratorINS7_INS6_11hip_rocprim26transform_input_iterator_tIbNSD_35transform_pair_of_input_iterators_tIbNS6_6detail15normal_iteratorINS6_10device_ptrIKyEEEESL_NS6_8equal_toIyEEEENSG_9not_fun_tINSD_8identityEEEEENSD_19counting_iterator_tIlEES8_S8_S8_S8_S8_S8_S8_S8_EEEEPS9_S9_NSD_9__find_if7functorIS9_EEEE10hipError_tPvRmT1_T2_T3_mT4_P12ihipStream_tbEUlT_E1_NS1_11comp_targetILNS1_3genE0ELNS1_11target_archE4294967295ELNS1_3gpuE0ELNS1_3repE0EEENS1_30default_config_static_selectorELNS0_4arch9wavefront6targetE0EEEvS14_,"axG",@progbits,_ZN7rocprim17ROCPRIM_400000_NS6detail17trampoline_kernelINS0_14default_configENS1_22reduce_config_selectorIN6thrust23THRUST_200600_302600_NS5tupleIblNS6_9null_typeES8_S8_S8_S8_S8_S8_S8_EEEEZNS1_11reduce_implILb1ES3_NS6_12zip_iteratorINS7_INS6_11hip_rocprim26transform_input_iterator_tIbNSD_35transform_pair_of_input_iterators_tIbNS6_6detail15normal_iteratorINS6_10device_ptrIKyEEEESL_NS6_8equal_toIyEEEENSG_9not_fun_tINSD_8identityEEEEENSD_19counting_iterator_tIlEES8_S8_S8_S8_S8_S8_S8_S8_EEEEPS9_S9_NSD_9__find_if7functorIS9_EEEE10hipError_tPvRmT1_T2_T3_mT4_P12ihipStream_tbEUlT_E1_NS1_11comp_targetILNS1_3genE0ELNS1_11target_archE4294967295ELNS1_3gpuE0ELNS1_3repE0EEENS1_30default_config_static_selectorELNS0_4arch9wavefront6targetE0EEEvS14_,comdat
	.protected	_ZN7rocprim17ROCPRIM_400000_NS6detail17trampoline_kernelINS0_14default_configENS1_22reduce_config_selectorIN6thrust23THRUST_200600_302600_NS5tupleIblNS6_9null_typeES8_S8_S8_S8_S8_S8_S8_EEEEZNS1_11reduce_implILb1ES3_NS6_12zip_iteratorINS7_INS6_11hip_rocprim26transform_input_iterator_tIbNSD_35transform_pair_of_input_iterators_tIbNS6_6detail15normal_iteratorINS6_10device_ptrIKyEEEESL_NS6_8equal_toIyEEEENSG_9not_fun_tINSD_8identityEEEEENSD_19counting_iterator_tIlEES8_S8_S8_S8_S8_S8_S8_S8_EEEEPS9_S9_NSD_9__find_if7functorIS9_EEEE10hipError_tPvRmT1_T2_T3_mT4_P12ihipStream_tbEUlT_E1_NS1_11comp_targetILNS1_3genE0ELNS1_11target_archE4294967295ELNS1_3gpuE0ELNS1_3repE0EEENS1_30default_config_static_selectorELNS0_4arch9wavefront6targetE0EEEvS14_ ; -- Begin function _ZN7rocprim17ROCPRIM_400000_NS6detail17trampoline_kernelINS0_14default_configENS1_22reduce_config_selectorIN6thrust23THRUST_200600_302600_NS5tupleIblNS6_9null_typeES8_S8_S8_S8_S8_S8_S8_EEEEZNS1_11reduce_implILb1ES3_NS6_12zip_iteratorINS7_INS6_11hip_rocprim26transform_input_iterator_tIbNSD_35transform_pair_of_input_iterators_tIbNS6_6detail15normal_iteratorINS6_10device_ptrIKyEEEESL_NS6_8equal_toIyEEEENSG_9not_fun_tINSD_8identityEEEEENSD_19counting_iterator_tIlEES8_S8_S8_S8_S8_S8_S8_S8_EEEEPS9_S9_NSD_9__find_if7functorIS9_EEEE10hipError_tPvRmT1_T2_T3_mT4_P12ihipStream_tbEUlT_E1_NS1_11comp_targetILNS1_3genE0ELNS1_11target_archE4294967295ELNS1_3gpuE0ELNS1_3repE0EEENS1_30default_config_static_selectorELNS0_4arch9wavefront6targetE0EEEvS14_
	.globl	_ZN7rocprim17ROCPRIM_400000_NS6detail17trampoline_kernelINS0_14default_configENS1_22reduce_config_selectorIN6thrust23THRUST_200600_302600_NS5tupleIblNS6_9null_typeES8_S8_S8_S8_S8_S8_S8_EEEEZNS1_11reduce_implILb1ES3_NS6_12zip_iteratorINS7_INS6_11hip_rocprim26transform_input_iterator_tIbNSD_35transform_pair_of_input_iterators_tIbNS6_6detail15normal_iteratorINS6_10device_ptrIKyEEEESL_NS6_8equal_toIyEEEENSG_9not_fun_tINSD_8identityEEEEENSD_19counting_iterator_tIlEES8_S8_S8_S8_S8_S8_S8_S8_EEEEPS9_S9_NSD_9__find_if7functorIS9_EEEE10hipError_tPvRmT1_T2_T3_mT4_P12ihipStream_tbEUlT_E1_NS1_11comp_targetILNS1_3genE0ELNS1_11target_archE4294967295ELNS1_3gpuE0ELNS1_3repE0EEENS1_30default_config_static_selectorELNS0_4arch9wavefront6targetE0EEEvS14_
	.p2align	8
	.type	_ZN7rocprim17ROCPRIM_400000_NS6detail17trampoline_kernelINS0_14default_configENS1_22reduce_config_selectorIN6thrust23THRUST_200600_302600_NS5tupleIblNS6_9null_typeES8_S8_S8_S8_S8_S8_S8_EEEEZNS1_11reduce_implILb1ES3_NS6_12zip_iteratorINS7_INS6_11hip_rocprim26transform_input_iterator_tIbNSD_35transform_pair_of_input_iterators_tIbNS6_6detail15normal_iteratorINS6_10device_ptrIKyEEEESL_NS6_8equal_toIyEEEENSG_9not_fun_tINSD_8identityEEEEENSD_19counting_iterator_tIlEES8_S8_S8_S8_S8_S8_S8_S8_EEEEPS9_S9_NSD_9__find_if7functorIS9_EEEE10hipError_tPvRmT1_T2_T3_mT4_P12ihipStream_tbEUlT_E1_NS1_11comp_targetILNS1_3genE0ELNS1_11target_archE4294967295ELNS1_3gpuE0ELNS1_3repE0EEENS1_30default_config_static_selectorELNS0_4arch9wavefront6targetE0EEEvS14_,@function
_ZN7rocprim17ROCPRIM_400000_NS6detail17trampoline_kernelINS0_14default_configENS1_22reduce_config_selectorIN6thrust23THRUST_200600_302600_NS5tupleIblNS6_9null_typeES8_S8_S8_S8_S8_S8_S8_EEEEZNS1_11reduce_implILb1ES3_NS6_12zip_iteratorINS7_INS6_11hip_rocprim26transform_input_iterator_tIbNSD_35transform_pair_of_input_iterators_tIbNS6_6detail15normal_iteratorINS6_10device_ptrIKyEEEESL_NS6_8equal_toIyEEEENSG_9not_fun_tINSD_8identityEEEEENSD_19counting_iterator_tIlEES8_S8_S8_S8_S8_S8_S8_S8_EEEEPS9_S9_NSD_9__find_if7functorIS9_EEEE10hipError_tPvRmT1_T2_T3_mT4_P12ihipStream_tbEUlT_E1_NS1_11comp_targetILNS1_3genE0ELNS1_11target_archE4294967295ELNS1_3gpuE0ELNS1_3repE0EEENS1_30default_config_static_selectorELNS0_4arch9wavefront6targetE0EEEvS14_: ; @_ZN7rocprim17ROCPRIM_400000_NS6detail17trampoline_kernelINS0_14default_configENS1_22reduce_config_selectorIN6thrust23THRUST_200600_302600_NS5tupleIblNS6_9null_typeES8_S8_S8_S8_S8_S8_S8_EEEEZNS1_11reduce_implILb1ES3_NS6_12zip_iteratorINS7_INS6_11hip_rocprim26transform_input_iterator_tIbNSD_35transform_pair_of_input_iterators_tIbNS6_6detail15normal_iteratorINS6_10device_ptrIKyEEEESL_NS6_8equal_toIyEEEENSG_9not_fun_tINSD_8identityEEEEENSD_19counting_iterator_tIlEES8_S8_S8_S8_S8_S8_S8_S8_EEEEPS9_S9_NSD_9__find_if7functorIS9_EEEE10hipError_tPvRmT1_T2_T3_mT4_P12ihipStream_tbEUlT_E1_NS1_11comp_targetILNS1_3genE0ELNS1_11target_archE4294967295ELNS1_3gpuE0ELNS1_3repE0EEENS1_30default_config_static_selectorELNS0_4arch9wavefront6targetE0EEEvS14_
; %bb.0:
	.section	.rodata,"a",@progbits
	.p2align	6, 0x0
	.amdhsa_kernel _ZN7rocprim17ROCPRIM_400000_NS6detail17trampoline_kernelINS0_14default_configENS1_22reduce_config_selectorIN6thrust23THRUST_200600_302600_NS5tupleIblNS6_9null_typeES8_S8_S8_S8_S8_S8_S8_EEEEZNS1_11reduce_implILb1ES3_NS6_12zip_iteratorINS7_INS6_11hip_rocprim26transform_input_iterator_tIbNSD_35transform_pair_of_input_iterators_tIbNS6_6detail15normal_iteratorINS6_10device_ptrIKyEEEESL_NS6_8equal_toIyEEEENSG_9not_fun_tINSD_8identityEEEEENSD_19counting_iterator_tIlEES8_S8_S8_S8_S8_S8_S8_S8_EEEEPS9_S9_NSD_9__find_if7functorIS9_EEEE10hipError_tPvRmT1_T2_T3_mT4_P12ihipStream_tbEUlT_E1_NS1_11comp_targetILNS1_3genE0ELNS1_11target_archE4294967295ELNS1_3gpuE0ELNS1_3repE0EEENS1_30default_config_static_selectorELNS0_4arch9wavefront6targetE0EEEvS14_
		.amdhsa_group_segment_fixed_size 0
		.amdhsa_private_segment_fixed_size 0
		.amdhsa_kernarg_size 88
		.amdhsa_user_sgpr_count 6
		.amdhsa_user_sgpr_private_segment_buffer 1
		.amdhsa_user_sgpr_dispatch_ptr 0
		.amdhsa_user_sgpr_queue_ptr 0
		.amdhsa_user_sgpr_kernarg_segment_ptr 1
		.amdhsa_user_sgpr_dispatch_id 0
		.amdhsa_user_sgpr_flat_scratch_init 0
		.amdhsa_user_sgpr_private_segment_size 0
		.amdhsa_wavefront_size32 1
		.amdhsa_uses_dynamic_stack 0
		.amdhsa_system_sgpr_private_segment_wavefront_offset 0
		.amdhsa_system_sgpr_workgroup_id_x 1
		.amdhsa_system_sgpr_workgroup_id_y 0
		.amdhsa_system_sgpr_workgroup_id_z 0
		.amdhsa_system_sgpr_workgroup_info 0
		.amdhsa_system_vgpr_workitem_id 0
		.amdhsa_next_free_vgpr 1
		.amdhsa_next_free_sgpr 1
		.amdhsa_reserve_vcc 0
		.amdhsa_reserve_flat_scratch 0
		.amdhsa_float_round_mode_32 0
		.amdhsa_float_round_mode_16_64 0
		.amdhsa_float_denorm_mode_32 3
		.amdhsa_float_denorm_mode_16_64 3
		.amdhsa_dx10_clamp 1
		.amdhsa_ieee_mode 1
		.amdhsa_fp16_overflow 0
		.amdhsa_workgroup_processor_mode 1
		.amdhsa_memory_ordered 1
		.amdhsa_forward_progress 1
		.amdhsa_shared_vgpr_count 0
		.amdhsa_exception_fp_ieee_invalid_op 0
		.amdhsa_exception_fp_denorm_src 0
		.amdhsa_exception_fp_ieee_div_zero 0
		.amdhsa_exception_fp_ieee_overflow 0
		.amdhsa_exception_fp_ieee_underflow 0
		.amdhsa_exception_fp_ieee_inexact 0
		.amdhsa_exception_int_div_zero 0
	.end_amdhsa_kernel
	.section	.text._ZN7rocprim17ROCPRIM_400000_NS6detail17trampoline_kernelINS0_14default_configENS1_22reduce_config_selectorIN6thrust23THRUST_200600_302600_NS5tupleIblNS6_9null_typeES8_S8_S8_S8_S8_S8_S8_EEEEZNS1_11reduce_implILb1ES3_NS6_12zip_iteratorINS7_INS6_11hip_rocprim26transform_input_iterator_tIbNSD_35transform_pair_of_input_iterators_tIbNS6_6detail15normal_iteratorINS6_10device_ptrIKyEEEESL_NS6_8equal_toIyEEEENSG_9not_fun_tINSD_8identityEEEEENSD_19counting_iterator_tIlEES8_S8_S8_S8_S8_S8_S8_S8_EEEEPS9_S9_NSD_9__find_if7functorIS9_EEEE10hipError_tPvRmT1_T2_T3_mT4_P12ihipStream_tbEUlT_E1_NS1_11comp_targetILNS1_3genE0ELNS1_11target_archE4294967295ELNS1_3gpuE0ELNS1_3repE0EEENS1_30default_config_static_selectorELNS0_4arch9wavefront6targetE0EEEvS14_,"axG",@progbits,_ZN7rocprim17ROCPRIM_400000_NS6detail17trampoline_kernelINS0_14default_configENS1_22reduce_config_selectorIN6thrust23THRUST_200600_302600_NS5tupleIblNS6_9null_typeES8_S8_S8_S8_S8_S8_S8_EEEEZNS1_11reduce_implILb1ES3_NS6_12zip_iteratorINS7_INS6_11hip_rocprim26transform_input_iterator_tIbNSD_35transform_pair_of_input_iterators_tIbNS6_6detail15normal_iteratorINS6_10device_ptrIKyEEEESL_NS6_8equal_toIyEEEENSG_9not_fun_tINSD_8identityEEEEENSD_19counting_iterator_tIlEES8_S8_S8_S8_S8_S8_S8_S8_EEEEPS9_S9_NSD_9__find_if7functorIS9_EEEE10hipError_tPvRmT1_T2_T3_mT4_P12ihipStream_tbEUlT_E1_NS1_11comp_targetILNS1_3genE0ELNS1_11target_archE4294967295ELNS1_3gpuE0ELNS1_3repE0EEENS1_30default_config_static_selectorELNS0_4arch9wavefront6targetE0EEEvS14_,comdat
.Lfunc_end123:
	.size	_ZN7rocprim17ROCPRIM_400000_NS6detail17trampoline_kernelINS0_14default_configENS1_22reduce_config_selectorIN6thrust23THRUST_200600_302600_NS5tupleIblNS6_9null_typeES8_S8_S8_S8_S8_S8_S8_EEEEZNS1_11reduce_implILb1ES3_NS6_12zip_iteratorINS7_INS6_11hip_rocprim26transform_input_iterator_tIbNSD_35transform_pair_of_input_iterators_tIbNS6_6detail15normal_iteratorINS6_10device_ptrIKyEEEESL_NS6_8equal_toIyEEEENSG_9not_fun_tINSD_8identityEEEEENSD_19counting_iterator_tIlEES8_S8_S8_S8_S8_S8_S8_S8_EEEEPS9_S9_NSD_9__find_if7functorIS9_EEEE10hipError_tPvRmT1_T2_T3_mT4_P12ihipStream_tbEUlT_E1_NS1_11comp_targetILNS1_3genE0ELNS1_11target_archE4294967295ELNS1_3gpuE0ELNS1_3repE0EEENS1_30default_config_static_selectorELNS0_4arch9wavefront6targetE0EEEvS14_, .Lfunc_end123-_ZN7rocprim17ROCPRIM_400000_NS6detail17trampoline_kernelINS0_14default_configENS1_22reduce_config_selectorIN6thrust23THRUST_200600_302600_NS5tupleIblNS6_9null_typeES8_S8_S8_S8_S8_S8_S8_EEEEZNS1_11reduce_implILb1ES3_NS6_12zip_iteratorINS7_INS6_11hip_rocprim26transform_input_iterator_tIbNSD_35transform_pair_of_input_iterators_tIbNS6_6detail15normal_iteratorINS6_10device_ptrIKyEEEESL_NS6_8equal_toIyEEEENSG_9not_fun_tINSD_8identityEEEEENSD_19counting_iterator_tIlEES8_S8_S8_S8_S8_S8_S8_S8_EEEEPS9_S9_NSD_9__find_if7functorIS9_EEEE10hipError_tPvRmT1_T2_T3_mT4_P12ihipStream_tbEUlT_E1_NS1_11comp_targetILNS1_3genE0ELNS1_11target_archE4294967295ELNS1_3gpuE0ELNS1_3repE0EEENS1_30default_config_static_selectorELNS0_4arch9wavefront6targetE0EEEvS14_
                                        ; -- End function
	.set _ZN7rocprim17ROCPRIM_400000_NS6detail17trampoline_kernelINS0_14default_configENS1_22reduce_config_selectorIN6thrust23THRUST_200600_302600_NS5tupleIblNS6_9null_typeES8_S8_S8_S8_S8_S8_S8_EEEEZNS1_11reduce_implILb1ES3_NS6_12zip_iteratorINS7_INS6_11hip_rocprim26transform_input_iterator_tIbNSD_35transform_pair_of_input_iterators_tIbNS6_6detail15normal_iteratorINS6_10device_ptrIKyEEEESL_NS6_8equal_toIyEEEENSG_9not_fun_tINSD_8identityEEEEENSD_19counting_iterator_tIlEES8_S8_S8_S8_S8_S8_S8_S8_EEEEPS9_S9_NSD_9__find_if7functorIS9_EEEE10hipError_tPvRmT1_T2_T3_mT4_P12ihipStream_tbEUlT_E1_NS1_11comp_targetILNS1_3genE0ELNS1_11target_archE4294967295ELNS1_3gpuE0ELNS1_3repE0EEENS1_30default_config_static_selectorELNS0_4arch9wavefront6targetE0EEEvS14_.num_vgpr, 0
	.set _ZN7rocprim17ROCPRIM_400000_NS6detail17trampoline_kernelINS0_14default_configENS1_22reduce_config_selectorIN6thrust23THRUST_200600_302600_NS5tupleIblNS6_9null_typeES8_S8_S8_S8_S8_S8_S8_EEEEZNS1_11reduce_implILb1ES3_NS6_12zip_iteratorINS7_INS6_11hip_rocprim26transform_input_iterator_tIbNSD_35transform_pair_of_input_iterators_tIbNS6_6detail15normal_iteratorINS6_10device_ptrIKyEEEESL_NS6_8equal_toIyEEEENSG_9not_fun_tINSD_8identityEEEEENSD_19counting_iterator_tIlEES8_S8_S8_S8_S8_S8_S8_S8_EEEEPS9_S9_NSD_9__find_if7functorIS9_EEEE10hipError_tPvRmT1_T2_T3_mT4_P12ihipStream_tbEUlT_E1_NS1_11comp_targetILNS1_3genE0ELNS1_11target_archE4294967295ELNS1_3gpuE0ELNS1_3repE0EEENS1_30default_config_static_selectorELNS0_4arch9wavefront6targetE0EEEvS14_.num_agpr, 0
	.set _ZN7rocprim17ROCPRIM_400000_NS6detail17trampoline_kernelINS0_14default_configENS1_22reduce_config_selectorIN6thrust23THRUST_200600_302600_NS5tupleIblNS6_9null_typeES8_S8_S8_S8_S8_S8_S8_EEEEZNS1_11reduce_implILb1ES3_NS6_12zip_iteratorINS7_INS6_11hip_rocprim26transform_input_iterator_tIbNSD_35transform_pair_of_input_iterators_tIbNS6_6detail15normal_iteratorINS6_10device_ptrIKyEEEESL_NS6_8equal_toIyEEEENSG_9not_fun_tINSD_8identityEEEEENSD_19counting_iterator_tIlEES8_S8_S8_S8_S8_S8_S8_S8_EEEEPS9_S9_NSD_9__find_if7functorIS9_EEEE10hipError_tPvRmT1_T2_T3_mT4_P12ihipStream_tbEUlT_E1_NS1_11comp_targetILNS1_3genE0ELNS1_11target_archE4294967295ELNS1_3gpuE0ELNS1_3repE0EEENS1_30default_config_static_selectorELNS0_4arch9wavefront6targetE0EEEvS14_.numbered_sgpr, 0
	.set _ZN7rocprim17ROCPRIM_400000_NS6detail17trampoline_kernelINS0_14default_configENS1_22reduce_config_selectorIN6thrust23THRUST_200600_302600_NS5tupleIblNS6_9null_typeES8_S8_S8_S8_S8_S8_S8_EEEEZNS1_11reduce_implILb1ES3_NS6_12zip_iteratorINS7_INS6_11hip_rocprim26transform_input_iterator_tIbNSD_35transform_pair_of_input_iterators_tIbNS6_6detail15normal_iteratorINS6_10device_ptrIKyEEEESL_NS6_8equal_toIyEEEENSG_9not_fun_tINSD_8identityEEEEENSD_19counting_iterator_tIlEES8_S8_S8_S8_S8_S8_S8_S8_EEEEPS9_S9_NSD_9__find_if7functorIS9_EEEE10hipError_tPvRmT1_T2_T3_mT4_P12ihipStream_tbEUlT_E1_NS1_11comp_targetILNS1_3genE0ELNS1_11target_archE4294967295ELNS1_3gpuE0ELNS1_3repE0EEENS1_30default_config_static_selectorELNS0_4arch9wavefront6targetE0EEEvS14_.num_named_barrier, 0
	.set _ZN7rocprim17ROCPRIM_400000_NS6detail17trampoline_kernelINS0_14default_configENS1_22reduce_config_selectorIN6thrust23THRUST_200600_302600_NS5tupleIblNS6_9null_typeES8_S8_S8_S8_S8_S8_S8_EEEEZNS1_11reduce_implILb1ES3_NS6_12zip_iteratorINS7_INS6_11hip_rocprim26transform_input_iterator_tIbNSD_35transform_pair_of_input_iterators_tIbNS6_6detail15normal_iteratorINS6_10device_ptrIKyEEEESL_NS6_8equal_toIyEEEENSG_9not_fun_tINSD_8identityEEEEENSD_19counting_iterator_tIlEES8_S8_S8_S8_S8_S8_S8_S8_EEEEPS9_S9_NSD_9__find_if7functorIS9_EEEE10hipError_tPvRmT1_T2_T3_mT4_P12ihipStream_tbEUlT_E1_NS1_11comp_targetILNS1_3genE0ELNS1_11target_archE4294967295ELNS1_3gpuE0ELNS1_3repE0EEENS1_30default_config_static_selectorELNS0_4arch9wavefront6targetE0EEEvS14_.private_seg_size, 0
	.set _ZN7rocprim17ROCPRIM_400000_NS6detail17trampoline_kernelINS0_14default_configENS1_22reduce_config_selectorIN6thrust23THRUST_200600_302600_NS5tupleIblNS6_9null_typeES8_S8_S8_S8_S8_S8_S8_EEEEZNS1_11reduce_implILb1ES3_NS6_12zip_iteratorINS7_INS6_11hip_rocprim26transform_input_iterator_tIbNSD_35transform_pair_of_input_iterators_tIbNS6_6detail15normal_iteratorINS6_10device_ptrIKyEEEESL_NS6_8equal_toIyEEEENSG_9not_fun_tINSD_8identityEEEEENSD_19counting_iterator_tIlEES8_S8_S8_S8_S8_S8_S8_S8_EEEEPS9_S9_NSD_9__find_if7functorIS9_EEEE10hipError_tPvRmT1_T2_T3_mT4_P12ihipStream_tbEUlT_E1_NS1_11comp_targetILNS1_3genE0ELNS1_11target_archE4294967295ELNS1_3gpuE0ELNS1_3repE0EEENS1_30default_config_static_selectorELNS0_4arch9wavefront6targetE0EEEvS14_.uses_vcc, 0
	.set _ZN7rocprim17ROCPRIM_400000_NS6detail17trampoline_kernelINS0_14default_configENS1_22reduce_config_selectorIN6thrust23THRUST_200600_302600_NS5tupleIblNS6_9null_typeES8_S8_S8_S8_S8_S8_S8_EEEEZNS1_11reduce_implILb1ES3_NS6_12zip_iteratorINS7_INS6_11hip_rocprim26transform_input_iterator_tIbNSD_35transform_pair_of_input_iterators_tIbNS6_6detail15normal_iteratorINS6_10device_ptrIKyEEEESL_NS6_8equal_toIyEEEENSG_9not_fun_tINSD_8identityEEEEENSD_19counting_iterator_tIlEES8_S8_S8_S8_S8_S8_S8_S8_EEEEPS9_S9_NSD_9__find_if7functorIS9_EEEE10hipError_tPvRmT1_T2_T3_mT4_P12ihipStream_tbEUlT_E1_NS1_11comp_targetILNS1_3genE0ELNS1_11target_archE4294967295ELNS1_3gpuE0ELNS1_3repE0EEENS1_30default_config_static_selectorELNS0_4arch9wavefront6targetE0EEEvS14_.uses_flat_scratch, 0
	.set _ZN7rocprim17ROCPRIM_400000_NS6detail17trampoline_kernelINS0_14default_configENS1_22reduce_config_selectorIN6thrust23THRUST_200600_302600_NS5tupleIblNS6_9null_typeES8_S8_S8_S8_S8_S8_S8_EEEEZNS1_11reduce_implILb1ES3_NS6_12zip_iteratorINS7_INS6_11hip_rocprim26transform_input_iterator_tIbNSD_35transform_pair_of_input_iterators_tIbNS6_6detail15normal_iteratorINS6_10device_ptrIKyEEEESL_NS6_8equal_toIyEEEENSG_9not_fun_tINSD_8identityEEEEENSD_19counting_iterator_tIlEES8_S8_S8_S8_S8_S8_S8_S8_EEEEPS9_S9_NSD_9__find_if7functorIS9_EEEE10hipError_tPvRmT1_T2_T3_mT4_P12ihipStream_tbEUlT_E1_NS1_11comp_targetILNS1_3genE0ELNS1_11target_archE4294967295ELNS1_3gpuE0ELNS1_3repE0EEENS1_30default_config_static_selectorELNS0_4arch9wavefront6targetE0EEEvS14_.has_dyn_sized_stack, 0
	.set _ZN7rocprim17ROCPRIM_400000_NS6detail17trampoline_kernelINS0_14default_configENS1_22reduce_config_selectorIN6thrust23THRUST_200600_302600_NS5tupleIblNS6_9null_typeES8_S8_S8_S8_S8_S8_S8_EEEEZNS1_11reduce_implILb1ES3_NS6_12zip_iteratorINS7_INS6_11hip_rocprim26transform_input_iterator_tIbNSD_35transform_pair_of_input_iterators_tIbNS6_6detail15normal_iteratorINS6_10device_ptrIKyEEEESL_NS6_8equal_toIyEEEENSG_9not_fun_tINSD_8identityEEEEENSD_19counting_iterator_tIlEES8_S8_S8_S8_S8_S8_S8_S8_EEEEPS9_S9_NSD_9__find_if7functorIS9_EEEE10hipError_tPvRmT1_T2_T3_mT4_P12ihipStream_tbEUlT_E1_NS1_11comp_targetILNS1_3genE0ELNS1_11target_archE4294967295ELNS1_3gpuE0ELNS1_3repE0EEENS1_30default_config_static_selectorELNS0_4arch9wavefront6targetE0EEEvS14_.has_recursion, 0
	.set _ZN7rocprim17ROCPRIM_400000_NS6detail17trampoline_kernelINS0_14default_configENS1_22reduce_config_selectorIN6thrust23THRUST_200600_302600_NS5tupleIblNS6_9null_typeES8_S8_S8_S8_S8_S8_S8_EEEEZNS1_11reduce_implILb1ES3_NS6_12zip_iteratorINS7_INS6_11hip_rocprim26transform_input_iterator_tIbNSD_35transform_pair_of_input_iterators_tIbNS6_6detail15normal_iteratorINS6_10device_ptrIKyEEEESL_NS6_8equal_toIyEEEENSG_9not_fun_tINSD_8identityEEEEENSD_19counting_iterator_tIlEES8_S8_S8_S8_S8_S8_S8_S8_EEEEPS9_S9_NSD_9__find_if7functorIS9_EEEE10hipError_tPvRmT1_T2_T3_mT4_P12ihipStream_tbEUlT_E1_NS1_11comp_targetILNS1_3genE0ELNS1_11target_archE4294967295ELNS1_3gpuE0ELNS1_3repE0EEENS1_30default_config_static_selectorELNS0_4arch9wavefront6targetE0EEEvS14_.has_indirect_call, 0
	.section	.AMDGPU.csdata,"",@progbits
; Kernel info:
; codeLenInByte = 0
; TotalNumSgprs: 0
; NumVgprs: 0
; ScratchSize: 0
; MemoryBound: 0
; FloatMode: 240
; IeeeMode: 1
; LDSByteSize: 0 bytes/workgroup (compile time only)
; SGPRBlocks: 0
; VGPRBlocks: 0
; NumSGPRsForWavesPerEU: 1
; NumVGPRsForWavesPerEU: 1
; Occupancy: 16
; WaveLimiterHint : 0
; COMPUTE_PGM_RSRC2:SCRATCH_EN: 0
; COMPUTE_PGM_RSRC2:USER_SGPR: 6
; COMPUTE_PGM_RSRC2:TRAP_HANDLER: 0
; COMPUTE_PGM_RSRC2:TGID_X_EN: 1
; COMPUTE_PGM_RSRC2:TGID_Y_EN: 0
; COMPUTE_PGM_RSRC2:TGID_Z_EN: 0
; COMPUTE_PGM_RSRC2:TIDIG_COMP_CNT: 0
	.section	.text._ZN7rocprim17ROCPRIM_400000_NS6detail17trampoline_kernelINS0_14default_configENS1_22reduce_config_selectorIN6thrust23THRUST_200600_302600_NS5tupleIblNS6_9null_typeES8_S8_S8_S8_S8_S8_S8_EEEEZNS1_11reduce_implILb1ES3_NS6_12zip_iteratorINS7_INS6_11hip_rocprim26transform_input_iterator_tIbNSD_35transform_pair_of_input_iterators_tIbNS6_6detail15normal_iteratorINS6_10device_ptrIKyEEEESL_NS6_8equal_toIyEEEENSG_9not_fun_tINSD_8identityEEEEENSD_19counting_iterator_tIlEES8_S8_S8_S8_S8_S8_S8_S8_EEEEPS9_S9_NSD_9__find_if7functorIS9_EEEE10hipError_tPvRmT1_T2_T3_mT4_P12ihipStream_tbEUlT_E1_NS1_11comp_targetILNS1_3genE5ELNS1_11target_archE942ELNS1_3gpuE9ELNS1_3repE0EEENS1_30default_config_static_selectorELNS0_4arch9wavefront6targetE0EEEvS14_,"axG",@progbits,_ZN7rocprim17ROCPRIM_400000_NS6detail17trampoline_kernelINS0_14default_configENS1_22reduce_config_selectorIN6thrust23THRUST_200600_302600_NS5tupleIblNS6_9null_typeES8_S8_S8_S8_S8_S8_S8_EEEEZNS1_11reduce_implILb1ES3_NS6_12zip_iteratorINS7_INS6_11hip_rocprim26transform_input_iterator_tIbNSD_35transform_pair_of_input_iterators_tIbNS6_6detail15normal_iteratorINS6_10device_ptrIKyEEEESL_NS6_8equal_toIyEEEENSG_9not_fun_tINSD_8identityEEEEENSD_19counting_iterator_tIlEES8_S8_S8_S8_S8_S8_S8_S8_EEEEPS9_S9_NSD_9__find_if7functorIS9_EEEE10hipError_tPvRmT1_T2_T3_mT4_P12ihipStream_tbEUlT_E1_NS1_11comp_targetILNS1_3genE5ELNS1_11target_archE942ELNS1_3gpuE9ELNS1_3repE0EEENS1_30default_config_static_selectorELNS0_4arch9wavefront6targetE0EEEvS14_,comdat
	.protected	_ZN7rocprim17ROCPRIM_400000_NS6detail17trampoline_kernelINS0_14default_configENS1_22reduce_config_selectorIN6thrust23THRUST_200600_302600_NS5tupleIblNS6_9null_typeES8_S8_S8_S8_S8_S8_S8_EEEEZNS1_11reduce_implILb1ES3_NS6_12zip_iteratorINS7_INS6_11hip_rocprim26transform_input_iterator_tIbNSD_35transform_pair_of_input_iterators_tIbNS6_6detail15normal_iteratorINS6_10device_ptrIKyEEEESL_NS6_8equal_toIyEEEENSG_9not_fun_tINSD_8identityEEEEENSD_19counting_iterator_tIlEES8_S8_S8_S8_S8_S8_S8_S8_EEEEPS9_S9_NSD_9__find_if7functorIS9_EEEE10hipError_tPvRmT1_T2_T3_mT4_P12ihipStream_tbEUlT_E1_NS1_11comp_targetILNS1_3genE5ELNS1_11target_archE942ELNS1_3gpuE9ELNS1_3repE0EEENS1_30default_config_static_selectorELNS0_4arch9wavefront6targetE0EEEvS14_ ; -- Begin function _ZN7rocprim17ROCPRIM_400000_NS6detail17trampoline_kernelINS0_14default_configENS1_22reduce_config_selectorIN6thrust23THRUST_200600_302600_NS5tupleIblNS6_9null_typeES8_S8_S8_S8_S8_S8_S8_EEEEZNS1_11reduce_implILb1ES3_NS6_12zip_iteratorINS7_INS6_11hip_rocprim26transform_input_iterator_tIbNSD_35transform_pair_of_input_iterators_tIbNS6_6detail15normal_iteratorINS6_10device_ptrIKyEEEESL_NS6_8equal_toIyEEEENSG_9not_fun_tINSD_8identityEEEEENSD_19counting_iterator_tIlEES8_S8_S8_S8_S8_S8_S8_S8_EEEEPS9_S9_NSD_9__find_if7functorIS9_EEEE10hipError_tPvRmT1_T2_T3_mT4_P12ihipStream_tbEUlT_E1_NS1_11comp_targetILNS1_3genE5ELNS1_11target_archE942ELNS1_3gpuE9ELNS1_3repE0EEENS1_30default_config_static_selectorELNS0_4arch9wavefront6targetE0EEEvS14_
	.globl	_ZN7rocprim17ROCPRIM_400000_NS6detail17trampoline_kernelINS0_14default_configENS1_22reduce_config_selectorIN6thrust23THRUST_200600_302600_NS5tupleIblNS6_9null_typeES8_S8_S8_S8_S8_S8_S8_EEEEZNS1_11reduce_implILb1ES3_NS6_12zip_iteratorINS7_INS6_11hip_rocprim26transform_input_iterator_tIbNSD_35transform_pair_of_input_iterators_tIbNS6_6detail15normal_iteratorINS6_10device_ptrIKyEEEESL_NS6_8equal_toIyEEEENSG_9not_fun_tINSD_8identityEEEEENSD_19counting_iterator_tIlEES8_S8_S8_S8_S8_S8_S8_S8_EEEEPS9_S9_NSD_9__find_if7functorIS9_EEEE10hipError_tPvRmT1_T2_T3_mT4_P12ihipStream_tbEUlT_E1_NS1_11comp_targetILNS1_3genE5ELNS1_11target_archE942ELNS1_3gpuE9ELNS1_3repE0EEENS1_30default_config_static_selectorELNS0_4arch9wavefront6targetE0EEEvS14_
	.p2align	8
	.type	_ZN7rocprim17ROCPRIM_400000_NS6detail17trampoline_kernelINS0_14default_configENS1_22reduce_config_selectorIN6thrust23THRUST_200600_302600_NS5tupleIblNS6_9null_typeES8_S8_S8_S8_S8_S8_S8_EEEEZNS1_11reduce_implILb1ES3_NS6_12zip_iteratorINS7_INS6_11hip_rocprim26transform_input_iterator_tIbNSD_35transform_pair_of_input_iterators_tIbNS6_6detail15normal_iteratorINS6_10device_ptrIKyEEEESL_NS6_8equal_toIyEEEENSG_9not_fun_tINSD_8identityEEEEENSD_19counting_iterator_tIlEES8_S8_S8_S8_S8_S8_S8_S8_EEEEPS9_S9_NSD_9__find_if7functorIS9_EEEE10hipError_tPvRmT1_T2_T3_mT4_P12ihipStream_tbEUlT_E1_NS1_11comp_targetILNS1_3genE5ELNS1_11target_archE942ELNS1_3gpuE9ELNS1_3repE0EEENS1_30default_config_static_selectorELNS0_4arch9wavefront6targetE0EEEvS14_,@function
_ZN7rocprim17ROCPRIM_400000_NS6detail17trampoline_kernelINS0_14default_configENS1_22reduce_config_selectorIN6thrust23THRUST_200600_302600_NS5tupleIblNS6_9null_typeES8_S8_S8_S8_S8_S8_S8_EEEEZNS1_11reduce_implILb1ES3_NS6_12zip_iteratorINS7_INS6_11hip_rocprim26transform_input_iterator_tIbNSD_35transform_pair_of_input_iterators_tIbNS6_6detail15normal_iteratorINS6_10device_ptrIKyEEEESL_NS6_8equal_toIyEEEENSG_9not_fun_tINSD_8identityEEEEENSD_19counting_iterator_tIlEES8_S8_S8_S8_S8_S8_S8_S8_EEEEPS9_S9_NSD_9__find_if7functorIS9_EEEE10hipError_tPvRmT1_T2_T3_mT4_P12ihipStream_tbEUlT_E1_NS1_11comp_targetILNS1_3genE5ELNS1_11target_archE942ELNS1_3gpuE9ELNS1_3repE0EEENS1_30default_config_static_selectorELNS0_4arch9wavefront6targetE0EEEvS14_: ; @_ZN7rocprim17ROCPRIM_400000_NS6detail17trampoline_kernelINS0_14default_configENS1_22reduce_config_selectorIN6thrust23THRUST_200600_302600_NS5tupleIblNS6_9null_typeES8_S8_S8_S8_S8_S8_S8_EEEEZNS1_11reduce_implILb1ES3_NS6_12zip_iteratorINS7_INS6_11hip_rocprim26transform_input_iterator_tIbNSD_35transform_pair_of_input_iterators_tIbNS6_6detail15normal_iteratorINS6_10device_ptrIKyEEEESL_NS6_8equal_toIyEEEENSG_9not_fun_tINSD_8identityEEEEENSD_19counting_iterator_tIlEES8_S8_S8_S8_S8_S8_S8_S8_EEEEPS9_S9_NSD_9__find_if7functorIS9_EEEE10hipError_tPvRmT1_T2_T3_mT4_P12ihipStream_tbEUlT_E1_NS1_11comp_targetILNS1_3genE5ELNS1_11target_archE942ELNS1_3gpuE9ELNS1_3repE0EEENS1_30default_config_static_selectorELNS0_4arch9wavefront6targetE0EEEvS14_
; %bb.0:
	.section	.rodata,"a",@progbits
	.p2align	6, 0x0
	.amdhsa_kernel _ZN7rocprim17ROCPRIM_400000_NS6detail17trampoline_kernelINS0_14default_configENS1_22reduce_config_selectorIN6thrust23THRUST_200600_302600_NS5tupleIblNS6_9null_typeES8_S8_S8_S8_S8_S8_S8_EEEEZNS1_11reduce_implILb1ES3_NS6_12zip_iteratorINS7_INS6_11hip_rocprim26transform_input_iterator_tIbNSD_35transform_pair_of_input_iterators_tIbNS6_6detail15normal_iteratorINS6_10device_ptrIKyEEEESL_NS6_8equal_toIyEEEENSG_9not_fun_tINSD_8identityEEEEENSD_19counting_iterator_tIlEES8_S8_S8_S8_S8_S8_S8_S8_EEEEPS9_S9_NSD_9__find_if7functorIS9_EEEE10hipError_tPvRmT1_T2_T3_mT4_P12ihipStream_tbEUlT_E1_NS1_11comp_targetILNS1_3genE5ELNS1_11target_archE942ELNS1_3gpuE9ELNS1_3repE0EEENS1_30default_config_static_selectorELNS0_4arch9wavefront6targetE0EEEvS14_
		.amdhsa_group_segment_fixed_size 0
		.amdhsa_private_segment_fixed_size 0
		.amdhsa_kernarg_size 88
		.amdhsa_user_sgpr_count 6
		.amdhsa_user_sgpr_private_segment_buffer 1
		.amdhsa_user_sgpr_dispatch_ptr 0
		.amdhsa_user_sgpr_queue_ptr 0
		.amdhsa_user_sgpr_kernarg_segment_ptr 1
		.amdhsa_user_sgpr_dispatch_id 0
		.amdhsa_user_sgpr_flat_scratch_init 0
		.amdhsa_user_sgpr_private_segment_size 0
		.amdhsa_wavefront_size32 1
		.amdhsa_uses_dynamic_stack 0
		.amdhsa_system_sgpr_private_segment_wavefront_offset 0
		.amdhsa_system_sgpr_workgroup_id_x 1
		.amdhsa_system_sgpr_workgroup_id_y 0
		.amdhsa_system_sgpr_workgroup_id_z 0
		.amdhsa_system_sgpr_workgroup_info 0
		.amdhsa_system_vgpr_workitem_id 0
		.amdhsa_next_free_vgpr 1
		.amdhsa_next_free_sgpr 1
		.amdhsa_reserve_vcc 0
		.amdhsa_reserve_flat_scratch 0
		.amdhsa_float_round_mode_32 0
		.amdhsa_float_round_mode_16_64 0
		.amdhsa_float_denorm_mode_32 3
		.amdhsa_float_denorm_mode_16_64 3
		.amdhsa_dx10_clamp 1
		.amdhsa_ieee_mode 1
		.amdhsa_fp16_overflow 0
		.amdhsa_workgroup_processor_mode 1
		.amdhsa_memory_ordered 1
		.amdhsa_forward_progress 1
		.amdhsa_shared_vgpr_count 0
		.amdhsa_exception_fp_ieee_invalid_op 0
		.amdhsa_exception_fp_denorm_src 0
		.amdhsa_exception_fp_ieee_div_zero 0
		.amdhsa_exception_fp_ieee_overflow 0
		.amdhsa_exception_fp_ieee_underflow 0
		.amdhsa_exception_fp_ieee_inexact 0
		.amdhsa_exception_int_div_zero 0
	.end_amdhsa_kernel
	.section	.text._ZN7rocprim17ROCPRIM_400000_NS6detail17trampoline_kernelINS0_14default_configENS1_22reduce_config_selectorIN6thrust23THRUST_200600_302600_NS5tupleIblNS6_9null_typeES8_S8_S8_S8_S8_S8_S8_EEEEZNS1_11reduce_implILb1ES3_NS6_12zip_iteratorINS7_INS6_11hip_rocprim26transform_input_iterator_tIbNSD_35transform_pair_of_input_iterators_tIbNS6_6detail15normal_iteratorINS6_10device_ptrIKyEEEESL_NS6_8equal_toIyEEEENSG_9not_fun_tINSD_8identityEEEEENSD_19counting_iterator_tIlEES8_S8_S8_S8_S8_S8_S8_S8_EEEEPS9_S9_NSD_9__find_if7functorIS9_EEEE10hipError_tPvRmT1_T2_T3_mT4_P12ihipStream_tbEUlT_E1_NS1_11comp_targetILNS1_3genE5ELNS1_11target_archE942ELNS1_3gpuE9ELNS1_3repE0EEENS1_30default_config_static_selectorELNS0_4arch9wavefront6targetE0EEEvS14_,"axG",@progbits,_ZN7rocprim17ROCPRIM_400000_NS6detail17trampoline_kernelINS0_14default_configENS1_22reduce_config_selectorIN6thrust23THRUST_200600_302600_NS5tupleIblNS6_9null_typeES8_S8_S8_S8_S8_S8_S8_EEEEZNS1_11reduce_implILb1ES3_NS6_12zip_iteratorINS7_INS6_11hip_rocprim26transform_input_iterator_tIbNSD_35transform_pair_of_input_iterators_tIbNS6_6detail15normal_iteratorINS6_10device_ptrIKyEEEESL_NS6_8equal_toIyEEEENSG_9not_fun_tINSD_8identityEEEEENSD_19counting_iterator_tIlEES8_S8_S8_S8_S8_S8_S8_S8_EEEEPS9_S9_NSD_9__find_if7functorIS9_EEEE10hipError_tPvRmT1_T2_T3_mT4_P12ihipStream_tbEUlT_E1_NS1_11comp_targetILNS1_3genE5ELNS1_11target_archE942ELNS1_3gpuE9ELNS1_3repE0EEENS1_30default_config_static_selectorELNS0_4arch9wavefront6targetE0EEEvS14_,comdat
.Lfunc_end124:
	.size	_ZN7rocprim17ROCPRIM_400000_NS6detail17trampoline_kernelINS0_14default_configENS1_22reduce_config_selectorIN6thrust23THRUST_200600_302600_NS5tupleIblNS6_9null_typeES8_S8_S8_S8_S8_S8_S8_EEEEZNS1_11reduce_implILb1ES3_NS6_12zip_iteratorINS7_INS6_11hip_rocprim26transform_input_iterator_tIbNSD_35transform_pair_of_input_iterators_tIbNS6_6detail15normal_iteratorINS6_10device_ptrIKyEEEESL_NS6_8equal_toIyEEEENSG_9not_fun_tINSD_8identityEEEEENSD_19counting_iterator_tIlEES8_S8_S8_S8_S8_S8_S8_S8_EEEEPS9_S9_NSD_9__find_if7functorIS9_EEEE10hipError_tPvRmT1_T2_T3_mT4_P12ihipStream_tbEUlT_E1_NS1_11comp_targetILNS1_3genE5ELNS1_11target_archE942ELNS1_3gpuE9ELNS1_3repE0EEENS1_30default_config_static_selectorELNS0_4arch9wavefront6targetE0EEEvS14_, .Lfunc_end124-_ZN7rocprim17ROCPRIM_400000_NS6detail17trampoline_kernelINS0_14default_configENS1_22reduce_config_selectorIN6thrust23THRUST_200600_302600_NS5tupleIblNS6_9null_typeES8_S8_S8_S8_S8_S8_S8_EEEEZNS1_11reduce_implILb1ES3_NS6_12zip_iteratorINS7_INS6_11hip_rocprim26transform_input_iterator_tIbNSD_35transform_pair_of_input_iterators_tIbNS6_6detail15normal_iteratorINS6_10device_ptrIKyEEEESL_NS6_8equal_toIyEEEENSG_9not_fun_tINSD_8identityEEEEENSD_19counting_iterator_tIlEES8_S8_S8_S8_S8_S8_S8_S8_EEEEPS9_S9_NSD_9__find_if7functorIS9_EEEE10hipError_tPvRmT1_T2_T3_mT4_P12ihipStream_tbEUlT_E1_NS1_11comp_targetILNS1_3genE5ELNS1_11target_archE942ELNS1_3gpuE9ELNS1_3repE0EEENS1_30default_config_static_selectorELNS0_4arch9wavefront6targetE0EEEvS14_
                                        ; -- End function
	.set _ZN7rocprim17ROCPRIM_400000_NS6detail17trampoline_kernelINS0_14default_configENS1_22reduce_config_selectorIN6thrust23THRUST_200600_302600_NS5tupleIblNS6_9null_typeES8_S8_S8_S8_S8_S8_S8_EEEEZNS1_11reduce_implILb1ES3_NS6_12zip_iteratorINS7_INS6_11hip_rocprim26transform_input_iterator_tIbNSD_35transform_pair_of_input_iterators_tIbNS6_6detail15normal_iteratorINS6_10device_ptrIKyEEEESL_NS6_8equal_toIyEEEENSG_9not_fun_tINSD_8identityEEEEENSD_19counting_iterator_tIlEES8_S8_S8_S8_S8_S8_S8_S8_EEEEPS9_S9_NSD_9__find_if7functorIS9_EEEE10hipError_tPvRmT1_T2_T3_mT4_P12ihipStream_tbEUlT_E1_NS1_11comp_targetILNS1_3genE5ELNS1_11target_archE942ELNS1_3gpuE9ELNS1_3repE0EEENS1_30default_config_static_selectorELNS0_4arch9wavefront6targetE0EEEvS14_.num_vgpr, 0
	.set _ZN7rocprim17ROCPRIM_400000_NS6detail17trampoline_kernelINS0_14default_configENS1_22reduce_config_selectorIN6thrust23THRUST_200600_302600_NS5tupleIblNS6_9null_typeES8_S8_S8_S8_S8_S8_S8_EEEEZNS1_11reduce_implILb1ES3_NS6_12zip_iteratorINS7_INS6_11hip_rocprim26transform_input_iterator_tIbNSD_35transform_pair_of_input_iterators_tIbNS6_6detail15normal_iteratorINS6_10device_ptrIKyEEEESL_NS6_8equal_toIyEEEENSG_9not_fun_tINSD_8identityEEEEENSD_19counting_iterator_tIlEES8_S8_S8_S8_S8_S8_S8_S8_EEEEPS9_S9_NSD_9__find_if7functorIS9_EEEE10hipError_tPvRmT1_T2_T3_mT4_P12ihipStream_tbEUlT_E1_NS1_11comp_targetILNS1_3genE5ELNS1_11target_archE942ELNS1_3gpuE9ELNS1_3repE0EEENS1_30default_config_static_selectorELNS0_4arch9wavefront6targetE0EEEvS14_.num_agpr, 0
	.set _ZN7rocprim17ROCPRIM_400000_NS6detail17trampoline_kernelINS0_14default_configENS1_22reduce_config_selectorIN6thrust23THRUST_200600_302600_NS5tupleIblNS6_9null_typeES8_S8_S8_S8_S8_S8_S8_EEEEZNS1_11reduce_implILb1ES3_NS6_12zip_iteratorINS7_INS6_11hip_rocprim26transform_input_iterator_tIbNSD_35transform_pair_of_input_iterators_tIbNS6_6detail15normal_iteratorINS6_10device_ptrIKyEEEESL_NS6_8equal_toIyEEEENSG_9not_fun_tINSD_8identityEEEEENSD_19counting_iterator_tIlEES8_S8_S8_S8_S8_S8_S8_S8_EEEEPS9_S9_NSD_9__find_if7functorIS9_EEEE10hipError_tPvRmT1_T2_T3_mT4_P12ihipStream_tbEUlT_E1_NS1_11comp_targetILNS1_3genE5ELNS1_11target_archE942ELNS1_3gpuE9ELNS1_3repE0EEENS1_30default_config_static_selectorELNS0_4arch9wavefront6targetE0EEEvS14_.numbered_sgpr, 0
	.set _ZN7rocprim17ROCPRIM_400000_NS6detail17trampoline_kernelINS0_14default_configENS1_22reduce_config_selectorIN6thrust23THRUST_200600_302600_NS5tupleIblNS6_9null_typeES8_S8_S8_S8_S8_S8_S8_EEEEZNS1_11reduce_implILb1ES3_NS6_12zip_iteratorINS7_INS6_11hip_rocprim26transform_input_iterator_tIbNSD_35transform_pair_of_input_iterators_tIbNS6_6detail15normal_iteratorINS6_10device_ptrIKyEEEESL_NS6_8equal_toIyEEEENSG_9not_fun_tINSD_8identityEEEEENSD_19counting_iterator_tIlEES8_S8_S8_S8_S8_S8_S8_S8_EEEEPS9_S9_NSD_9__find_if7functorIS9_EEEE10hipError_tPvRmT1_T2_T3_mT4_P12ihipStream_tbEUlT_E1_NS1_11comp_targetILNS1_3genE5ELNS1_11target_archE942ELNS1_3gpuE9ELNS1_3repE0EEENS1_30default_config_static_selectorELNS0_4arch9wavefront6targetE0EEEvS14_.num_named_barrier, 0
	.set _ZN7rocprim17ROCPRIM_400000_NS6detail17trampoline_kernelINS0_14default_configENS1_22reduce_config_selectorIN6thrust23THRUST_200600_302600_NS5tupleIblNS6_9null_typeES8_S8_S8_S8_S8_S8_S8_EEEEZNS1_11reduce_implILb1ES3_NS6_12zip_iteratorINS7_INS6_11hip_rocprim26transform_input_iterator_tIbNSD_35transform_pair_of_input_iterators_tIbNS6_6detail15normal_iteratorINS6_10device_ptrIKyEEEESL_NS6_8equal_toIyEEEENSG_9not_fun_tINSD_8identityEEEEENSD_19counting_iterator_tIlEES8_S8_S8_S8_S8_S8_S8_S8_EEEEPS9_S9_NSD_9__find_if7functorIS9_EEEE10hipError_tPvRmT1_T2_T3_mT4_P12ihipStream_tbEUlT_E1_NS1_11comp_targetILNS1_3genE5ELNS1_11target_archE942ELNS1_3gpuE9ELNS1_3repE0EEENS1_30default_config_static_selectorELNS0_4arch9wavefront6targetE0EEEvS14_.private_seg_size, 0
	.set _ZN7rocprim17ROCPRIM_400000_NS6detail17trampoline_kernelINS0_14default_configENS1_22reduce_config_selectorIN6thrust23THRUST_200600_302600_NS5tupleIblNS6_9null_typeES8_S8_S8_S8_S8_S8_S8_EEEEZNS1_11reduce_implILb1ES3_NS6_12zip_iteratorINS7_INS6_11hip_rocprim26transform_input_iterator_tIbNSD_35transform_pair_of_input_iterators_tIbNS6_6detail15normal_iteratorINS6_10device_ptrIKyEEEESL_NS6_8equal_toIyEEEENSG_9not_fun_tINSD_8identityEEEEENSD_19counting_iterator_tIlEES8_S8_S8_S8_S8_S8_S8_S8_EEEEPS9_S9_NSD_9__find_if7functorIS9_EEEE10hipError_tPvRmT1_T2_T3_mT4_P12ihipStream_tbEUlT_E1_NS1_11comp_targetILNS1_3genE5ELNS1_11target_archE942ELNS1_3gpuE9ELNS1_3repE0EEENS1_30default_config_static_selectorELNS0_4arch9wavefront6targetE0EEEvS14_.uses_vcc, 0
	.set _ZN7rocprim17ROCPRIM_400000_NS6detail17trampoline_kernelINS0_14default_configENS1_22reduce_config_selectorIN6thrust23THRUST_200600_302600_NS5tupleIblNS6_9null_typeES8_S8_S8_S8_S8_S8_S8_EEEEZNS1_11reduce_implILb1ES3_NS6_12zip_iteratorINS7_INS6_11hip_rocprim26transform_input_iterator_tIbNSD_35transform_pair_of_input_iterators_tIbNS6_6detail15normal_iteratorINS6_10device_ptrIKyEEEESL_NS6_8equal_toIyEEEENSG_9not_fun_tINSD_8identityEEEEENSD_19counting_iterator_tIlEES8_S8_S8_S8_S8_S8_S8_S8_EEEEPS9_S9_NSD_9__find_if7functorIS9_EEEE10hipError_tPvRmT1_T2_T3_mT4_P12ihipStream_tbEUlT_E1_NS1_11comp_targetILNS1_3genE5ELNS1_11target_archE942ELNS1_3gpuE9ELNS1_3repE0EEENS1_30default_config_static_selectorELNS0_4arch9wavefront6targetE0EEEvS14_.uses_flat_scratch, 0
	.set _ZN7rocprim17ROCPRIM_400000_NS6detail17trampoline_kernelINS0_14default_configENS1_22reduce_config_selectorIN6thrust23THRUST_200600_302600_NS5tupleIblNS6_9null_typeES8_S8_S8_S8_S8_S8_S8_EEEEZNS1_11reduce_implILb1ES3_NS6_12zip_iteratorINS7_INS6_11hip_rocprim26transform_input_iterator_tIbNSD_35transform_pair_of_input_iterators_tIbNS6_6detail15normal_iteratorINS6_10device_ptrIKyEEEESL_NS6_8equal_toIyEEEENSG_9not_fun_tINSD_8identityEEEEENSD_19counting_iterator_tIlEES8_S8_S8_S8_S8_S8_S8_S8_EEEEPS9_S9_NSD_9__find_if7functorIS9_EEEE10hipError_tPvRmT1_T2_T3_mT4_P12ihipStream_tbEUlT_E1_NS1_11comp_targetILNS1_3genE5ELNS1_11target_archE942ELNS1_3gpuE9ELNS1_3repE0EEENS1_30default_config_static_selectorELNS0_4arch9wavefront6targetE0EEEvS14_.has_dyn_sized_stack, 0
	.set _ZN7rocprim17ROCPRIM_400000_NS6detail17trampoline_kernelINS0_14default_configENS1_22reduce_config_selectorIN6thrust23THRUST_200600_302600_NS5tupleIblNS6_9null_typeES8_S8_S8_S8_S8_S8_S8_EEEEZNS1_11reduce_implILb1ES3_NS6_12zip_iteratorINS7_INS6_11hip_rocprim26transform_input_iterator_tIbNSD_35transform_pair_of_input_iterators_tIbNS6_6detail15normal_iteratorINS6_10device_ptrIKyEEEESL_NS6_8equal_toIyEEEENSG_9not_fun_tINSD_8identityEEEEENSD_19counting_iterator_tIlEES8_S8_S8_S8_S8_S8_S8_S8_EEEEPS9_S9_NSD_9__find_if7functorIS9_EEEE10hipError_tPvRmT1_T2_T3_mT4_P12ihipStream_tbEUlT_E1_NS1_11comp_targetILNS1_3genE5ELNS1_11target_archE942ELNS1_3gpuE9ELNS1_3repE0EEENS1_30default_config_static_selectorELNS0_4arch9wavefront6targetE0EEEvS14_.has_recursion, 0
	.set _ZN7rocprim17ROCPRIM_400000_NS6detail17trampoline_kernelINS0_14default_configENS1_22reduce_config_selectorIN6thrust23THRUST_200600_302600_NS5tupleIblNS6_9null_typeES8_S8_S8_S8_S8_S8_S8_EEEEZNS1_11reduce_implILb1ES3_NS6_12zip_iteratorINS7_INS6_11hip_rocprim26transform_input_iterator_tIbNSD_35transform_pair_of_input_iterators_tIbNS6_6detail15normal_iteratorINS6_10device_ptrIKyEEEESL_NS6_8equal_toIyEEEENSG_9not_fun_tINSD_8identityEEEEENSD_19counting_iterator_tIlEES8_S8_S8_S8_S8_S8_S8_S8_EEEEPS9_S9_NSD_9__find_if7functorIS9_EEEE10hipError_tPvRmT1_T2_T3_mT4_P12ihipStream_tbEUlT_E1_NS1_11comp_targetILNS1_3genE5ELNS1_11target_archE942ELNS1_3gpuE9ELNS1_3repE0EEENS1_30default_config_static_selectorELNS0_4arch9wavefront6targetE0EEEvS14_.has_indirect_call, 0
	.section	.AMDGPU.csdata,"",@progbits
; Kernel info:
; codeLenInByte = 0
; TotalNumSgprs: 0
; NumVgprs: 0
; ScratchSize: 0
; MemoryBound: 0
; FloatMode: 240
; IeeeMode: 1
; LDSByteSize: 0 bytes/workgroup (compile time only)
; SGPRBlocks: 0
; VGPRBlocks: 0
; NumSGPRsForWavesPerEU: 1
; NumVGPRsForWavesPerEU: 1
; Occupancy: 16
; WaveLimiterHint : 0
; COMPUTE_PGM_RSRC2:SCRATCH_EN: 0
; COMPUTE_PGM_RSRC2:USER_SGPR: 6
; COMPUTE_PGM_RSRC2:TRAP_HANDLER: 0
; COMPUTE_PGM_RSRC2:TGID_X_EN: 1
; COMPUTE_PGM_RSRC2:TGID_Y_EN: 0
; COMPUTE_PGM_RSRC2:TGID_Z_EN: 0
; COMPUTE_PGM_RSRC2:TIDIG_COMP_CNT: 0
	.section	.text._ZN7rocprim17ROCPRIM_400000_NS6detail17trampoline_kernelINS0_14default_configENS1_22reduce_config_selectorIN6thrust23THRUST_200600_302600_NS5tupleIblNS6_9null_typeES8_S8_S8_S8_S8_S8_S8_EEEEZNS1_11reduce_implILb1ES3_NS6_12zip_iteratorINS7_INS6_11hip_rocprim26transform_input_iterator_tIbNSD_35transform_pair_of_input_iterators_tIbNS6_6detail15normal_iteratorINS6_10device_ptrIKyEEEESL_NS6_8equal_toIyEEEENSG_9not_fun_tINSD_8identityEEEEENSD_19counting_iterator_tIlEES8_S8_S8_S8_S8_S8_S8_S8_EEEEPS9_S9_NSD_9__find_if7functorIS9_EEEE10hipError_tPvRmT1_T2_T3_mT4_P12ihipStream_tbEUlT_E1_NS1_11comp_targetILNS1_3genE4ELNS1_11target_archE910ELNS1_3gpuE8ELNS1_3repE0EEENS1_30default_config_static_selectorELNS0_4arch9wavefront6targetE0EEEvS14_,"axG",@progbits,_ZN7rocprim17ROCPRIM_400000_NS6detail17trampoline_kernelINS0_14default_configENS1_22reduce_config_selectorIN6thrust23THRUST_200600_302600_NS5tupleIblNS6_9null_typeES8_S8_S8_S8_S8_S8_S8_EEEEZNS1_11reduce_implILb1ES3_NS6_12zip_iteratorINS7_INS6_11hip_rocprim26transform_input_iterator_tIbNSD_35transform_pair_of_input_iterators_tIbNS6_6detail15normal_iteratorINS6_10device_ptrIKyEEEESL_NS6_8equal_toIyEEEENSG_9not_fun_tINSD_8identityEEEEENSD_19counting_iterator_tIlEES8_S8_S8_S8_S8_S8_S8_S8_EEEEPS9_S9_NSD_9__find_if7functorIS9_EEEE10hipError_tPvRmT1_T2_T3_mT4_P12ihipStream_tbEUlT_E1_NS1_11comp_targetILNS1_3genE4ELNS1_11target_archE910ELNS1_3gpuE8ELNS1_3repE0EEENS1_30default_config_static_selectorELNS0_4arch9wavefront6targetE0EEEvS14_,comdat
	.protected	_ZN7rocprim17ROCPRIM_400000_NS6detail17trampoline_kernelINS0_14default_configENS1_22reduce_config_selectorIN6thrust23THRUST_200600_302600_NS5tupleIblNS6_9null_typeES8_S8_S8_S8_S8_S8_S8_EEEEZNS1_11reduce_implILb1ES3_NS6_12zip_iteratorINS7_INS6_11hip_rocprim26transform_input_iterator_tIbNSD_35transform_pair_of_input_iterators_tIbNS6_6detail15normal_iteratorINS6_10device_ptrIKyEEEESL_NS6_8equal_toIyEEEENSG_9not_fun_tINSD_8identityEEEEENSD_19counting_iterator_tIlEES8_S8_S8_S8_S8_S8_S8_S8_EEEEPS9_S9_NSD_9__find_if7functorIS9_EEEE10hipError_tPvRmT1_T2_T3_mT4_P12ihipStream_tbEUlT_E1_NS1_11comp_targetILNS1_3genE4ELNS1_11target_archE910ELNS1_3gpuE8ELNS1_3repE0EEENS1_30default_config_static_selectorELNS0_4arch9wavefront6targetE0EEEvS14_ ; -- Begin function _ZN7rocprim17ROCPRIM_400000_NS6detail17trampoline_kernelINS0_14default_configENS1_22reduce_config_selectorIN6thrust23THRUST_200600_302600_NS5tupleIblNS6_9null_typeES8_S8_S8_S8_S8_S8_S8_EEEEZNS1_11reduce_implILb1ES3_NS6_12zip_iteratorINS7_INS6_11hip_rocprim26transform_input_iterator_tIbNSD_35transform_pair_of_input_iterators_tIbNS6_6detail15normal_iteratorINS6_10device_ptrIKyEEEESL_NS6_8equal_toIyEEEENSG_9not_fun_tINSD_8identityEEEEENSD_19counting_iterator_tIlEES8_S8_S8_S8_S8_S8_S8_S8_EEEEPS9_S9_NSD_9__find_if7functorIS9_EEEE10hipError_tPvRmT1_T2_T3_mT4_P12ihipStream_tbEUlT_E1_NS1_11comp_targetILNS1_3genE4ELNS1_11target_archE910ELNS1_3gpuE8ELNS1_3repE0EEENS1_30default_config_static_selectorELNS0_4arch9wavefront6targetE0EEEvS14_
	.globl	_ZN7rocprim17ROCPRIM_400000_NS6detail17trampoline_kernelINS0_14default_configENS1_22reduce_config_selectorIN6thrust23THRUST_200600_302600_NS5tupleIblNS6_9null_typeES8_S8_S8_S8_S8_S8_S8_EEEEZNS1_11reduce_implILb1ES3_NS6_12zip_iteratorINS7_INS6_11hip_rocprim26transform_input_iterator_tIbNSD_35transform_pair_of_input_iterators_tIbNS6_6detail15normal_iteratorINS6_10device_ptrIKyEEEESL_NS6_8equal_toIyEEEENSG_9not_fun_tINSD_8identityEEEEENSD_19counting_iterator_tIlEES8_S8_S8_S8_S8_S8_S8_S8_EEEEPS9_S9_NSD_9__find_if7functorIS9_EEEE10hipError_tPvRmT1_T2_T3_mT4_P12ihipStream_tbEUlT_E1_NS1_11comp_targetILNS1_3genE4ELNS1_11target_archE910ELNS1_3gpuE8ELNS1_3repE0EEENS1_30default_config_static_selectorELNS0_4arch9wavefront6targetE0EEEvS14_
	.p2align	8
	.type	_ZN7rocprim17ROCPRIM_400000_NS6detail17trampoline_kernelINS0_14default_configENS1_22reduce_config_selectorIN6thrust23THRUST_200600_302600_NS5tupleIblNS6_9null_typeES8_S8_S8_S8_S8_S8_S8_EEEEZNS1_11reduce_implILb1ES3_NS6_12zip_iteratorINS7_INS6_11hip_rocprim26transform_input_iterator_tIbNSD_35transform_pair_of_input_iterators_tIbNS6_6detail15normal_iteratorINS6_10device_ptrIKyEEEESL_NS6_8equal_toIyEEEENSG_9not_fun_tINSD_8identityEEEEENSD_19counting_iterator_tIlEES8_S8_S8_S8_S8_S8_S8_S8_EEEEPS9_S9_NSD_9__find_if7functorIS9_EEEE10hipError_tPvRmT1_T2_T3_mT4_P12ihipStream_tbEUlT_E1_NS1_11comp_targetILNS1_3genE4ELNS1_11target_archE910ELNS1_3gpuE8ELNS1_3repE0EEENS1_30default_config_static_selectorELNS0_4arch9wavefront6targetE0EEEvS14_,@function
_ZN7rocprim17ROCPRIM_400000_NS6detail17trampoline_kernelINS0_14default_configENS1_22reduce_config_selectorIN6thrust23THRUST_200600_302600_NS5tupleIblNS6_9null_typeES8_S8_S8_S8_S8_S8_S8_EEEEZNS1_11reduce_implILb1ES3_NS6_12zip_iteratorINS7_INS6_11hip_rocprim26transform_input_iterator_tIbNSD_35transform_pair_of_input_iterators_tIbNS6_6detail15normal_iteratorINS6_10device_ptrIKyEEEESL_NS6_8equal_toIyEEEENSG_9not_fun_tINSD_8identityEEEEENSD_19counting_iterator_tIlEES8_S8_S8_S8_S8_S8_S8_S8_EEEEPS9_S9_NSD_9__find_if7functorIS9_EEEE10hipError_tPvRmT1_T2_T3_mT4_P12ihipStream_tbEUlT_E1_NS1_11comp_targetILNS1_3genE4ELNS1_11target_archE910ELNS1_3gpuE8ELNS1_3repE0EEENS1_30default_config_static_selectorELNS0_4arch9wavefront6targetE0EEEvS14_: ; @_ZN7rocprim17ROCPRIM_400000_NS6detail17trampoline_kernelINS0_14default_configENS1_22reduce_config_selectorIN6thrust23THRUST_200600_302600_NS5tupleIblNS6_9null_typeES8_S8_S8_S8_S8_S8_S8_EEEEZNS1_11reduce_implILb1ES3_NS6_12zip_iteratorINS7_INS6_11hip_rocprim26transform_input_iterator_tIbNSD_35transform_pair_of_input_iterators_tIbNS6_6detail15normal_iteratorINS6_10device_ptrIKyEEEESL_NS6_8equal_toIyEEEENSG_9not_fun_tINSD_8identityEEEEENSD_19counting_iterator_tIlEES8_S8_S8_S8_S8_S8_S8_S8_EEEEPS9_S9_NSD_9__find_if7functorIS9_EEEE10hipError_tPvRmT1_T2_T3_mT4_P12ihipStream_tbEUlT_E1_NS1_11comp_targetILNS1_3genE4ELNS1_11target_archE910ELNS1_3gpuE8ELNS1_3repE0EEENS1_30default_config_static_selectorELNS0_4arch9wavefront6targetE0EEEvS14_
; %bb.0:
	.section	.rodata,"a",@progbits
	.p2align	6, 0x0
	.amdhsa_kernel _ZN7rocprim17ROCPRIM_400000_NS6detail17trampoline_kernelINS0_14default_configENS1_22reduce_config_selectorIN6thrust23THRUST_200600_302600_NS5tupleIblNS6_9null_typeES8_S8_S8_S8_S8_S8_S8_EEEEZNS1_11reduce_implILb1ES3_NS6_12zip_iteratorINS7_INS6_11hip_rocprim26transform_input_iterator_tIbNSD_35transform_pair_of_input_iterators_tIbNS6_6detail15normal_iteratorINS6_10device_ptrIKyEEEESL_NS6_8equal_toIyEEEENSG_9not_fun_tINSD_8identityEEEEENSD_19counting_iterator_tIlEES8_S8_S8_S8_S8_S8_S8_S8_EEEEPS9_S9_NSD_9__find_if7functorIS9_EEEE10hipError_tPvRmT1_T2_T3_mT4_P12ihipStream_tbEUlT_E1_NS1_11comp_targetILNS1_3genE4ELNS1_11target_archE910ELNS1_3gpuE8ELNS1_3repE0EEENS1_30default_config_static_selectorELNS0_4arch9wavefront6targetE0EEEvS14_
		.amdhsa_group_segment_fixed_size 0
		.amdhsa_private_segment_fixed_size 0
		.amdhsa_kernarg_size 88
		.amdhsa_user_sgpr_count 6
		.amdhsa_user_sgpr_private_segment_buffer 1
		.amdhsa_user_sgpr_dispatch_ptr 0
		.amdhsa_user_sgpr_queue_ptr 0
		.amdhsa_user_sgpr_kernarg_segment_ptr 1
		.amdhsa_user_sgpr_dispatch_id 0
		.amdhsa_user_sgpr_flat_scratch_init 0
		.amdhsa_user_sgpr_private_segment_size 0
		.amdhsa_wavefront_size32 1
		.amdhsa_uses_dynamic_stack 0
		.amdhsa_system_sgpr_private_segment_wavefront_offset 0
		.amdhsa_system_sgpr_workgroup_id_x 1
		.amdhsa_system_sgpr_workgroup_id_y 0
		.amdhsa_system_sgpr_workgroup_id_z 0
		.amdhsa_system_sgpr_workgroup_info 0
		.amdhsa_system_vgpr_workitem_id 0
		.amdhsa_next_free_vgpr 1
		.amdhsa_next_free_sgpr 1
		.amdhsa_reserve_vcc 0
		.amdhsa_reserve_flat_scratch 0
		.amdhsa_float_round_mode_32 0
		.amdhsa_float_round_mode_16_64 0
		.amdhsa_float_denorm_mode_32 3
		.amdhsa_float_denorm_mode_16_64 3
		.amdhsa_dx10_clamp 1
		.amdhsa_ieee_mode 1
		.amdhsa_fp16_overflow 0
		.amdhsa_workgroup_processor_mode 1
		.amdhsa_memory_ordered 1
		.amdhsa_forward_progress 1
		.amdhsa_shared_vgpr_count 0
		.amdhsa_exception_fp_ieee_invalid_op 0
		.amdhsa_exception_fp_denorm_src 0
		.amdhsa_exception_fp_ieee_div_zero 0
		.amdhsa_exception_fp_ieee_overflow 0
		.amdhsa_exception_fp_ieee_underflow 0
		.amdhsa_exception_fp_ieee_inexact 0
		.amdhsa_exception_int_div_zero 0
	.end_amdhsa_kernel
	.section	.text._ZN7rocprim17ROCPRIM_400000_NS6detail17trampoline_kernelINS0_14default_configENS1_22reduce_config_selectorIN6thrust23THRUST_200600_302600_NS5tupleIblNS6_9null_typeES8_S8_S8_S8_S8_S8_S8_EEEEZNS1_11reduce_implILb1ES3_NS6_12zip_iteratorINS7_INS6_11hip_rocprim26transform_input_iterator_tIbNSD_35transform_pair_of_input_iterators_tIbNS6_6detail15normal_iteratorINS6_10device_ptrIKyEEEESL_NS6_8equal_toIyEEEENSG_9not_fun_tINSD_8identityEEEEENSD_19counting_iterator_tIlEES8_S8_S8_S8_S8_S8_S8_S8_EEEEPS9_S9_NSD_9__find_if7functorIS9_EEEE10hipError_tPvRmT1_T2_T3_mT4_P12ihipStream_tbEUlT_E1_NS1_11comp_targetILNS1_3genE4ELNS1_11target_archE910ELNS1_3gpuE8ELNS1_3repE0EEENS1_30default_config_static_selectorELNS0_4arch9wavefront6targetE0EEEvS14_,"axG",@progbits,_ZN7rocprim17ROCPRIM_400000_NS6detail17trampoline_kernelINS0_14default_configENS1_22reduce_config_selectorIN6thrust23THRUST_200600_302600_NS5tupleIblNS6_9null_typeES8_S8_S8_S8_S8_S8_S8_EEEEZNS1_11reduce_implILb1ES3_NS6_12zip_iteratorINS7_INS6_11hip_rocprim26transform_input_iterator_tIbNSD_35transform_pair_of_input_iterators_tIbNS6_6detail15normal_iteratorINS6_10device_ptrIKyEEEESL_NS6_8equal_toIyEEEENSG_9not_fun_tINSD_8identityEEEEENSD_19counting_iterator_tIlEES8_S8_S8_S8_S8_S8_S8_S8_EEEEPS9_S9_NSD_9__find_if7functorIS9_EEEE10hipError_tPvRmT1_T2_T3_mT4_P12ihipStream_tbEUlT_E1_NS1_11comp_targetILNS1_3genE4ELNS1_11target_archE910ELNS1_3gpuE8ELNS1_3repE0EEENS1_30default_config_static_selectorELNS0_4arch9wavefront6targetE0EEEvS14_,comdat
.Lfunc_end125:
	.size	_ZN7rocprim17ROCPRIM_400000_NS6detail17trampoline_kernelINS0_14default_configENS1_22reduce_config_selectorIN6thrust23THRUST_200600_302600_NS5tupleIblNS6_9null_typeES8_S8_S8_S8_S8_S8_S8_EEEEZNS1_11reduce_implILb1ES3_NS6_12zip_iteratorINS7_INS6_11hip_rocprim26transform_input_iterator_tIbNSD_35transform_pair_of_input_iterators_tIbNS6_6detail15normal_iteratorINS6_10device_ptrIKyEEEESL_NS6_8equal_toIyEEEENSG_9not_fun_tINSD_8identityEEEEENSD_19counting_iterator_tIlEES8_S8_S8_S8_S8_S8_S8_S8_EEEEPS9_S9_NSD_9__find_if7functorIS9_EEEE10hipError_tPvRmT1_T2_T3_mT4_P12ihipStream_tbEUlT_E1_NS1_11comp_targetILNS1_3genE4ELNS1_11target_archE910ELNS1_3gpuE8ELNS1_3repE0EEENS1_30default_config_static_selectorELNS0_4arch9wavefront6targetE0EEEvS14_, .Lfunc_end125-_ZN7rocprim17ROCPRIM_400000_NS6detail17trampoline_kernelINS0_14default_configENS1_22reduce_config_selectorIN6thrust23THRUST_200600_302600_NS5tupleIblNS6_9null_typeES8_S8_S8_S8_S8_S8_S8_EEEEZNS1_11reduce_implILb1ES3_NS6_12zip_iteratorINS7_INS6_11hip_rocprim26transform_input_iterator_tIbNSD_35transform_pair_of_input_iterators_tIbNS6_6detail15normal_iteratorINS6_10device_ptrIKyEEEESL_NS6_8equal_toIyEEEENSG_9not_fun_tINSD_8identityEEEEENSD_19counting_iterator_tIlEES8_S8_S8_S8_S8_S8_S8_S8_EEEEPS9_S9_NSD_9__find_if7functorIS9_EEEE10hipError_tPvRmT1_T2_T3_mT4_P12ihipStream_tbEUlT_E1_NS1_11comp_targetILNS1_3genE4ELNS1_11target_archE910ELNS1_3gpuE8ELNS1_3repE0EEENS1_30default_config_static_selectorELNS0_4arch9wavefront6targetE0EEEvS14_
                                        ; -- End function
	.set _ZN7rocprim17ROCPRIM_400000_NS6detail17trampoline_kernelINS0_14default_configENS1_22reduce_config_selectorIN6thrust23THRUST_200600_302600_NS5tupleIblNS6_9null_typeES8_S8_S8_S8_S8_S8_S8_EEEEZNS1_11reduce_implILb1ES3_NS6_12zip_iteratorINS7_INS6_11hip_rocprim26transform_input_iterator_tIbNSD_35transform_pair_of_input_iterators_tIbNS6_6detail15normal_iteratorINS6_10device_ptrIKyEEEESL_NS6_8equal_toIyEEEENSG_9not_fun_tINSD_8identityEEEEENSD_19counting_iterator_tIlEES8_S8_S8_S8_S8_S8_S8_S8_EEEEPS9_S9_NSD_9__find_if7functorIS9_EEEE10hipError_tPvRmT1_T2_T3_mT4_P12ihipStream_tbEUlT_E1_NS1_11comp_targetILNS1_3genE4ELNS1_11target_archE910ELNS1_3gpuE8ELNS1_3repE0EEENS1_30default_config_static_selectorELNS0_4arch9wavefront6targetE0EEEvS14_.num_vgpr, 0
	.set _ZN7rocprim17ROCPRIM_400000_NS6detail17trampoline_kernelINS0_14default_configENS1_22reduce_config_selectorIN6thrust23THRUST_200600_302600_NS5tupleIblNS6_9null_typeES8_S8_S8_S8_S8_S8_S8_EEEEZNS1_11reduce_implILb1ES3_NS6_12zip_iteratorINS7_INS6_11hip_rocprim26transform_input_iterator_tIbNSD_35transform_pair_of_input_iterators_tIbNS6_6detail15normal_iteratorINS6_10device_ptrIKyEEEESL_NS6_8equal_toIyEEEENSG_9not_fun_tINSD_8identityEEEEENSD_19counting_iterator_tIlEES8_S8_S8_S8_S8_S8_S8_S8_EEEEPS9_S9_NSD_9__find_if7functorIS9_EEEE10hipError_tPvRmT1_T2_T3_mT4_P12ihipStream_tbEUlT_E1_NS1_11comp_targetILNS1_3genE4ELNS1_11target_archE910ELNS1_3gpuE8ELNS1_3repE0EEENS1_30default_config_static_selectorELNS0_4arch9wavefront6targetE0EEEvS14_.num_agpr, 0
	.set _ZN7rocprim17ROCPRIM_400000_NS6detail17trampoline_kernelINS0_14default_configENS1_22reduce_config_selectorIN6thrust23THRUST_200600_302600_NS5tupleIblNS6_9null_typeES8_S8_S8_S8_S8_S8_S8_EEEEZNS1_11reduce_implILb1ES3_NS6_12zip_iteratorINS7_INS6_11hip_rocprim26transform_input_iterator_tIbNSD_35transform_pair_of_input_iterators_tIbNS6_6detail15normal_iteratorINS6_10device_ptrIKyEEEESL_NS6_8equal_toIyEEEENSG_9not_fun_tINSD_8identityEEEEENSD_19counting_iterator_tIlEES8_S8_S8_S8_S8_S8_S8_S8_EEEEPS9_S9_NSD_9__find_if7functorIS9_EEEE10hipError_tPvRmT1_T2_T3_mT4_P12ihipStream_tbEUlT_E1_NS1_11comp_targetILNS1_3genE4ELNS1_11target_archE910ELNS1_3gpuE8ELNS1_3repE0EEENS1_30default_config_static_selectorELNS0_4arch9wavefront6targetE0EEEvS14_.numbered_sgpr, 0
	.set _ZN7rocprim17ROCPRIM_400000_NS6detail17trampoline_kernelINS0_14default_configENS1_22reduce_config_selectorIN6thrust23THRUST_200600_302600_NS5tupleIblNS6_9null_typeES8_S8_S8_S8_S8_S8_S8_EEEEZNS1_11reduce_implILb1ES3_NS6_12zip_iteratorINS7_INS6_11hip_rocprim26transform_input_iterator_tIbNSD_35transform_pair_of_input_iterators_tIbNS6_6detail15normal_iteratorINS6_10device_ptrIKyEEEESL_NS6_8equal_toIyEEEENSG_9not_fun_tINSD_8identityEEEEENSD_19counting_iterator_tIlEES8_S8_S8_S8_S8_S8_S8_S8_EEEEPS9_S9_NSD_9__find_if7functorIS9_EEEE10hipError_tPvRmT1_T2_T3_mT4_P12ihipStream_tbEUlT_E1_NS1_11comp_targetILNS1_3genE4ELNS1_11target_archE910ELNS1_3gpuE8ELNS1_3repE0EEENS1_30default_config_static_selectorELNS0_4arch9wavefront6targetE0EEEvS14_.num_named_barrier, 0
	.set _ZN7rocprim17ROCPRIM_400000_NS6detail17trampoline_kernelINS0_14default_configENS1_22reduce_config_selectorIN6thrust23THRUST_200600_302600_NS5tupleIblNS6_9null_typeES8_S8_S8_S8_S8_S8_S8_EEEEZNS1_11reduce_implILb1ES3_NS6_12zip_iteratorINS7_INS6_11hip_rocprim26transform_input_iterator_tIbNSD_35transform_pair_of_input_iterators_tIbNS6_6detail15normal_iteratorINS6_10device_ptrIKyEEEESL_NS6_8equal_toIyEEEENSG_9not_fun_tINSD_8identityEEEEENSD_19counting_iterator_tIlEES8_S8_S8_S8_S8_S8_S8_S8_EEEEPS9_S9_NSD_9__find_if7functorIS9_EEEE10hipError_tPvRmT1_T2_T3_mT4_P12ihipStream_tbEUlT_E1_NS1_11comp_targetILNS1_3genE4ELNS1_11target_archE910ELNS1_3gpuE8ELNS1_3repE0EEENS1_30default_config_static_selectorELNS0_4arch9wavefront6targetE0EEEvS14_.private_seg_size, 0
	.set _ZN7rocprim17ROCPRIM_400000_NS6detail17trampoline_kernelINS0_14default_configENS1_22reduce_config_selectorIN6thrust23THRUST_200600_302600_NS5tupleIblNS6_9null_typeES8_S8_S8_S8_S8_S8_S8_EEEEZNS1_11reduce_implILb1ES3_NS6_12zip_iteratorINS7_INS6_11hip_rocprim26transform_input_iterator_tIbNSD_35transform_pair_of_input_iterators_tIbNS6_6detail15normal_iteratorINS6_10device_ptrIKyEEEESL_NS6_8equal_toIyEEEENSG_9not_fun_tINSD_8identityEEEEENSD_19counting_iterator_tIlEES8_S8_S8_S8_S8_S8_S8_S8_EEEEPS9_S9_NSD_9__find_if7functorIS9_EEEE10hipError_tPvRmT1_T2_T3_mT4_P12ihipStream_tbEUlT_E1_NS1_11comp_targetILNS1_3genE4ELNS1_11target_archE910ELNS1_3gpuE8ELNS1_3repE0EEENS1_30default_config_static_selectorELNS0_4arch9wavefront6targetE0EEEvS14_.uses_vcc, 0
	.set _ZN7rocprim17ROCPRIM_400000_NS6detail17trampoline_kernelINS0_14default_configENS1_22reduce_config_selectorIN6thrust23THRUST_200600_302600_NS5tupleIblNS6_9null_typeES8_S8_S8_S8_S8_S8_S8_EEEEZNS1_11reduce_implILb1ES3_NS6_12zip_iteratorINS7_INS6_11hip_rocprim26transform_input_iterator_tIbNSD_35transform_pair_of_input_iterators_tIbNS6_6detail15normal_iteratorINS6_10device_ptrIKyEEEESL_NS6_8equal_toIyEEEENSG_9not_fun_tINSD_8identityEEEEENSD_19counting_iterator_tIlEES8_S8_S8_S8_S8_S8_S8_S8_EEEEPS9_S9_NSD_9__find_if7functorIS9_EEEE10hipError_tPvRmT1_T2_T3_mT4_P12ihipStream_tbEUlT_E1_NS1_11comp_targetILNS1_3genE4ELNS1_11target_archE910ELNS1_3gpuE8ELNS1_3repE0EEENS1_30default_config_static_selectorELNS0_4arch9wavefront6targetE0EEEvS14_.uses_flat_scratch, 0
	.set _ZN7rocprim17ROCPRIM_400000_NS6detail17trampoline_kernelINS0_14default_configENS1_22reduce_config_selectorIN6thrust23THRUST_200600_302600_NS5tupleIblNS6_9null_typeES8_S8_S8_S8_S8_S8_S8_EEEEZNS1_11reduce_implILb1ES3_NS6_12zip_iteratorINS7_INS6_11hip_rocprim26transform_input_iterator_tIbNSD_35transform_pair_of_input_iterators_tIbNS6_6detail15normal_iteratorINS6_10device_ptrIKyEEEESL_NS6_8equal_toIyEEEENSG_9not_fun_tINSD_8identityEEEEENSD_19counting_iterator_tIlEES8_S8_S8_S8_S8_S8_S8_S8_EEEEPS9_S9_NSD_9__find_if7functorIS9_EEEE10hipError_tPvRmT1_T2_T3_mT4_P12ihipStream_tbEUlT_E1_NS1_11comp_targetILNS1_3genE4ELNS1_11target_archE910ELNS1_3gpuE8ELNS1_3repE0EEENS1_30default_config_static_selectorELNS0_4arch9wavefront6targetE0EEEvS14_.has_dyn_sized_stack, 0
	.set _ZN7rocprim17ROCPRIM_400000_NS6detail17trampoline_kernelINS0_14default_configENS1_22reduce_config_selectorIN6thrust23THRUST_200600_302600_NS5tupleIblNS6_9null_typeES8_S8_S8_S8_S8_S8_S8_EEEEZNS1_11reduce_implILb1ES3_NS6_12zip_iteratorINS7_INS6_11hip_rocprim26transform_input_iterator_tIbNSD_35transform_pair_of_input_iterators_tIbNS6_6detail15normal_iteratorINS6_10device_ptrIKyEEEESL_NS6_8equal_toIyEEEENSG_9not_fun_tINSD_8identityEEEEENSD_19counting_iterator_tIlEES8_S8_S8_S8_S8_S8_S8_S8_EEEEPS9_S9_NSD_9__find_if7functorIS9_EEEE10hipError_tPvRmT1_T2_T3_mT4_P12ihipStream_tbEUlT_E1_NS1_11comp_targetILNS1_3genE4ELNS1_11target_archE910ELNS1_3gpuE8ELNS1_3repE0EEENS1_30default_config_static_selectorELNS0_4arch9wavefront6targetE0EEEvS14_.has_recursion, 0
	.set _ZN7rocprim17ROCPRIM_400000_NS6detail17trampoline_kernelINS0_14default_configENS1_22reduce_config_selectorIN6thrust23THRUST_200600_302600_NS5tupleIblNS6_9null_typeES8_S8_S8_S8_S8_S8_S8_EEEEZNS1_11reduce_implILb1ES3_NS6_12zip_iteratorINS7_INS6_11hip_rocprim26transform_input_iterator_tIbNSD_35transform_pair_of_input_iterators_tIbNS6_6detail15normal_iteratorINS6_10device_ptrIKyEEEESL_NS6_8equal_toIyEEEENSG_9not_fun_tINSD_8identityEEEEENSD_19counting_iterator_tIlEES8_S8_S8_S8_S8_S8_S8_S8_EEEEPS9_S9_NSD_9__find_if7functorIS9_EEEE10hipError_tPvRmT1_T2_T3_mT4_P12ihipStream_tbEUlT_E1_NS1_11comp_targetILNS1_3genE4ELNS1_11target_archE910ELNS1_3gpuE8ELNS1_3repE0EEENS1_30default_config_static_selectorELNS0_4arch9wavefront6targetE0EEEvS14_.has_indirect_call, 0
	.section	.AMDGPU.csdata,"",@progbits
; Kernel info:
; codeLenInByte = 0
; TotalNumSgprs: 0
; NumVgprs: 0
; ScratchSize: 0
; MemoryBound: 0
; FloatMode: 240
; IeeeMode: 1
; LDSByteSize: 0 bytes/workgroup (compile time only)
; SGPRBlocks: 0
; VGPRBlocks: 0
; NumSGPRsForWavesPerEU: 1
; NumVGPRsForWavesPerEU: 1
; Occupancy: 16
; WaveLimiterHint : 0
; COMPUTE_PGM_RSRC2:SCRATCH_EN: 0
; COMPUTE_PGM_RSRC2:USER_SGPR: 6
; COMPUTE_PGM_RSRC2:TRAP_HANDLER: 0
; COMPUTE_PGM_RSRC2:TGID_X_EN: 1
; COMPUTE_PGM_RSRC2:TGID_Y_EN: 0
; COMPUTE_PGM_RSRC2:TGID_Z_EN: 0
; COMPUTE_PGM_RSRC2:TIDIG_COMP_CNT: 0
	.section	.text._ZN7rocprim17ROCPRIM_400000_NS6detail17trampoline_kernelINS0_14default_configENS1_22reduce_config_selectorIN6thrust23THRUST_200600_302600_NS5tupleIblNS6_9null_typeES8_S8_S8_S8_S8_S8_S8_EEEEZNS1_11reduce_implILb1ES3_NS6_12zip_iteratorINS7_INS6_11hip_rocprim26transform_input_iterator_tIbNSD_35transform_pair_of_input_iterators_tIbNS6_6detail15normal_iteratorINS6_10device_ptrIKyEEEESL_NS6_8equal_toIyEEEENSG_9not_fun_tINSD_8identityEEEEENSD_19counting_iterator_tIlEES8_S8_S8_S8_S8_S8_S8_S8_EEEEPS9_S9_NSD_9__find_if7functorIS9_EEEE10hipError_tPvRmT1_T2_T3_mT4_P12ihipStream_tbEUlT_E1_NS1_11comp_targetILNS1_3genE3ELNS1_11target_archE908ELNS1_3gpuE7ELNS1_3repE0EEENS1_30default_config_static_selectorELNS0_4arch9wavefront6targetE0EEEvS14_,"axG",@progbits,_ZN7rocprim17ROCPRIM_400000_NS6detail17trampoline_kernelINS0_14default_configENS1_22reduce_config_selectorIN6thrust23THRUST_200600_302600_NS5tupleIblNS6_9null_typeES8_S8_S8_S8_S8_S8_S8_EEEEZNS1_11reduce_implILb1ES3_NS6_12zip_iteratorINS7_INS6_11hip_rocprim26transform_input_iterator_tIbNSD_35transform_pair_of_input_iterators_tIbNS6_6detail15normal_iteratorINS6_10device_ptrIKyEEEESL_NS6_8equal_toIyEEEENSG_9not_fun_tINSD_8identityEEEEENSD_19counting_iterator_tIlEES8_S8_S8_S8_S8_S8_S8_S8_EEEEPS9_S9_NSD_9__find_if7functorIS9_EEEE10hipError_tPvRmT1_T2_T3_mT4_P12ihipStream_tbEUlT_E1_NS1_11comp_targetILNS1_3genE3ELNS1_11target_archE908ELNS1_3gpuE7ELNS1_3repE0EEENS1_30default_config_static_selectorELNS0_4arch9wavefront6targetE0EEEvS14_,comdat
	.protected	_ZN7rocprim17ROCPRIM_400000_NS6detail17trampoline_kernelINS0_14default_configENS1_22reduce_config_selectorIN6thrust23THRUST_200600_302600_NS5tupleIblNS6_9null_typeES8_S8_S8_S8_S8_S8_S8_EEEEZNS1_11reduce_implILb1ES3_NS6_12zip_iteratorINS7_INS6_11hip_rocprim26transform_input_iterator_tIbNSD_35transform_pair_of_input_iterators_tIbNS6_6detail15normal_iteratorINS6_10device_ptrIKyEEEESL_NS6_8equal_toIyEEEENSG_9not_fun_tINSD_8identityEEEEENSD_19counting_iterator_tIlEES8_S8_S8_S8_S8_S8_S8_S8_EEEEPS9_S9_NSD_9__find_if7functorIS9_EEEE10hipError_tPvRmT1_T2_T3_mT4_P12ihipStream_tbEUlT_E1_NS1_11comp_targetILNS1_3genE3ELNS1_11target_archE908ELNS1_3gpuE7ELNS1_3repE0EEENS1_30default_config_static_selectorELNS0_4arch9wavefront6targetE0EEEvS14_ ; -- Begin function _ZN7rocprim17ROCPRIM_400000_NS6detail17trampoline_kernelINS0_14default_configENS1_22reduce_config_selectorIN6thrust23THRUST_200600_302600_NS5tupleIblNS6_9null_typeES8_S8_S8_S8_S8_S8_S8_EEEEZNS1_11reduce_implILb1ES3_NS6_12zip_iteratorINS7_INS6_11hip_rocprim26transform_input_iterator_tIbNSD_35transform_pair_of_input_iterators_tIbNS6_6detail15normal_iteratorINS6_10device_ptrIKyEEEESL_NS6_8equal_toIyEEEENSG_9not_fun_tINSD_8identityEEEEENSD_19counting_iterator_tIlEES8_S8_S8_S8_S8_S8_S8_S8_EEEEPS9_S9_NSD_9__find_if7functorIS9_EEEE10hipError_tPvRmT1_T2_T3_mT4_P12ihipStream_tbEUlT_E1_NS1_11comp_targetILNS1_3genE3ELNS1_11target_archE908ELNS1_3gpuE7ELNS1_3repE0EEENS1_30default_config_static_selectorELNS0_4arch9wavefront6targetE0EEEvS14_
	.globl	_ZN7rocprim17ROCPRIM_400000_NS6detail17trampoline_kernelINS0_14default_configENS1_22reduce_config_selectorIN6thrust23THRUST_200600_302600_NS5tupleIblNS6_9null_typeES8_S8_S8_S8_S8_S8_S8_EEEEZNS1_11reduce_implILb1ES3_NS6_12zip_iteratorINS7_INS6_11hip_rocprim26transform_input_iterator_tIbNSD_35transform_pair_of_input_iterators_tIbNS6_6detail15normal_iteratorINS6_10device_ptrIKyEEEESL_NS6_8equal_toIyEEEENSG_9not_fun_tINSD_8identityEEEEENSD_19counting_iterator_tIlEES8_S8_S8_S8_S8_S8_S8_S8_EEEEPS9_S9_NSD_9__find_if7functorIS9_EEEE10hipError_tPvRmT1_T2_T3_mT4_P12ihipStream_tbEUlT_E1_NS1_11comp_targetILNS1_3genE3ELNS1_11target_archE908ELNS1_3gpuE7ELNS1_3repE0EEENS1_30default_config_static_selectorELNS0_4arch9wavefront6targetE0EEEvS14_
	.p2align	8
	.type	_ZN7rocprim17ROCPRIM_400000_NS6detail17trampoline_kernelINS0_14default_configENS1_22reduce_config_selectorIN6thrust23THRUST_200600_302600_NS5tupleIblNS6_9null_typeES8_S8_S8_S8_S8_S8_S8_EEEEZNS1_11reduce_implILb1ES3_NS6_12zip_iteratorINS7_INS6_11hip_rocprim26transform_input_iterator_tIbNSD_35transform_pair_of_input_iterators_tIbNS6_6detail15normal_iteratorINS6_10device_ptrIKyEEEESL_NS6_8equal_toIyEEEENSG_9not_fun_tINSD_8identityEEEEENSD_19counting_iterator_tIlEES8_S8_S8_S8_S8_S8_S8_S8_EEEEPS9_S9_NSD_9__find_if7functorIS9_EEEE10hipError_tPvRmT1_T2_T3_mT4_P12ihipStream_tbEUlT_E1_NS1_11comp_targetILNS1_3genE3ELNS1_11target_archE908ELNS1_3gpuE7ELNS1_3repE0EEENS1_30default_config_static_selectorELNS0_4arch9wavefront6targetE0EEEvS14_,@function
_ZN7rocprim17ROCPRIM_400000_NS6detail17trampoline_kernelINS0_14default_configENS1_22reduce_config_selectorIN6thrust23THRUST_200600_302600_NS5tupleIblNS6_9null_typeES8_S8_S8_S8_S8_S8_S8_EEEEZNS1_11reduce_implILb1ES3_NS6_12zip_iteratorINS7_INS6_11hip_rocprim26transform_input_iterator_tIbNSD_35transform_pair_of_input_iterators_tIbNS6_6detail15normal_iteratorINS6_10device_ptrIKyEEEESL_NS6_8equal_toIyEEEENSG_9not_fun_tINSD_8identityEEEEENSD_19counting_iterator_tIlEES8_S8_S8_S8_S8_S8_S8_S8_EEEEPS9_S9_NSD_9__find_if7functorIS9_EEEE10hipError_tPvRmT1_T2_T3_mT4_P12ihipStream_tbEUlT_E1_NS1_11comp_targetILNS1_3genE3ELNS1_11target_archE908ELNS1_3gpuE7ELNS1_3repE0EEENS1_30default_config_static_selectorELNS0_4arch9wavefront6targetE0EEEvS14_: ; @_ZN7rocprim17ROCPRIM_400000_NS6detail17trampoline_kernelINS0_14default_configENS1_22reduce_config_selectorIN6thrust23THRUST_200600_302600_NS5tupleIblNS6_9null_typeES8_S8_S8_S8_S8_S8_S8_EEEEZNS1_11reduce_implILb1ES3_NS6_12zip_iteratorINS7_INS6_11hip_rocprim26transform_input_iterator_tIbNSD_35transform_pair_of_input_iterators_tIbNS6_6detail15normal_iteratorINS6_10device_ptrIKyEEEESL_NS6_8equal_toIyEEEENSG_9not_fun_tINSD_8identityEEEEENSD_19counting_iterator_tIlEES8_S8_S8_S8_S8_S8_S8_S8_EEEEPS9_S9_NSD_9__find_if7functorIS9_EEEE10hipError_tPvRmT1_T2_T3_mT4_P12ihipStream_tbEUlT_E1_NS1_11comp_targetILNS1_3genE3ELNS1_11target_archE908ELNS1_3gpuE7ELNS1_3repE0EEENS1_30default_config_static_selectorELNS0_4arch9wavefront6targetE0EEEvS14_
; %bb.0:
	.section	.rodata,"a",@progbits
	.p2align	6, 0x0
	.amdhsa_kernel _ZN7rocprim17ROCPRIM_400000_NS6detail17trampoline_kernelINS0_14default_configENS1_22reduce_config_selectorIN6thrust23THRUST_200600_302600_NS5tupleIblNS6_9null_typeES8_S8_S8_S8_S8_S8_S8_EEEEZNS1_11reduce_implILb1ES3_NS6_12zip_iteratorINS7_INS6_11hip_rocprim26transform_input_iterator_tIbNSD_35transform_pair_of_input_iterators_tIbNS6_6detail15normal_iteratorINS6_10device_ptrIKyEEEESL_NS6_8equal_toIyEEEENSG_9not_fun_tINSD_8identityEEEEENSD_19counting_iterator_tIlEES8_S8_S8_S8_S8_S8_S8_S8_EEEEPS9_S9_NSD_9__find_if7functorIS9_EEEE10hipError_tPvRmT1_T2_T3_mT4_P12ihipStream_tbEUlT_E1_NS1_11comp_targetILNS1_3genE3ELNS1_11target_archE908ELNS1_3gpuE7ELNS1_3repE0EEENS1_30default_config_static_selectorELNS0_4arch9wavefront6targetE0EEEvS14_
		.amdhsa_group_segment_fixed_size 0
		.amdhsa_private_segment_fixed_size 0
		.amdhsa_kernarg_size 88
		.amdhsa_user_sgpr_count 6
		.amdhsa_user_sgpr_private_segment_buffer 1
		.amdhsa_user_sgpr_dispatch_ptr 0
		.amdhsa_user_sgpr_queue_ptr 0
		.amdhsa_user_sgpr_kernarg_segment_ptr 1
		.amdhsa_user_sgpr_dispatch_id 0
		.amdhsa_user_sgpr_flat_scratch_init 0
		.amdhsa_user_sgpr_private_segment_size 0
		.amdhsa_wavefront_size32 1
		.amdhsa_uses_dynamic_stack 0
		.amdhsa_system_sgpr_private_segment_wavefront_offset 0
		.amdhsa_system_sgpr_workgroup_id_x 1
		.amdhsa_system_sgpr_workgroup_id_y 0
		.amdhsa_system_sgpr_workgroup_id_z 0
		.amdhsa_system_sgpr_workgroup_info 0
		.amdhsa_system_vgpr_workitem_id 0
		.amdhsa_next_free_vgpr 1
		.amdhsa_next_free_sgpr 1
		.amdhsa_reserve_vcc 0
		.amdhsa_reserve_flat_scratch 0
		.amdhsa_float_round_mode_32 0
		.amdhsa_float_round_mode_16_64 0
		.amdhsa_float_denorm_mode_32 3
		.amdhsa_float_denorm_mode_16_64 3
		.amdhsa_dx10_clamp 1
		.amdhsa_ieee_mode 1
		.amdhsa_fp16_overflow 0
		.amdhsa_workgroup_processor_mode 1
		.amdhsa_memory_ordered 1
		.amdhsa_forward_progress 1
		.amdhsa_shared_vgpr_count 0
		.amdhsa_exception_fp_ieee_invalid_op 0
		.amdhsa_exception_fp_denorm_src 0
		.amdhsa_exception_fp_ieee_div_zero 0
		.amdhsa_exception_fp_ieee_overflow 0
		.amdhsa_exception_fp_ieee_underflow 0
		.amdhsa_exception_fp_ieee_inexact 0
		.amdhsa_exception_int_div_zero 0
	.end_amdhsa_kernel
	.section	.text._ZN7rocprim17ROCPRIM_400000_NS6detail17trampoline_kernelINS0_14default_configENS1_22reduce_config_selectorIN6thrust23THRUST_200600_302600_NS5tupleIblNS6_9null_typeES8_S8_S8_S8_S8_S8_S8_EEEEZNS1_11reduce_implILb1ES3_NS6_12zip_iteratorINS7_INS6_11hip_rocprim26transform_input_iterator_tIbNSD_35transform_pair_of_input_iterators_tIbNS6_6detail15normal_iteratorINS6_10device_ptrIKyEEEESL_NS6_8equal_toIyEEEENSG_9not_fun_tINSD_8identityEEEEENSD_19counting_iterator_tIlEES8_S8_S8_S8_S8_S8_S8_S8_EEEEPS9_S9_NSD_9__find_if7functorIS9_EEEE10hipError_tPvRmT1_T2_T3_mT4_P12ihipStream_tbEUlT_E1_NS1_11comp_targetILNS1_3genE3ELNS1_11target_archE908ELNS1_3gpuE7ELNS1_3repE0EEENS1_30default_config_static_selectorELNS0_4arch9wavefront6targetE0EEEvS14_,"axG",@progbits,_ZN7rocprim17ROCPRIM_400000_NS6detail17trampoline_kernelINS0_14default_configENS1_22reduce_config_selectorIN6thrust23THRUST_200600_302600_NS5tupleIblNS6_9null_typeES8_S8_S8_S8_S8_S8_S8_EEEEZNS1_11reduce_implILb1ES3_NS6_12zip_iteratorINS7_INS6_11hip_rocprim26transform_input_iterator_tIbNSD_35transform_pair_of_input_iterators_tIbNS6_6detail15normal_iteratorINS6_10device_ptrIKyEEEESL_NS6_8equal_toIyEEEENSG_9not_fun_tINSD_8identityEEEEENSD_19counting_iterator_tIlEES8_S8_S8_S8_S8_S8_S8_S8_EEEEPS9_S9_NSD_9__find_if7functorIS9_EEEE10hipError_tPvRmT1_T2_T3_mT4_P12ihipStream_tbEUlT_E1_NS1_11comp_targetILNS1_3genE3ELNS1_11target_archE908ELNS1_3gpuE7ELNS1_3repE0EEENS1_30default_config_static_selectorELNS0_4arch9wavefront6targetE0EEEvS14_,comdat
.Lfunc_end126:
	.size	_ZN7rocprim17ROCPRIM_400000_NS6detail17trampoline_kernelINS0_14default_configENS1_22reduce_config_selectorIN6thrust23THRUST_200600_302600_NS5tupleIblNS6_9null_typeES8_S8_S8_S8_S8_S8_S8_EEEEZNS1_11reduce_implILb1ES3_NS6_12zip_iteratorINS7_INS6_11hip_rocprim26transform_input_iterator_tIbNSD_35transform_pair_of_input_iterators_tIbNS6_6detail15normal_iteratorINS6_10device_ptrIKyEEEESL_NS6_8equal_toIyEEEENSG_9not_fun_tINSD_8identityEEEEENSD_19counting_iterator_tIlEES8_S8_S8_S8_S8_S8_S8_S8_EEEEPS9_S9_NSD_9__find_if7functorIS9_EEEE10hipError_tPvRmT1_T2_T3_mT4_P12ihipStream_tbEUlT_E1_NS1_11comp_targetILNS1_3genE3ELNS1_11target_archE908ELNS1_3gpuE7ELNS1_3repE0EEENS1_30default_config_static_selectorELNS0_4arch9wavefront6targetE0EEEvS14_, .Lfunc_end126-_ZN7rocprim17ROCPRIM_400000_NS6detail17trampoline_kernelINS0_14default_configENS1_22reduce_config_selectorIN6thrust23THRUST_200600_302600_NS5tupleIblNS6_9null_typeES8_S8_S8_S8_S8_S8_S8_EEEEZNS1_11reduce_implILb1ES3_NS6_12zip_iteratorINS7_INS6_11hip_rocprim26transform_input_iterator_tIbNSD_35transform_pair_of_input_iterators_tIbNS6_6detail15normal_iteratorINS6_10device_ptrIKyEEEESL_NS6_8equal_toIyEEEENSG_9not_fun_tINSD_8identityEEEEENSD_19counting_iterator_tIlEES8_S8_S8_S8_S8_S8_S8_S8_EEEEPS9_S9_NSD_9__find_if7functorIS9_EEEE10hipError_tPvRmT1_T2_T3_mT4_P12ihipStream_tbEUlT_E1_NS1_11comp_targetILNS1_3genE3ELNS1_11target_archE908ELNS1_3gpuE7ELNS1_3repE0EEENS1_30default_config_static_selectorELNS0_4arch9wavefront6targetE0EEEvS14_
                                        ; -- End function
	.set _ZN7rocprim17ROCPRIM_400000_NS6detail17trampoline_kernelINS0_14default_configENS1_22reduce_config_selectorIN6thrust23THRUST_200600_302600_NS5tupleIblNS6_9null_typeES8_S8_S8_S8_S8_S8_S8_EEEEZNS1_11reduce_implILb1ES3_NS6_12zip_iteratorINS7_INS6_11hip_rocprim26transform_input_iterator_tIbNSD_35transform_pair_of_input_iterators_tIbNS6_6detail15normal_iteratorINS6_10device_ptrIKyEEEESL_NS6_8equal_toIyEEEENSG_9not_fun_tINSD_8identityEEEEENSD_19counting_iterator_tIlEES8_S8_S8_S8_S8_S8_S8_S8_EEEEPS9_S9_NSD_9__find_if7functorIS9_EEEE10hipError_tPvRmT1_T2_T3_mT4_P12ihipStream_tbEUlT_E1_NS1_11comp_targetILNS1_3genE3ELNS1_11target_archE908ELNS1_3gpuE7ELNS1_3repE0EEENS1_30default_config_static_selectorELNS0_4arch9wavefront6targetE0EEEvS14_.num_vgpr, 0
	.set _ZN7rocprim17ROCPRIM_400000_NS6detail17trampoline_kernelINS0_14default_configENS1_22reduce_config_selectorIN6thrust23THRUST_200600_302600_NS5tupleIblNS6_9null_typeES8_S8_S8_S8_S8_S8_S8_EEEEZNS1_11reduce_implILb1ES3_NS6_12zip_iteratorINS7_INS6_11hip_rocprim26transform_input_iterator_tIbNSD_35transform_pair_of_input_iterators_tIbNS6_6detail15normal_iteratorINS6_10device_ptrIKyEEEESL_NS6_8equal_toIyEEEENSG_9not_fun_tINSD_8identityEEEEENSD_19counting_iterator_tIlEES8_S8_S8_S8_S8_S8_S8_S8_EEEEPS9_S9_NSD_9__find_if7functorIS9_EEEE10hipError_tPvRmT1_T2_T3_mT4_P12ihipStream_tbEUlT_E1_NS1_11comp_targetILNS1_3genE3ELNS1_11target_archE908ELNS1_3gpuE7ELNS1_3repE0EEENS1_30default_config_static_selectorELNS0_4arch9wavefront6targetE0EEEvS14_.num_agpr, 0
	.set _ZN7rocprim17ROCPRIM_400000_NS6detail17trampoline_kernelINS0_14default_configENS1_22reduce_config_selectorIN6thrust23THRUST_200600_302600_NS5tupleIblNS6_9null_typeES8_S8_S8_S8_S8_S8_S8_EEEEZNS1_11reduce_implILb1ES3_NS6_12zip_iteratorINS7_INS6_11hip_rocprim26transform_input_iterator_tIbNSD_35transform_pair_of_input_iterators_tIbNS6_6detail15normal_iteratorINS6_10device_ptrIKyEEEESL_NS6_8equal_toIyEEEENSG_9not_fun_tINSD_8identityEEEEENSD_19counting_iterator_tIlEES8_S8_S8_S8_S8_S8_S8_S8_EEEEPS9_S9_NSD_9__find_if7functorIS9_EEEE10hipError_tPvRmT1_T2_T3_mT4_P12ihipStream_tbEUlT_E1_NS1_11comp_targetILNS1_3genE3ELNS1_11target_archE908ELNS1_3gpuE7ELNS1_3repE0EEENS1_30default_config_static_selectorELNS0_4arch9wavefront6targetE0EEEvS14_.numbered_sgpr, 0
	.set _ZN7rocprim17ROCPRIM_400000_NS6detail17trampoline_kernelINS0_14default_configENS1_22reduce_config_selectorIN6thrust23THRUST_200600_302600_NS5tupleIblNS6_9null_typeES8_S8_S8_S8_S8_S8_S8_EEEEZNS1_11reduce_implILb1ES3_NS6_12zip_iteratorINS7_INS6_11hip_rocprim26transform_input_iterator_tIbNSD_35transform_pair_of_input_iterators_tIbNS6_6detail15normal_iteratorINS6_10device_ptrIKyEEEESL_NS6_8equal_toIyEEEENSG_9not_fun_tINSD_8identityEEEEENSD_19counting_iterator_tIlEES8_S8_S8_S8_S8_S8_S8_S8_EEEEPS9_S9_NSD_9__find_if7functorIS9_EEEE10hipError_tPvRmT1_T2_T3_mT4_P12ihipStream_tbEUlT_E1_NS1_11comp_targetILNS1_3genE3ELNS1_11target_archE908ELNS1_3gpuE7ELNS1_3repE0EEENS1_30default_config_static_selectorELNS0_4arch9wavefront6targetE0EEEvS14_.num_named_barrier, 0
	.set _ZN7rocprim17ROCPRIM_400000_NS6detail17trampoline_kernelINS0_14default_configENS1_22reduce_config_selectorIN6thrust23THRUST_200600_302600_NS5tupleIblNS6_9null_typeES8_S8_S8_S8_S8_S8_S8_EEEEZNS1_11reduce_implILb1ES3_NS6_12zip_iteratorINS7_INS6_11hip_rocprim26transform_input_iterator_tIbNSD_35transform_pair_of_input_iterators_tIbNS6_6detail15normal_iteratorINS6_10device_ptrIKyEEEESL_NS6_8equal_toIyEEEENSG_9not_fun_tINSD_8identityEEEEENSD_19counting_iterator_tIlEES8_S8_S8_S8_S8_S8_S8_S8_EEEEPS9_S9_NSD_9__find_if7functorIS9_EEEE10hipError_tPvRmT1_T2_T3_mT4_P12ihipStream_tbEUlT_E1_NS1_11comp_targetILNS1_3genE3ELNS1_11target_archE908ELNS1_3gpuE7ELNS1_3repE0EEENS1_30default_config_static_selectorELNS0_4arch9wavefront6targetE0EEEvS14_.private_seg_size, 0
	.set _ZN7rocprim17ROCPRIM_400000_NS6detail17trampoline_kernelINS0_14default_configENS1_22reduce_config_selectorIN6thrust23THRUST_200600_302600_NS5tupleIblNS6_9null_typeES8_S8_S8_S8_S8_S8_S8_EEEEZNS1_11reduce_implILb1ES3_NS6_12zip_iteratorINS7_INS6_11hip_rocprim26transform_input_iterator_tIbNSD_35transform_pair_of_input_iterators_tIbNS6_6detail15normal_iteratorINS6_10device_ptrIKyEEEESL_NS6_8equal_toIyEEEENSG_9not_fun_tINSD_8identityEEEEENSD_19counting_iterator_tIlEES8_S8_S8_S8_S8_S8_S8_S8_EEEEPS9_S9_NSD_9__find_if7functorIS9_EEEE10hipError_tPvRmT1_T2_T3_mT4_P12ihipStream_tbEUlT_E1_NS1_11comp_targetILNS1_3genE3ELNS1_11target_archE908ELNS1_3gpuE7ELNS1_3repE0EEENS1_30default_config_static_selectorELNS0_4arch9wavefront6targetE0EEEvS14_.uses_vcc, 0
	.set _ZN7rocprim17ROCPRIM_400000_NS6detail17trampoline_kernelINS0_14default_configENS1_22reduce_config_selectorIN6thrust23THRUST_200600_302600_NS5tupleIblNS6_9null_typeES8_S8_S8_S8_S8_S8_S8_EEEEZNS1_11reduce_implILb1ES3_NS6_12zip_iteratorINS7_INS6_11hip_rocprim26transform_input_iterator_tIbNSD_35transform_pair_of_input_iterators_tIbNS6_6detail15normal_iteratorINS6_10device_ptrIKyEEEESL_NS6_8equal_toIyEEEENSG_9not_fun_tINSD_8identityEEEEENSD_19counting_iterator_tIlEES8_S8_S8_S8_S8_S8_S8_S8_EEEEPS9_S9_NSD_9__find_if7functorIS9_EEEE10hipError_tPvRmT1_T2_T3_mT4_P12ihipStream_tbEUlT_E1_NS1_11comp_targetILNS1_3genE3ELNS1_11target_archE908ELNS1_3gpuE7ELNS1_3repE0EEENS1_30default_config_static_selectorELNS0_4arch9wavefront6targetE0EEEvS14_.uses_flat_scratch, 0
	.set _ZN7rocprim17ROCPRIM_400000_NS6detail17trampoline_kernelINS0_14default_configENS1_22reduce_config_selectorIN6thrust23THRUST_200600_302600_NS5tupleIblNS6_9null_typeES8_S8_S8_S8_S8_S8_S8_EEEEZNS1_11reduce_implILb1ES3_NS6_12zip_iteratorINS7_INS6_11hip_rocprim26transform_input_iterator_tIbNSD_35transform_pair_of_input_iterators_tIbNS6_6detail15normal_iteratorINS6_10device_ptrIKyEEEESL_NS6_8equal_toIyEEEENSG_9not_fun_tINSD_8identityEEEEENSD_19counting_iterator_tIlEES8_S8_S8_S8_S8_S8_S8_S8_EEEEPS9_S9_NSD_9__find_if7functorIS9_EEEE10hipError_tPvRmT1_T2_T3_mT4_P12ihipStream_tbEUlT_E1_NS1_11comp_targetILNS1_3genE3ELNS1_11target_archE908ELNS1_3gpuE7ELNS1_3repE0EEENS1_30default_config_static_selectorELNS0_4arch9wavefront6targetE0EEEvS14_.has_dyn_sized_stack, 0
	.set _ZN7rocprim17ROCPRIM_400000_NS6detail17trampoline_kernelINS0_14default_configENS1_22reduce_config_selectorIN6thrust23THRUST_200600_302600_NS5tupleIblNS6_9null_typeES8_S8_S8_S8_S8_S8_S8_EEEEZNS1_11reduce_implILb1ES3_NS6_12zip_iteratorINS7_INS6_11hip_rocprim26transform_input_iterator_tIbNSD_35transform_pair_of_input_iterators_tIbNS6_6detail15normal_iteratorINS6_10device_ptrIKyEEEESL_NS6_8equal_toIyEEEENSG_9not_fun_tINSD_8identityEEEEENSD_19counting_iterator_tIlEES8_S8_S8_S8_S8_S8_S8_S8_EEEEPS9_S9_NSD_9__find_if7functorIS9_EEEE10hipError_tPvRmT1_T2_T3_mT4_P12ihipStream_tbEUlT_E1_NS1_11comp_targetILNS1_3genE3ELNS1_11target_archE908ELNS1_3gpuE7ELNS1_3repE0EEENS1_30default_config_static_selectorELNS0_4arch9wavefront6targetE0EEEvS14_.has_recursion, 0
	.set _ZN7rocprim17ROCPRIM_400000_NS6detail17trampoline_kernelINS0_14default_configENS1_22reduce_config_selectorIN6thrust23THRUST_200600_302600_NS5tupleIblNS6_9null_typeES8_S8_S8_S8_S8_S8_S8_EEEEZNS1_11reduce_implILb1ES3_NS6_12zip_iteratorINS7_INS6_11hip_rocprim26transform_input_iterator_tIbNSD_35transform_pair_of_input_iterators_tIbNS6_6detail15normal_iteratorINS6_10device_ptrIKyEEEESL_NS6_8equal_toIyEEEENSG_9not_fun_tINSD_8identityEEEEENSD_19counting_iterator_tIlEES8_S8_S8_S8_S8_S8_S8_S8_EEEEPS9_S9_NSD_9__find_if7functorIS9_EEEE10hipError_tPvRmT1_T2_T3_mT4_P12ihipStream_tbEUlT_E1_NS1_11comp_targetILNS1_3genE3ELNS1_11target_archE908ELNS1_3gpuE7ELNS1_3repE0EEENS1_30default_config_static_selectorELNS0_4arch9wavefront6targetE0EEEvS14_.has_indirect_call, 0
	.section	.AMDGPU.csdata,"",@progbits
; Kernel info:
; codeLenInByte = 0
; TotalNumSgprs: 0
; NumVgprs: 0
; ScratchSize: 0
; MemoryBound: 0
; FloatMode: 240
; IeeeMode: 1
; LDSByteSize: 0 bytes/workgroup (compile time only)
; SGPRBlocks: 0
; VGPRBlocks: 0
; NumSGPRsForWavesPerEU: 1
; NumVGPRsForWavesPerEU: 1
; Occupancy: 16
; WaveLimiterHint : 0
; COMPUTE_PGM_RSRC2:SCRATCH_EN: 0
; COMPUTE_PGM_RSRC2:USER_SGPR: 6
; COMPUTE_PGM_RSRC2:TRAP_HANDLER: 0
; COMPUTE_PGM_RSRC2:TGID_X_EN: 1
; COMPUTE_PGM_RSRC2:TGID_Y_EN: 0
; COMPUTE_PGM_RSRC2:TGID_Z_EN: 0
; COMPUTE_PGM_RSRC2:TIDIG_COMP_CNT: 0
	.section	.text._ZN7rocprim17ROCPRIM_400000_NS6detail17trampoline_kernelINS0_14default_configENS1_22reduce_config_selectorIN6thrust23THRUST_200600_302600_NS5tupleIblNS6_9null_typeES8_S8_S8_S8_S8_S8_S8_EEEEZNS1_11reduce_implILb1ES3_NS6_12zip_iteratorINS7_INS6_11hip_rocprim26transform_input_iterator_tIbNSD_35transform_pair_of_input_iterators_tIbNS6_6detail15normal_iteratorINS6_10device_ptrIKyEEEESL_NS6_8equal_toIyEEEENSG_9not_fun_tINSD_8identityEEEEENSD_19counting_iterator_tIlEES8_S8_S8_S8_S8_S8_S8_S8_EEEEPS9_S9_NSD_9__find_if7functorIS9_EEEE10hipError_tPvRmT1_T2_T3_mT4_P12ihipStream_tbEUlT_E1_NS1_11comp_targetILNS1_3genE2ELNS1_11target_archE906ELNS1_3gpuE6ELNS1_3repE0EEENS1_30default_config_static_selectorELNS0_4arch9wavefront6targetE0EEEvS14_,"axG",@progbits,_ZN7rocprim17ROCPRIM_400000_NS6detail17trampoline_kernelINS0_14default_configENS1_22reduce_config_selectorIN6thrust23THRUST_200600_302600_NS5tupleIblNS6_9null_typeES8_S8_S8_S8_S8_S8_S8_EEEEZNS1_11reduce_implILb1ES3_NS6_12zip_iteratorINS7_INS6_11hip_rocprim26transform_input_iterator_tIbNSD_35transform_pair_of_input_iterators_tIbNS6_6detail15normal_iteratorINS6_10device_ptrIKyEEEESL_NS6_8equal_toIyEEEENSG_9not_fun_tINSD_8identityEEEEENSD_19counting_iterator_tIlEES8_S8_S8_S8_S8_S8_S8_S8_EEEEPS9_S9_NSD_9__find_if7functorIS9_EEEE10hipError_tPvRmT1_T2_T3_mT4_P12ihipStream_tbEUlT_E1_NS1_11comp_targetILNS1_3genE2ELNS1_11target_archE906ELNS1_3gpuE6ELNS1_3repE0EEENS1_30default_config_static_selectorELNS0_4arch9wavefront6targetE0EEEvS14_,comdat
	.protected	_ZN7rocprim17ROCPRIM_400000_NS6detail17trampoline_kernelINS0_14default_configENS1_22reduce_config_selectorIN6thrust23THRUST_200600_302600_NS5tupleIblNS6_9null_typeES8_S8_S8_S8_S8_S8_S8_EEEEZNS1_11reduce_implILb1ES3_NS6_12zip_iteratorINS7_INS6_11hip_rocprim26transform_input_iterator_tIbNSD_35transform_pair_of_input_iterators_tIbNS6_6detail15normal_iteratorINS6_10device_ptrIKyEEEESL_NS6_8equal_toIyEEEENSG_9not_fun_tINSD_8identityEEEEENSD_19counting_iterator_tIlEES8_S8_S8_S8_S8_S8_S8_S8_EEEEPS9_S9_NSD_9__find_if7functorIS9_EEEE10hipError_tPvRmT1_T2_T3_mT4_P12ihipStream_tbEUlT_E1_NS1_11comp_targetILNS1_3genE2ELNS1_11target_archE906ELNS1_3gpuE6ELNS1_3repE0EEENS1_30default_config_static_selectorELNS0_4arch9wavefront6targetE0EEEvS14_ ; -- Begin function _ZN7rocprim17ROCPRIM_400000_NS6detail17trampoline_kernelINS0_14default_configENS1_22reduce_config_selectorIN6thrust23THRUST_200600_302600_NS5tupleIblNS6_9null_typeES8_S8_S8_S8_S8_S8_S8_EEEEZNS1_11reduce_implILb1ES3_NS6_12zip_iteratorINS7_INS6_11hip_rocprim26transform_input_iterator_tIbNSD_35transform_pair_of_input_iterators_tIbNS6_6detail15normal_iteratorINS6_10device_ptrIKyEEEESL_NS6_8equal_toIyEEEENSG_9not_fun_tINSD_8identityEEEEENSD_19counting_iterator_tIlEES8_S8_S8_S8_S8_S8_S8_S8_EEEEPS9_S9_NSD_9__find_if7functorIS9_EEEE10hipError_tPvRmT1_T2_T3_mT4_P12ihipStream_tbEUlT_E1_NS1_11comp_targetILNS1_3genE2ELNS1_11target_archE906ELNS1_3gpuE6ELNS1_3repE0EEENS1_30default_config_static_selectorELNS0_4arch9wavefront6targetE0EEEvS14_
	.globl	_ZN7rocprim17ROCPRIM_400000_NS6detail17trampoline_kernelINS0_14default_configENS1_22reduce_config_selectorIN6thrust23THRUST_200600_302600_NS5tupleIblNS6_9null_typeES8_S8_S8_S8_S8_S8_S8_EEEEZNS1_11reduce_implILb1ES3_NS6_12zip_iteratorINS7_INS6_11hip_rocprim26transform_input_iterator_tIbNSD_35transform_pair_of_input_iterators_tIbNS6_6detail15normal_iteratorINS6_10device_ptrIKyEEEESL_NS6_8equal_toIyEEEENSG_9not_fun_tINSD_8identityEEEEENSD_19counting_iterator_tIlEES8_S8_S8_S8_S8_S8_S8_S8_EEEEPS9_S9_NSD_9__find_if7functorIS9_EEEE10hipError_tPvRmT1_T2_T3_mT4_P12ihipStream_tbEUlT_E1_NS1_11comp_targetILNS1_3genE2ELNS1_11target_archE906ELNS1_3gpuE6ELNS1_3repE0EEENS1_30default_config_static_selectorELNS0_4arch9wavefront6targetE0EEEvS14_
	.p2align	8
	.type	_ZN7rocprim17ROCPRIM_400000_NS6detail17trampoline_kernelINS0_14default_configENS1_22reduce_config_selectorIN6thrust23THRUST_200600_302600_NS5tupleIblNS6_9null_typeES8_S8_S8_S8_S8_S8_S8_EEEEZNS1_11reduce_implILb1ES3_NS6_12zip_iteratorINS7_INS6_11hip_rocprim26transform_input_iterator_tIbNSD_35transform_pair_of_input_iterators_tIbNS6_6detail15normal_iteratorINS6_10device_ptrIKyEEEESL_NS6_8equal_toIyEEEENSG_9not_fun_tINSD_8identityEEEEENSD_19counting_iterator_tIlEES8_S8_S8_S8_S8_S8_S8_S8_EEEEPS9_S9_NSD_9__find_if7functorIS9_EEEE10hipError_tPvRmT1_T2_T3_mT4_P12ihipStream_tbEUlT_E1_NS1_11comp_targetILNS1_3genE2ELNS1_11target_archE906ELNS1_3gpuE6ELNS1_3repE0EEENS1_30default_config_static_selectorELNS0_4arch9wavefront6targetE0EEEvS14_,@function
_ZN7rocprim17ROCPRIM_400000_NS6detail17trampoline_kernelINS0_14default_configENS1_22reduce_config_selectorIN6thrust23THRUST_200600_302600_NS5tupleIblNS6_9null_typeES8_S8_S8_S8_S8_S8_S8_EEEEZNS1_11reduce_implILb1ES3_NS6_12zip_iteratorINS7_INS6_11hip_rocprim26transform_input_iterator_tIbNSD_35transform_pair_of_input_iterators_tIbNS6_6detail15normal_iteratorINS6_10device_ptrIKyEEEESL_NS6_8equal_toIyEEEENSG_9not_fun_tINSD_8identityEEEEENSD_19counting_iterator_tIlEES8_S8_S8_S8_S8_S8_S8_S8_EEEEPS9_S9_NSD_9__find_if7functorIS9_EEEE10hipError_tPvRmT1_T2_T3_mT4_P12ihipStream_tbEUlT_E1_NS1_11comp_targetILNS1_3genE2ELNS1_11target_archE906ELNS1_3gpuE6ELNS1_3repE0EEENS1_30default_config_static_selectorELNS0_4arch9wavefront6targetE0EEEvS14_: ; @_ZN7rocprim17ROCPRIM_400000_NS6detail17trampoline_kernelINS0_14default_configENS1_22reduce_config_selectorIN6thrust23THRUST_200600_302600_NS5tupleIblNS6_9null_typeES8_S8_S8_S8_S8_S8_S8_EEEEZNS1_11reduce_implILb1ES3_NS6_12zip_iteratorINS7_INS6_11hip_rocprim26transform_input_iterator_tIbNSD_35transform_pair_of_input_iterators_tIbNS6_6detail15normal_iteratorINS6_10device_ptrIKyEEEESL_NS6_8equal_toIyEEEENSG_9not_fun_tINSD_8identityEEEEENSD_19counting_iterator_tIlEES8_S8_S8_S8_S8_S8_S8_S8_EEEEPS9_S9_NSD_9__find_if7functorIS9_EEEE10hipError_tPvRmT1_T2_T3_mT4_P12ihipStream_tbEUlT_E1_NS1_11comp_targetILNS1_3genE2ELNS1_11target_archE906ELNS1_3gpuE6ELNS1_3repE0EEENS1_30default_config_static_selectorELNS0_4arch9wavefront6targetE0EEEvS14_
; %bb.0:
	.section	.rodata,"a",@progbits
	.p2align	6, 0x0
	.amdhsa_kernel _ZN7rocprim17ROCPRIM_400000_NS6detail17trampoline_kernelINS0_14default_configENS1_22reduce_config_selectorIN6thrust23THRUST_200600_302600_NS5tupleIblNS6_9null_typeES8_S8_S8_S8_S8_S8_S8_EEEEZNS1_11reduce_implILb1ES3_NS6_12zip_iteratorINS7_INS6_11hip_rocprim26transform_input_iterator_tIbNSD_35transform_pair_of_input_iterators_tIbNS6_6detail15normal_iteratorINS6_10device_ptrIKyEEEESL_NS6_8equal_toIyEEEENSG_9not_fun_tINSD_8identityEEEEENSD_19counting_iterator_tIlEES8_S8_S8_S8_S8_S8_S8_S8_EEEEPS9_S9_NSD_9__find_if7functorIS9_EEEE10hipError_tPvRmT1_T2_T3_mT4_P12ihipStream_tbEUlT_E1_NS1_11comp_targetILNS1_3genE2ELNS1_11target_archE906ELNS1_3gpuE6ELNS1_3repE0EEENS1_30default_config_static_selectorELNS0_4arch9wavefront6targetE0EEEvS14_
		.amdhsa_group_segment_fixed_size 0
		.amdhsa_private_segment_fixed_size 0
		.amdhsa_kernarg_size 88
		.amdhsa_user_sgpr_count 6
		.amdhsa_user_sgpr_private_segment_buffer 1
		.amdhsa_user_sgpr_dispatch_ptr 0
		.amdhsa_user_sgpr_queue_ptr 0
		.amdhsa_user_sgpr_kernarg_segment_ptr 1
		.amdhsa_user_sgpr_dispatch_id 0
		.amdhsa_user_sgpr_flat_scratch_init 0
		.amdhsa_user_sgpr_private_segment_size 0
		.amdhsa_wavefront_size32 1
		.amdhsa_uses_dynamic_stack 0
		.amdhsa_system_sgpr_private_segment_wavefront_offset 0
		.amdhsa_system_sgpr_workgroup_id_x 1
		.amdhsa_system_sgpr_workgroup_id_y 0
		.amdhsa_system_sgpr_workgroup_id_z 0
		.amdhsa_system_sgpr_workgroup_info 0
		.amdhsa_system_vgpr_workitem_id 0
		.amdhsa_next_free_vgpr 1
		.amdhsa_next_free_sgpr 1
		.amdhsa_reserve_vcc 0
		.amdhsa_reserve_flat_scratch 0
		.amdhsa_float_round_mode_32 0
		.amdhsa_float_round_mode_16_64 0
		.amdhsa_float_denorm_mode_32 3
		.amdhsa_float_denorm_mode_16_64 3
		.amdhsa_dx10_clamp 1
		.amdhsa_ieee_mode 1
		.amdhsa_fp16_overflow 0
		.amdhsa_workgroup_processor_mode 1
		.amdhsa_memory_ordered 1
		.amdhsa_forward_progress 1
		.amdhsa_shared_vgpr_count 0
		.amdhsa_exception_fp_ieee_invalid_op 0
		.amdhsa_exception_fp_denorm_src 0
		.amdhsa_exception_fp_ieee_div_zero 0
		.amdhsa_exception_fp_ieee_overflow 0
		.amdhsa_exception_fp_ieee_underflow 0
		.amdhsa_exception_fp_ieee_inexact 0
		.amdhsa_exception_int_div_zero 0
	.end_amdhsa_kernel
	.section	.text._ZN7rocprim17ROCPRIM_400000_NS6detail17trampoline_kernelINS0_14default_configENS1_22reduce_config_selectorIN6thrust23THRUST_200600_302600_NS5tupleIblNS6_9null_typeES8_S8_S8_S8_S8_S8_S8_EEEEZNS1_11reduce_implILb1ES3_NS6_12zip_iteratorINS7_INS6_11hip_rocprim26transform_input_iterator_tIbNSD_35transform_pair_of_input_iterators_tIbNS6_6detail15normal_iteratorINS6_10device_ptrIKyEEEESL_NS6_8equal_toIyEEEENSG_9not_fun_tINSD_8identityEEEEENSD_19counting_iterator_tIlEES8_S8_S8_S8_S8_S8_S8_S8_EEEEPS9_S9_NSD_9__find_if7functorIS9_EEEE10hipError_tPvRmT1_T2_T3_mT4_P12ihipStream_tbEUlT_E1_NS1_11comp_targetILNS1_3genE2ELNS1_11target_archE906ELNS1_3gpuE6ELNS1_3repE0EEENS1_30default_config_static_selectorELNS0_4arch9wavefront6targetE0EEEvS14_,"axG",@progbits,_ZN7rocprim17ROCPRIM_400000_NS6detail17trampoline_kernelINS0_14default_configENS1_22reduce_config_selectorIN6thrust23THRUST_200600_302600_NS5tupleIblNS6_9null_typeES8_S8_S8_S8_S8_S8_S8_EEEEZNS1_11reduce_implILb1ES3_NS6_12zip_iteratorINS7_INS6_11hip_rocprim26transform_input_iterator_tIbNSD_35transform_pair_of_input_iterators_tIbNS6_6detail15normal_iteratorINS6_10device_ptrIKyEEEESL_NS6_8equal_toIyEEEENSG_9not_fun_tINSD_8identityEEEEENSD_19counting_iterator_tIlEES8_S8_S8_S8_S8_S8_S8_S8_EEEEPS9_S9_NSD_9__find_if7functorIS9_EEEE10hipError_tPvRmT1_T2_T3_mT4_P12ihipStream_tbEUlT_E1_NS1_11comp_targetILNS1_3genE2ELNS1_11target_archE906ELNS1_3gpuE6ELNS1_3repE0EEENS1_30default_config_static_selectorELNS0_4arch9wavefront6targetE0EEEvS14_,comdat
.Lfunc_end127:
	.size	_ZN7rocprim17ROCPRIM_400000_NS6detail17trampoline_kernelINS0_14default_configENS1_22reduce_config_selectorIN6thrust23THRUST_200600_302600_NS5tupleIblNS6_9null_typeES8_S8_S8_S8_S8_S8_S8_EEEEZNS1_11reduce_implILb1ES3_NS6_12zip_iteratorINS7_INS6_11hip_rocprim26transform_input_iterator_tIbNSD_35transform_pair_of_input_iterators_tIbNS6_6detail15normal_iteratorINS6_10device_ptrIKyEEEESL_NS6_8equal_toIyEEEENSG_9not_fun_tINSD_8identityEEEEENSD_19counting_iterator_tIlEES8_S8_S8_S8_S8_S8_S8_S8_EEEEPS9_S9_NSD_9__find_if7functorIS9_EEEE10hipError_tPvRmT1_T2_T3_mT4_P12ihipStream_tbEUlT_E1_NS1_11comp_targetILNS1_3genE2ELNS1_11target_archE906ELNS1_3gpuE6ELNS1_3repE0EEENS1_30default_config_static_selectorELNS0_4arch9wavefront6targetE0EEEvS14_, .Lfunc_end127-_ZN7rocprim17ROCPRIM_400000_NS6detail17trampoline_kernelINS0_14default_configENS1_22reduce_config_selectorIN6thrust23THRUST_200600_302600_NS5tupleIblNS6_9null_typeES8_S8_S8_S8_S8_S8_S8_EEEEZNS1_11reduce_implILb1ES3_NS6_12zip_iteratorINS7_INS6_11hip_rocprim26transform_input_iterator_tIbNSD_35transform_pair_of_input_iterators_tIbNS6_6detail15normal_iteratorINS6_10device_ptrIKyEEEESL_NS6_8equal_toIyEEEENSG_9not_fun_tINSD_8identityEEEEENSD_19counting_iterator_tIlEES8_S8_S8_S8_S8_S8_S8_S8_EEEEPS9_S9_NSD_9__find_if7functorIS9_EEEE10hipError_tPvRmT1_T2_T3_mT4_P12ihipStream_tbEUlT_E1_NS1_11comp_targetILNS1_3genE2ELNS1_11target_archE906ELNS1_3gpuE6ELNS1_3repE0EEENS1_30default_config_static_selectorELNS0_4arch9wavefront6targetE0EEEvS14_
                                        ; -- End function
	.set _ZN7rocprim17ROCPRIM_400000_NS6detail17trampoline_kernelINS0_14default_configENS1_22reduce_config_selectorIN6thrust23THRUST_200600_302600_NS5tupleIblNS6_9null_typeES8_S8_S8_S8_S8_S8_S8_EEEEZNS1_11reduce_implILb1ES3_NS6_12zip_iteratorINS7_INS6_11hip_rocprim26transform_input_iterator_tIbNSD_35transform_pair_of_input_iterators_tIbNS6_6detail15normal_iteratorINS6_10device_ptrIKyEEEESL_NS6_8equal_toIyEEEENSG_9not_fun_tINSD_8identityEEEEENSD_19counting_iterator_tIlEES8_S8_S8_S8_S8_S8_S8_S8_EEEEPS9_S9_NSD_9__find_if7functorIS9_EEEE10hipError_tPvRmT1_T2_T3_mT4_P12ihipStream_tbEUlT_E1_NS1_11comp_targetILNS1_3genE2ELNS1_11target_archE906ELNS1_3gpuE6ELNS1_3repE0EEENS1_30default_config_static_selectorELNS0_4arch9wavefront6targetE0EEEvS14_.num_vgpr, 0
	.set _ZN7rocprim17ROCPRIM_400000_NS6detail17trampoline_kernelINS0_14default_configENS1_22reduce_config_selectorIN6thrust23THRUST_200600_302600_NS5tupleIblNS6_9null_typeES8_S8_S8_S8_S8_S8_S8_EEEEZNS1_11reduce_implILb1ES3_NS6_12zip_iteratorINS7_INS6_11hip_rocprim26transform_input_iterator_tIbNSD_35transform_pair_of_input_iterators_tIbNS6_6detail15normal_iteratorINS6_10device_ptrIKyEEEESL_NS6_8equal_toIyEEEENSG_9not_fun_tINSD_8identityEEEEENSD_19counting_iterator_tIlEES8_S8_S8_S8_S8_S8_S8_S8_EEEEPS9_S9_NSD_9__find_if7functorIS9_EEEE10hipError_tPvRmT1_T2_T3_mT4_P12ihipStream_tbEUlT_E1_NS1_11comp_targetILNS1_3genE2ELNS1_11target_archE906ELNS1_3gpuE6ELNS1_3repE0EEENS1_30default_config_static_selectorELNS0_4arch9wavefront6targetE0EEEvS14_.num_agpr, 0
	.set _ZN7rocprim17ROCPRIM_400000_NS6detail17trampoline_kernelINS0_14default_configENS1_22reduce_config_selectorIN6thrust23THRUST_200600_302600_NS5tupleIblNS6_9null_typeES8_S8_S8_S8_S8_S8_S8_EEEEZNS1_11reduce_implILb1ES3_NS6_12zip_iteratorINS7_INS6_11hip_rocprim26transform_input_iterator_tIbNSD_35transform_pair_of_input_iterators_tIbNS6_6detail15normal_iteratorINS6_10device_ptrIKyEEEESL_NS6_8equal_toIyEEEENSG_9not_fun_tINSD_8identityEEEEENSD_19counting_iterator_tIlEES8_S8_S8_S8_S8_S8_S8_S8_EEEEPS9_S9_NSD_9__find_if7functorIS9_EEEE10hipError_tPvRmT1_T2_T3_mT4_P12ihipStream_tbEUlT_E1_NS1_11comp_targetILNS1_3genE2ELNS1_11target_archE906ELNS1_3gpuE6ELNS1_3repE0EEENS1_30default_config_static_selectorELNS0_4arch9wavefront6targetE0EEEvS14_.numbered_sgpr, 0
	.set _ZN7rocprim17ROCPRIM_400000_NS6detail17trampoline_kernelINS0_14default_configENS1_22reduce_config_selectorIN6thrust23THRUST_200600_302600_NS5tupleIblNS6_9null_typeES8_S8_S8_S8_S8_S8_S8_EEEEZNS1_11reduce_implILb1ES3_NS6_12zip_iteratorINS7_INS6_11hip_rocprim26transform_input_iterator_tIbNSD_35transform_pair_of_input_iterators_tIbNS6_6detail15normal_iteratorINS6_10device_ptrIKyEEEESL_NS6_8equal_toIyEEEENSG_9not_fun_tINSD_8identityEEEEENSD_19counting_iterator_tIlEES8_S8_S8_S8_S8_S8_S8_S8_EEEEPS9_S9_NSD_9__find_if7functorIS9_EEEE10hipError_tPvRmT1_T2_T3_mT4_P12ihipStream_tbEUlT_E1_NS1_11comp_targetILNS1_3genE2ELNS1_11target_archE906ELNS1_3gpuE6ELNS1_3repE0EEENS1_30default_config_static_selectorELNS0_4arch9wavefront6targetE0EEEvS14_.num_named_barrier, 0
	.set _ZN7rocprim17ROCPRIM_400000_NS6detail17trampoline_kernelINS0_14default_configENS1_22reduce_config_selectorIN6thrust23THRUST_200600_302600_NS5tupleIblNS6_9null_typeES8_S8_S8_S8_S8_S8_S8_EEEEZNS1_11reduce_implILb1ES3_NS6_12zip_iteratorINS7_INS6_11hip_rocprim26transform_input_iterator_tIbNSD_35transform_pair_of_input_iterators_tIbNS6_6detail15normal_iteratorINS6_10device_ptrIKyEEEESL_NS6_8equal_toIyEEEENSG_9not_fun_tINSD_8identityEEEEENSD_19counting_iterator_tIlEES8_S8_S8_S8_S8_S8_S8_S8_EEEEPS9_S9_NSD_9__find_if7functorIS9_EEEE10hipError_tPvRmT1_T2_T3_mT4_P12ihipStream_tbEUlT_E1_NS1_11comp_targetILNS1_3genE2ELNS1_11target_archE906ELNS1_3gpuE6ELNS1_3repE0EEENS1_30default_config_static_selectorELNS0_4arch9wavefront6targetE0EEEvS14_.private_seg_size, 0
	.set _ZN7rocprim17ROCPRIM_400000_NS6detail17trampoline_kernelINS0_14default_configENS1_22reduce_config_selectorIN6thrust23THRUST_200600_302600_NS5tupleIblNS6_9null_typeES8_S8_S8_S8_S8_S8_S8_EEEEZNS1_11reduce_implILb1ES3_NS6_12zip_iteratorINS7_INS6_11hip_rocprim26transform_input_iterator_tIbNSD_35transform_pair_of_input_iterators_tIbNS6_6detail15normal_iteratorINS6_10device_ptrIKyEEEESL_NS6_8equal_toIyEEEENSG_9not_fun_tINSD_8identityEEEEENSD_19counting_iterator_tIlEES8_S8_S8_S8_S8_S8_S8_S8_EEEEPS9_S9_NSD_9__find_if7functorIS9_EEEE10hipError_tPvRmT1_T2_T3_mT4_P12ihipStream_tbEUlT_E1_NS1_11comp_targetILNS1_3genE2ELNS1_11target_archE906ELNS1_3gpuE6ELNS1_3repE0EEENS1_30default_config_static_selectorELNS0_4arch9wavefront6targetE0EEEvS14_.uses_vcc, 0
	.set _ZN7rocprim17ROCPRIM_400000_NS6detail17trampoline_kernelINS0_14default_configENS1_22reduce_config_selectorIN6thrust23THRUST_200600_302600_NS5tupleIblNS6_9null_typeES8_S8_S8_S8_S8_S8_S8_EEEEZNS1_11reduce_implILb1ES3_NS6_12zip_iteratorINS7_INS6_11hip_rocprim26transform_input_iterator_tIbNSD_35transform_pair_of_input_iterators_tIbNS6_6detail15normal_iteratorINS6_10device_ptrIKyEEEESL_NS6_8equal_toIyEEEENSG_9not_fun_tINSD_8identityEEEEENSD_19counting_iterator_tIlEES8_S8_S8_S8_S8_S8_S8_S8_EEEEPS9_S9_NSD_9__find_if7functorIS9_EEEE10hipError_tPvRmT1_T2_T3_mT4_P12ihipStream_tbEUlT_E1_NS1_11comp_targetILNS1_3genE2ELNS1_11target_archE906ELNS1_3gpuE6ELNS1_3repE0EEENS1_30default_config_static_selectorELNS0_4arch9wavefront6targetE0EEEvS14_.uses_flat_scratch, 0
	.set _ZN7rocprim17ROCPRIM_400000_NS6detail17trampoline_kernelINS0_14default_configENS1_22reduce_config_selectorIN6thrust23THRUST_200600_302600_NS5tupleIblNS6_9null_typeES8_S8_S8_S8_S8_S8_S8_EEEEZNS1_11reduce_implILb1ES3_NS6_12zip_iteratorINS7_INS6_11hip_rocprim26transform_input_iterator_tIbNSD_35transform_pair_of_input_iterators_tIbNS6_6detail15normal_iteratorINS6_10device_ptrIKyEEEESL_NS6_8equal_toIyEEEENSG_9not_fun_tINSD_8identityEEEEENSD_19counting_iterator_tIlEES8_S8_S8_S8_S8_S8_S8_S8_EEEEPS9_S9_NSD_9__find_if7functorIS9_EEEE10hipError_tPvRmT1_T2_T3_mT4_P12ihipStream_tbEUlT_E1_NS1_11comp_targetILNS1_3genE2ELNS1_11target_archE906ELNS1_3gpuE6ELNS1_3repE0EEENS1_30default_config_static_selectorELNS0_4arch9wavefront6targetE0EEEvS14_.has_dyn_sized_stack, 0
	.set _ZN7rocprim17ROCPRIM_400000_NS6detail17trampoline_kernelINS0_14default_configENS1_22reduce_config_selectorIN6thrust23THRUST_200600_302600_NS5tupleIblNS6_9null_typeES8_S8_S8_S8_S8_S8_S8_EEEEZNS1_11reduce_implILb1ES3_NS6_12zip_iteratorINS7_INS6_11hip_rocprim26transform_input_iterator_tIbNSD_35transform_pair_of_input_iterators_tIbNS6_6detail15normal_iteratorINS6_10device_ptrIKyEEEESL_NS6_8equal_toIyEEEENSG_9not_fun_tINSD_8identityEEEEENSD_19counting_iterator_tIlEES8_S8_S8_S8_S8_S8_S8_S8_EEEEPS9_S9_NSD_9__find_if7functorIS9_EEEE10hipError_tPvRmT1_T2_T3_mT4_P12ihipStream_tbEUlT_E1_NS1_11comp_targetILNS1_3genE2ELNS1_11target_archE906ELNS1_3gpuE6ELNS1_3repE0EEENS1_30default_config_static_selectorELNS0_4arch9wavefront6targetE0EEEvS14_.has_recursion, 0
	.set _ZN7rocprim17ROCPRIM_400000_NS6detail17trampoline_kernelINS0_14default_configENS1_22reduce_config_selectorIN6thrust23THRUST_200600_302600_NS5tupleIblNS6_9null_typeES8_S8_S8_S8_S8_S8_S8_EEEEZNS1_11reduce_implILb1ES3_NS6_12zip_iteratorINS7_INS6_11hip_rocprim26transform_input_iterator_tIbNSD_35transform_pair_of_input_iterators_tIbNS6_6detail15normal_iteratorINS6_10device_ptrIKyEEEESL_NS6_8equal_toIyEEEENSG_9not_fun_tINSD_8identityEEEEENSD_19counting_iterator_tIlEES8_S8_S8_S8_S8_S8_S8_S8_EEEEPS9_S9_NSD_9__find_if7functorIS9_EEEE10hipError_tPvRmT1_T2_T3_mT4_P12ihipStream_tbEUlT_E1_NS1_11comp_targetILNS1_3genE2ELNS1_11target_archE906ELNS1_3gpuE6ELNS1_3repE0EEENS1_30default_config_static_selectorELNS0_4arch9wavefront6targetE0EEEvS14_.has_indirect_call, 0
	.section	.AMDGPU.csdata,"",@progbits
; Kernel info:
; codeLenInByte = 0
; TotalNumSgprs: 0
; NumVgprs: 0
; ScratchSize: 0
; MemoryBound: 0
; FloatMode: 240
; IeeeMode: 1
; LDSByteSize: 0 bytes/workgroup (compile time only)
; SGPRBlocks: 0
; VGPRBlocks: 0
; NumSGPRsForWavesPerEU: 1
; NumVGPRsForWavesPerEU: 1
; Occupancy: 16
; WaveLimiterHint : 0
; COMPUTE_PGM_RSRC2:SCRATCH_EN: 0
; COMPUTE_PGM_RSRC2:USER_SGPR: 6
; COMPUTE_PGM_RSRC2:TRAP_HANDLER: 0
; COMPUTE_PGM_RSRC2:TGID_X_EN: 1
; COMPUTE_PGM_RSRC2:TGID_Y_EN: 0
; COMPUTE_PGM_RSRC2:TGID_Z_EN: 0
; COMPUTE_PGM_RSRC2:TIDIG_COMP_CNT: 0
	.section	.text._ZN7rocprim17ROCPRIM_400000_NS6detail17trampoline_kernelINS0_14default_configENS1_22reduce_config_selectorIN6thrust23THRUST_200600_302600_NS5tupleIblNS6_9null_typeES8_S8_S8_S8_S8_S8_S8_EEEEZNS1_11reduce_implILb1ES3_NS6_12zip_iteratorINS7_INS6_11hip_rocprim26transform_input_iterator_tIbNSD_35transform_pair_of_input_iterators_tIbNS6_6detail15normal_iteratorINS6_10device_ptrIKyEEEESL_NS6_8equal_toIyEEEENSG_9not_fun_tINSD_8identityEEEEENSD_19counting_iterator_tIlEES8_S8_S8_S8_S8_S8_S8_S8_EEEEPS9_S9_NSD_9__find_if7functorIS9_EEEE10hipError_tPvRmT1_T2_T3_mT4_P12ihipStream_tbEUlT_E1_NS1_11comp_targetILNS1_3genE10ELNS1_11target_archE1201ELNS1_3gpuE5ELNS1_3repE0EEENS1_30default_config_static_selectorELNS0_4arch9wavefront6targetE0EEEvS14_,"axG",@progbits,_ZN7rocprim17ROCPRIM_400000_NS6detail17trampoline_kernelINS0_14default_configENS1_22reduce_config_selectorIN6thrust23THRUST_200600_302600_NS5tupleIblNS6_9null_typeES8_S8_S8_S8_S8_S8_S8_EEEEZNS1_11reduce_implILb1ES3_NS6_12zip_iteratorINS7_INS6_11hip_rocprim26transform_input_iterator_tIbNSD_35transform_pair_of_input_iterators_tIbNS6_6detail15normal_iteratorINS6_10device_ptrIKyEEEESL_NS6_8equal_toIyEEEENSG_9not_fun_tINSD_8identityEEEEENSD_19counting_iterator_tIlEES8_S8_S8_S8_S8_S8_S8_S8_EEEEPS9_S9_NSD_9__find_if7functorIS9_EEEE10hipError_tPvRmT1_T2_T3_mT4_P12ihipStream_tbEUlT_E1_NS1_11comp_targetILNS1_3genE10ELNS1_11target_archE1201ELNS1_3gpuE5ELNS1_3repE0EEENS1_30default_config_static_selectorELNS0_4arch9wavefront6targetE0EEEvS14_,comdat
	.protected	_ZN7rocprim17ROCPRIM_400000_NS6detail17trampoline_kernelINS0_14default_configENS1_22reduce_config_selectorIN6thrust23THRUST_200600_302600_NS5tupleIblNS6_9null_typeES8_S8_S8_S8_S8_S8_S8_EEEEZNS1_11reduce_implILb1ES3_NS6_12zip_iteratorINS7_INS6_11hip_rocprim26transform_input_iterator_tIbNSD_35transform_pair_of_input_iterators_tIbNS6_6detail15normal_iteratorINS6_10device_ptrIKyEEEESL_NS6_8equal_toIyEEEENSG_9not_fun_tINSD_8identityEEEEENSD_19counting_iterator_tIlEES8_S8_S8_S8_S8_S8_S8_S8_EEEEPS9_S9_NSD_9__find_if7functorIS9_EEEE10hipError_tPvRmT1_T2_T3_mT4_P12ihipStream_tbEUlT_E1_NS1_11comp_targetILNS1_3genE10ELNS1_11target_archE1201ELNS1_3gpuE5ELNS1_3repE0EEENS1_30default_config_static_selectorELNS0_4arch9wavefront6targetE0EEEvS14_ ; -- Begin function _ZN7rocprim17ROCPRIM_400000_NS6detail17trampoline_kernelINS0_14default_configENS1_22reduce_config_selectorIN6thrust23THRUST_200600_302600_NS5tupleIblNS6_9null_typeES8_S8_S8_S8_S8_S8_S8_EEEEZNS1_11reduce_implILb1ES3_NS6_12zip_iteratorINS7_INS6_11hip_rocprim26transform_input_iterator_tIbNSD_35transform_pair_of_input_iterators_tIbNS6_6detail15normal_iteratorINS6_10device_ptrIKyEEEESL_NS6_8equal_toIyEEEENSG_9not_fun_tINSD_8identityEEEEENSD_19counting_iterator_tIlEES8_S8_S8_S8_S8_S8_S8_S8_EEEEPS9_S9_NSD_9__find_if7functorIS9_EEEE10hipError_tPvRmT1_T2_T3_mT4_P12ihipStream_tbEUlT_E1_NS1_11comp_targetILNS1_3genE10ELNS1_11target_archE1201ELNS1_3gpuE5ELNS1_3repE0EEENS1_30default_config_static_selectorELNS0_4arch9wavefront6targetE0EEEvS14_
	.globl	_ZN7rocprim17ROCPRIM_400000_NS6detail17trampoline_kernelINS0_14default_configENS1_22reduce_config_selectorIN6thrust23THRUST_200600_302600_NS5tupleIblNS6_9null_typeES8_S8_S8_S8_S8_S8_S8_EEEEZNS1_11reduce_implILb1ES3_NS6_12zip_iteratorINS7_INS6_11hip_rocprim26transform_input_iterator_tIbNSD_35transform_pair_of_input_iterators_tIbNS6_6detail15normal_iteratorINS6_10device_ptrIKyEEEESL_NS6_8equal_toIyEEEENSG_9not_fun_tINSD_8identityEEEEENSD_19counting_iterator_tIlEES8_S8_S8_S8_S8_S8_S8_S8_EEEEPS9_S9_NSD_9__find_if7functorIS9_EEEE10hipError_tPvRmT1_T2_T3_mT4_P12ihipStream_tbEUlT_E1_NS1_11comp_targetILNS1_3genE10ELNS1_11target_archE1201ELNS1_3gpuE5ELNS1_3repE0EEENS1_30default_config_static_selectorELNS0_4arch9wavefront6targetE0EEEvS14_
	.p2align	8
	.type	_ZN7rocprim17ROCPRIM_400000_NS6detail17trampoline_kernelINS0_14default_configENS1_22reduce_config_selectorIN6thrust23THRUST_200600_302600_NS5tupleIblNS6_9null_typeES8_S8_S8_S8_S8_S8_S8_EEEEZNS1_11reduce_implILb1ES3_NS6_12zip_iteratorINS7_INS6_11hip_rocprim26transform_input_iterator_tIbNSD_35transform_pair_of_input_iterators_tIbNS6_6detail15normal_iteratorINS6_10device_ptrIKyEEEESL_NS6_8equal_toIyEEEENSG_9not_fun_tINSD_8identityEEEEENSD_19counting_iterator_tIlEES8_S8_S8_S8_S8_S8_S8_S8_EEEEPS9_S9_NSD_9__find_if7functorIS9_EEEE10hipError_tPvRmT1_T2_T3_mT4_P12ihipStream_tbEUlT_E1_NS1_11comp_targetILNS1_3genE10ELNS1_11target_archE1201ELNS1_3gpuE5ELNS1_3repE0EEENS1_30default_config_static_selectorELNS0_4arch9wavefront6targetE0EEEvS14_,@function
_ZN7rocprim17ROCPRIM_400000_NS6detail17trampoline_kernelINS0_14default_configENS1_22reduce_config_selectorIN6thrust23THRUST_200600_302600_NS5tupleIblNS6_9null_typeES8_S8_S8_S8_S8_S8_S8_EEEEZNS1_11reduce_implILb1ES3_NS6_12zip_iteratorINS7_INS6_11hip_rocprim26transform_input_iterator_tIbNSD_35transform_pair_of_input_iterators_tIbNS6_6detail15normal_iteratorINS6_10device_ptrIKyEEEESL_NS6_8equal_toIyEEEENSG_9not_fun_tINSD_8identityEEEEENSD_19counting_iterator_tIlEES8_S8_S8_S8_S8_S8_S8_S8_EEEEPS9_S9_NSD_9__find_if7functorIS9_EEEE10hipError_tPvRmT1_T2_T3_mT4_P12ihipStream_tbEUlT_E1_NS1_11comp_targetILNS1_3genE10ELNS1_11target_archE1201ELNS1_3gpuE5ELNS1_3repE0EEENS1_30default_config_static_selectorELNS0_4arch9wavefront6targetE0EEEvS14_: ; @_ZN7rocprim17ROCPRIM_400000_NS6detail17trampoline_kernelINS0_14default_configENS1_22reduce_config_selectorIN6thrust23THRUST_200600_302600_NS5tupleIblNS6_9null_typeES8_S8_S8_S8_S8_S8_S8_EEEEZNS1_11reduce_implILb1ES3_NS6_12zip_iteratorINS7_INS6_11hip_rocprim26transform_input_iterator_tIbNSD_35transform_pair_of_input_iterators_tIbNS6_6detail15normal_iteratorINS6_10device_ptrIKyEEEESL_NS6_8equal_toIyEEEENSG_9not_fun_tINSD_8identityEEEEENSD_19counting_iterator_tIlEES8_S8_S8_S8_S8_S8_S8_S8_EEEEPS9_S9_NSD_9__find_if7functorIS9_EEEE10hipError_tPvRmT1_T2_T3_mT4_P12ihipStream_tbEUlT_E1_NS1_11comp_targetILNS1_3genE10ELNS1_11target_archE1201ELNS1_3gpuE5ELNS1_3repE0EEENS1_30default_config_static_selectorELNS0_4arch9wavefront6targetE0EEEvS14_
; %bb.0:
	.section	.rodata,"a",@progbits
	.p2align	6, 0x0
	.amdhsa_kernel _ZN7rocprim17ROCPRIM_400000_NS6detail17trampoline_kernelINS0_14default_configENS1_22reduce_config_selectorIN6thrust23THRUST_200600_302600_NS5tupleIblNS6_9null_typeES8_S8_S8_S8_S8_S8_S8_EEEEZNS1_11reduce_implILb1ES3_NS6_12zip_iteratorINS7_INS6_11hip_rocprim26transform_input_iterator_tIbNSD_35transform_pair_of_input_iterators_tIbNS6_6detail15normal_iteratorINS6_10device_ptrIKyEEEESL_NS6_8equal_toIyEEEENSG_9not_fun_tINSD_8identityEEEEENSD_19counting_iterator_tIlEES8_S8_S8_S8_S8_S8_S8_S8_EEEEPS9_S9_NSD_9__find_if7functorIS9_EEEE10hipError_tPvRmT1_T2_T3_mT4_P12ihipStream_tbEUlT_E1_NS1_11comp_targetILNS1_3genE10ELNS1_11target_archE1201ELNS1_3gpuE5ELNS1_3repE0EEENS1_30default_config_static_selectorELNS0_4arch9wavefront6targetE0EEEvS14_
		.amdhsa_group_segment_fixed_size 0
		.amdhsa_private_segment_fixed_size 0
		.amdhsa_kernarg_size 88
		.amdhsa_user_sgpr_count 6
		.amdhsa_user_sgpr_private_segment_buffer 1
		.amdhsa_user_sgpr_dispatch_ptr 0
		.amdhsa_user_sgpr_queue_ptr 0
		.amdhsa_user_sgpr_kernarg_segment_ptr 1
		.amdhsa_user_sgpr_dispatch_id 0
		.amdhsa_user_sgpr_flat_scratch_init 0
		.amdhsa_user_sgpr_private_segment_size 0
		.amdhsa_wavefront_size32 1
		.amdhsa_uses_dynamic_stack 0
		.amdhsa_system_sgpr_private_segment_wavefront_offset 0
		.amdhsa_system_sgpr_workgroup_id_x 1
		.amdhsa_system_sgpr_workgroup_id_y 0
		.amdhsa_system_sgpr_workgroup_id_z 0
		.amdhsa_system_sgpr_workgroup_info 0
		.amdhsa_system_vgpr_workitem_id 0
		.amdhsa_next_free_vgpr 1
		.amdhsa_next_free_sgpr 1
		.amdhsa_reserve_vcc 0
		.amdhsa_reserve_flat_scratch 0
		.amdhsa_float_round_mode_32 0
		.amdhsa_float_round_mode_16_64 0
		.amdhsa_float_denorm_mode_32 3
		.amdhsa_float_denorm_mode_16_64 3
		.amdhsa_dx10_clamp 1
		.amdhsa_ieee_mode 1
		.amdhsa_fp16_overflow 0
		.amdhsa_workgroup_processor_mode 1
		.amdhsa_memory_ordered 1
		.amdhsa_forward_progress 1
		.amdhsa_shared_vgpr_count 0
		.amdhsa_exception_fp_ieee_invalid_op 0
		.amdhsa_exception_fp_denorm_src 0
		.amdhsa_exception_fp_ieee_div_zero 0
		.amdhsa_exception_fp_ieee_overflow 0
		.amdhsa_exception_fp_ieee_underflow 0
		.amdhsa_exception_fp_ieee_inexact 0
		.amdhsa_exception_int_div_zero 0
	.end_amdhsa_kernel
	.section	.text._ZN7rocprim17ROCPRIM_400000_NS6detail17trampoline_kernelINS0_14default_configENS1_22reduce_config_selectorIN6thrust23THRUST_200600_302600_NS5tupleIblNS6_9null_typeES8_S8_S8_S8_S8_S8_S8_EEEEZNS1_11reduce_implILb1ES3_NS6_12zip_iteratorINS7_INS6_11hip_rocprim26transform_input_iterator_tIbNSD_35transform_pair_of_input_iterators_tIbNS6_6detail15normal_iteratorINS6_10device_ptrIKyEEEESL_NS6_8equal_toIyEEEENSG_9not_fun_tINSD_8identityEEEEENSD_19counting_iterator_tIlEES8_S8_S8_S8_S8_S8_S8_S8_EEEEPS9_S9_NSD_9__find_if7functorIS9_EEEE10hipError_tPvRmT1_T2_T3_mT4_P12ihipStream_tbEUlT_E1_NS1_11comp_targetILNS1_3genE10ELNS1_11target_archE1201ELNS1_3gpuE5ELNS1_3repE0EEENS1_30default_config_static_selectorELNS0_4arch9wavefront6targetE0EEEvS14_,"axG",@progbits,_ZN7rocprim17ROCPRIM_400000_NS6detail17trampoline_kernelINS0_14default_configENS1_22reduce_config_selectorIN6thrust23THRUST_200600_302600_NS5tupleIblNS6_9null_typeES8_S8_S8_S8_S8_S8_S8_EEEEZNS1_11reduce_implILb1ES3_NS6_12zip_iteratorINS7_INS6_11hip_rocprim26transform_input_iterator_tIbNSD_35transform_pair_of_input_iterators_tIbNS6_6detail15normal_iteratorINS6_10device_ptrIKyEEEESL_NS6_8equal_toIyEEEENSG_9not_fun_tINSD_8identityEEEEENSD_19counting_iterator_tIlEES8_S8_S8_S8_S8_S8_S8_S8_EEEEPS9_S9_NSD_9__find_if7functorIS9_EEEE10hipError_tPvRmT1_T2_T3_mT4_P12ihipStream_tbEUlT_E1_NS1_11comp_targetILNS1_3genE10ELNS1_11target_archE1201ELNS1_3gpuE5ELNS1_3repE0EEENS1_30default_config_static_selectorELNS0_4arch9wavefront6targetE0EEEvS14_,comdat
.Lfunc_end128:
	.size	_ZN7rocprim17ROCPRIM_400000_NS6detail17trampoline_kernelINS0_14default_configENS1_22reduce_config_selectorIN6thrust23THRUST_200600_302600_NS5tupleIblNS6_9null_typeES8_S8_S8_S8_S8_S8_S8_EEEEZNS1_11reduce_implILb1ES3_NS6_12zip_iteratorINS7_INS6_11hip_rocprim26transform_input_iterator_tIbNSD_35transform_pair_of_input_iterators_tIbNS6_6detail15normal_iteratorINS6_10device_ptrIKyEEEESL_NS6_8equal_toIyEEEENSG_9not_fun_tINSD_8identityEEEEENSD_19counting_iterator_tIlEES8_S8_S8_S8_S8_S8_S8_S8_EEEEPS9_S9_NSD_9__find_if7functorIS9_EEEE10hipError_tPvRmT1_T2_T3_mT4_P12ihipStream_tbEUlT_E1_NS1_11comp_targetILNS1_3genE10ELNS1_11target_archE1201ELNS1_3gpuE5ELNS1_3repE0EEENS1_30default_config_static_selectorELNS0_4arch9wavefront6targetE0EEEvS14_, .Lfunc_end128-_ZN7rocprim17ROCPRIM_400000_NS6detail17trampoline_kernelINS0_14default_configENS1_22reduce_config_selectorIN6thrust23THRUST_200600_302600_NS5tupleIblNS6_9null_typeES8_S8_S8_S8_S8_S8_S8_EEEEZNS1_11reduce_implILb1ES3_NS6_12zip_iteratorINS7_INS6_11hip_rocprim26transform_input_iterator_tIbNSD_35transform_pair_of_input_iterators_tIbNS6_6detail15normal_iteratorINS6_10device_ptrIKyEEEESL_NS6_8equal_toIyEEEENSG_9not_fun_tINSD_8identityEEEEENSD_19counting_iterator_tIlEES8_S8_S8_S8_S8_S8_S8_S8_EEEEPS9_S9_NSD_9__find_if7functorIS9_EEEE10hipError_tPvRmT1_T2_T3_mT4_P12ihipStream_tbEUlT_E1_NS1_11comp_targetILNS1_3genE10ELNS1_11target_archE1201ELNS1_3gpuE5ELNS1_3repE0EEENS1_30default_config_static_selectorELNS0_4arch9wavefront6targetE0EEEvS14_
                                        ; -- End function
	.set _ZN7rocprim17ROCPRIM_400000_NS6detail17trampoline_kernelINS0_14default_configENS1_22reduce_config_selectorIN6thrust23THRUST_200600_302600_NS5tupleIblNS6_9null_typeES8_S8_S8_S8_S8_S8_S8_EEEEZNS1_11reduce_implILb1ES3_NS6_12zip_iteratorINS7_INS6_11hip_rocprim26transform_input_iterator_tIbNSD_35transform_pair_of_input_iterators_tIbNS6_6detail15normal_iteratorINS6_10device_ptrIKyEEEESL_NS6_8equal_toIyEEEENSG_9not_fun_tINSD_8identityEEEEENSD_19counting_iterator_tIlEES8_S8_S8_S8_S8_S8_S8_S8_EEEEPS9_S9_NSD_9__find_if7functorIS9_EEEE10hipError_tPvRmT1_T2_T3_mT4_P12ihipStream_tbEUlT_E1_NS1_11comp_targetILNS1_3genE10ELNS1_11target_archE1201ELNS1_3gpuE5ELNS1_3repE0EEENS1_30default_config_static_selectorELNS0_4arch9wavefront6targetE0EEEvS14_.num_vgpr, 0
	.set _ZN7rocprim17ROCPRIM_400000_NS6detail17trampoline_kernelINS0_14default_configENS1_22reduce_config_selectorIN6thrust23THRUST_200600_302600_NS5tupleIblNS6_9null_typeES8_S8_S8_S8_S8_S8_S8_EEEEZNS1_11reduce_implILb1ES3_NS6_12zip_iteratorINS7_INS6_11hip_rocprim26transform_input_iterator_tIbNSD_35transform_pair_of_input_iterators_tIbNS6_6detail15normal_iteratorINS6_10device_ptrIKyEEEESL_NS6_8equal_toIyEEEENSG_9not_fun_tINSD_8identityEEEEENSD_19counting_iterator_tIlEES8_S8_S8_S8_S8_S8_S8_S8_EEEEPS9_S9_NSD_9__find_if7functorIS9_EEEE10hipError_tPvRmT1_T2_T3_mT4_P12ihipStream_tbEUlT_E1_NS1_11comp_targetILNS1_3genE10ELNS1_11target_archE1201ELNS1_3gpuE5ELNS1_3repE0EEENS1_30default_config_static_selectorELNS0_4arch9wavefront6targetE0EEEvS14_.num_agpr, 0
	.set _ZN7rocprim17ROCPRIM_400000_NS6detail17trampoline_kernelINS0_14default_configENS1_22reduce_config_selectorIN6thrust23THRUST_200600_302600_NS5tupleIblNS6_9null_typeES8_S8_S8_S8_S8_S8_S8_EEEEZNS1_11reduce_implILb1ES3_NS6_12zip_iteratorINS7_INS6_11hip_rocprim26transform_input_iterator_tIbNSD_35transform_pair_of_input_iterators_tIbNS6_6detail15normal_iteratorINS6_10device_ptrIKyEEEESL_NS6_8equal_toIyEEEENSG_9not_fun_tINSD_8identityEEEEENSD_19counting_iterator_tIlEES8_S8_S8_S8_S8_S8_S8_S8_EEEEPS9_S9_NSD_9__find_if7functorIS9_EEEE10hipError_tPvRmT1_T2_T3_mT4_P12ihipStream_tbEUlT_E1_NS1_11comp_targetILNS1_3genE10ELNS1_11target_archE1201ELNS1_3gpuE5ELNS1_3repE0EEENS1_30default_config_static_selectorELNS0_4arch9wavefront6targetE0EEEvS14_.numbered_sgpr, 0
	.set _ZN7rocprim17ROCPRIM_400000_NS6detail17trampoline_kernelINS0_14default_configENS1_22reduce_config_selectorIN6thrust23THRUST_200600_302600_NS5tupleIblNS6_9null_typeES8_S8_S8_S8_S8_S8_S8_EEEEZNS1_11reduce_implILb1ES3_NS6_12zip_iteratorINS7_INS6_11hip_rocprim26transform_input_iterator_tIbNSD_35transform_pair_of_input_iterators_tIbNS6_6detail15normal_iteratorINS6_10device_ptrIKyEEEESL_NS6_8equal_toIyEEEENSG_9not_fun_tINSD_8identityEEEEENSD_19counting_iterator_tIlEES8_S8_S8_S8_S8_S8_S8_S8_EEEEPS9_S9_NSD_9__find_if7functorIS9_EEEE10hipError_tPvRmT1_T2_T3_mT4_P12ihipStream_tbEUlT_E1_NS1_11comp_targetILNS1_3genE10ELNS1_11target_archE1201ELNS1_3gpuE5ELNS1_3repE0EEENS1_30default_config_static_selectorELNS0_4arch9wavefront6targetE0EEEvS14_.num_named_barrier, 0
	.set _ZN7rocprim17ROCPRIM_400000_NS6detail17trampoline_kernelINS0_14default_configENS1_22reduce_config_selectorIN6thrust23THRUST_200600_302600_NS5tupleIblNS6_9null_typeES8_S8_S8_S8_S8_S8_S8_EEEEZNS1_11reduce_implILb1ES3_NS6_12zip_iteratorINS7_INS6_11hip_rocprim26transform_input_iterator_tIbNSD_35transform_pair_of_input_iterators_tIbNS6_6detail15normal_iteratorINS6_10device_ptrIKyEEEESL_NS6_8equal_toIyEEEENSG_9not_fun_tINSD_8identityEEEEENSD_19counting_iterator_tIlEES8_S8_S8_S8_S8_S8_S8_S8_EEEEPS9_S9_NSD_9__find_if7functorIS9_EEEE10hipError_tPvRmT1_T2_T3_mT4_P12ihipStream_tbEUlT_E1_NS1_11comp_targetILNS1_3genE10ELNS1_11target_archE1201ELNS1_3gpuE5ELNS1_3repE0EEENS1_30default_config_static_selectorELNS0_4arch9wavefront6targetE0EEEvS14_.private_seg_size, 0
	.set _ZN7rocprim17ROCPRIM_400000_NS6detail17trampoline_kernelINS0_14default_configENS1_22reduce_config_selectorIN6thrust23THRUST_200600_302600_NS5tupleIblNS6_9null_typeES8_S8_S8_S8_S8_S8_S8_EEEEZNS1_11reduce_implILb1ES3_NS6_12zip_iteratorINS7_INS6_11hip_rocprim26transform_input_iterator_tIbNSD_35transform_pair_of_input_iterators_tIbNS6_6detail15normal_iteratorINS6_10device_ptrIKyEEEESL_NS6_8equal_toIyEEEENSG_9not_fun_tINSD_8identityEEEEENSD_19counting_iterator_tIlEES8_S8_S8_S8_S8_S8_S8_S8_EEEEPS9_S9_NSD_9__find_if7functorIS9_EEEE10hipError_tPvRmT1_T2_T3_mT4_P12ihipStream_tbEUlT_E1_NS1_11comp_targetILNS1_3genE10ELNS1_11target_archE1201ELNS1_3gpuE5ELNS1_3repE0EEENS1_30default_config_static_selectorELNS0_4arch9wavefront6targetE0EEEvS14_.uses_vcc, 0
	.set _ZN7rocprim17ROCPRIM_400000_NS6detail17trampoline_kernelINS0_14default_configENS1_22reduce_config_selectorIN6thrust23THRUST_200600_302600_NS5tupleIblNS6_9null_typeES8_S8_S8_S8_S8_S8_S8_EEEEZNS1_11reduce_implILb1ES3_NS6_12zip_iteratorINS7_INS6_11hip_rocprim26transform_input_iterator_tIbNSD_35transform_pair_of_input_iterators_tIbNS6_6detail15normal_iteratorINS6_10device_ptrIKyEEEESL_NS6_8equal_toIyEEEENSG_9not_fun_tINSD_8identityEEEEENSD_19counting_iterator_tIlEES8_S8_S8_S8_S8_S8_S8_S8_EEEEPS9_S9_NSD_9__find_if7functorIS9_EEEE10hipError_tPvRmT1_T2_T3_mT4_P12ihipStream_tbEUlT_E1_NS1_11comp_targetILNS1_3genE10ELNS1_11target_archE1201ELNS1_3gpuE5ELNS1_3repE0EEENS1_30default_config_static_selectorELNS0_4arch9wavefront6targetE0EEEvS14_.uses_flat_scratch, 0
	.set _ZN7rocprim17ROCPRIM_400000_NS6detail17trampoline_kernelINS0_14default_configENS1_22reduce_config_selectorIN6thrust23THRUST_200600_302600_NS5tupleIblNS6_9null_typeES8_S8_S8_S8_S8_S8_S8_EEEEZNS1_11reduce_implILb1ES3_NS6_12zip_iteratorINS7_INS6_11hip_rocprim26transform_input_iterator_tIbNSD_35transform_pair_of_input_iterators_tIbNS6_6detail15normal_iteratorINS6_10device_ptrIKyEEEESL_NS6_8equal_toIyEEEENSG_9not_fun_tINSD_8identityEEEEENSD_19counting_iterator_tIlEES8_S8_S8_S8_S8_S8_S8_S8_EEEEPS9_S9_NSD_9__find_if7functorIS9_EEEE10hipError_tPvRmT1_T2_T3_mT4_P12ihipStream_tbEUlT_E1_NS1_11comp_targetILNS1_3genE10ELNS1_11target_archE1201ELNS1_3gpuE5ELNS1_3repE0EEENS1_30default_config_static_selectorELNS0_4arch9wavefront6targetE0EEEvS14_.has_dyn_sized_stack, 0
	.set _ZN7rocprim17ROCPRIM_400000_NS6detail17trampoline_kernelINS0_14default_configENS1_22reduce_config_selectorIN6thrust23THRUST_200600_302600_NS5tupleIblNS6_9null_typeES8_S8_S8_S8_S8_S8_S8_EEEEZNS1_11reduce_implILb1ES3_NS6_12zip_iteratorINS7_INS6_11hip_rocprim26transform_input_iterator_tIbNSD_35transform_pair_of_input_iterators_tIbNS6_6detail15normal_iteratorINS6_10device_ptrIKyEEEESL_NS6_8equal_toIyEEEENSG_9not_fun_tINSD_8identityEEEEENSD_19counting_iterator_tIlEES8_S8_S8_S8_S8_S8_S8_S8_EEEEPS9_S9_NSD_9__find_if7functorIS9_EEEE10hipError_tPvRmT1_T2_T3_mT4_P12ihipStream_tbEUlT_E1_NS1_11comp_targetILNS1_3genE10ELNS1_11target_archE1201ELNS1_3gpuE5ELNS1_3repE0EEENS1_30default_config_static_selectorELNS0_4arch9wavefront6targetE0EEEvS14_.has_recursion, 0
	.set _ZN7rocprim17ROCPRIM_400000_NS6detail17trampoline_kernelINS0_14default_configENS1_22reduce_config_selectorIN6thrust23THRUST_200600_302600_NS5tupleIblNS6_9null_typeES8_S8_S8_S8_S8_S8_S8_EEEEZNS1_11reduce_implILb1ES3_NS6_12zip_iteratorINS7_INS6_11hip_rocprim26transform_input_iterator_tIbNSD_35transform_pair_of_input_iterators_tIbNS6_6detail15normal_iteratorINS6_10device_ptrIKyEEEESL_NS6_8equal_toIyEEEENSG_9not_fun_tINSD_8identityEEEEENSD_19counting_iterator_tIlEES8_S8_S8_S8_S8_S8_S8_S8_EEEEPS9_S9_NSD_9__find_if7functorIS9_EEEE10hipError_tPvRmT1_T2_T3_mT4_P12ihipStream_tbEUlT_E1_NS1_11comp_targetILNS1_3genE10ELNS1_11target_archE1201ELNS1_3gpuE5ELNS1_3repE0EEENS1_30default_config_static_selectorELNS0_4arch9wavefront6targetE0EEEvS14_.has_indirect_call, 0
	.section	.AMDGPU.csdata,"",@progbits
; Kernel info:
; codeLenInByte = 0
; TotalNumSgprs: 0
; NumVgprs: 0
; ScratchSize: 0
; MemoryBound: 0
; FloatMode: 240
; IeeeMode: 1
; LDSByteSize: 0 bytes/workgroup (compile time only)
; SGPRBlocks: 0
; VGPRBlocks: 0
; NumSGPRsForWavesPerEU: 1
; NumVGPRsForWavesPerEU: 1
; Occupancy: 16
; WaveLimiterHint : 0
; COMPUTE_PGM_RSRC2:SCRATCH_EN: 0
; COMPUTE_PGM_RSRC2:USER_SGPR: 6
; COMPUTE_PGM_RSRC2:TRAP_HANDLER: 0
; COMPUTE_PGM_RSRC2:TGID_X_EN: 1
; COMPUTE_PGM_RSRC2:TGID_Y_EN: 0
; COMPUTE_PGM_RSRC2:TGID_Z_EN: 0
; COMPUTE_PGM_RSRC2:TIDIG_COMP_CNT: 0
	.section	.text._ZN7rocprim17ROCPRIM_400000_NS6detail17trampoline_kernelINS0_14default_configENS1_22reduce_config_selectorIN6thrust23THRUST_200600_302600_NS5tupleIblNS6_9null_typeES8_S8_S8_S8_S8_S8_S8_EEEEZNS1_11reduce_implILb1ES3_NS6_12zip_iteratorINS7_INS6_11hip_rocprim26transform_input_iterator_tIbNSD_35transform_pair_of_input_iterators_tIbNS6_6detail15normal_iteratorINS6_10device_ptrIKyEEEESL_NS6_8equal_toIyEEEENSG_9not_fun_tINSD_8identityEEEEENSD_19counting_iterator_tIlEES8_S8_S8_S8_S8_S8_S8_S8_EEEEPS9_S9_NSD_9__find_if7functorIS9_EEEE10hipError_tPvRmT1_T2_T3_mT4_P12ihipStream_tbEUlT_E1_NS1_11comp_targetILNS1_3genE10ELNS1_11target_archE1200ELNS1_3gpuE4ELNS1_3repE0EEENS1_30default_config_static_selectorELNS0_4arch9wavefront6targetE0EEEvS14_,"axG",@progbits,_ZN7rocprim17ROCPRIM_400000_NS6detail17trampoline_kernelINS0_14default_configENS1_22reduce_config_selectorIN6thrust23THRUST_200600_302600_NS5tupleIblNS6_9null_typeES8_S8_S8_S8_S8_S8_S8_EEEEZNS1_11reduce_implILb1ES3_NS6_12zip_iteratorINS7_INS6_11hip_rocprim26transform_input_iterator_tIbNSD_35transform_pair_of_input_iterators_tIbNS6_6detail15normal_iteratorINS6_10device_ptrIKyEEEESL_NS6_8equal_toIyEEEENSG_9not_fun_tINSD_8identityEEEEENSD_19counting_iterator_tIlEES8_S8_S8_S8_S8_S8_S8_S8_EEEEPS9_S9_NSD_9__find_if7functorIS9_EEEE10hipError_tPvRmT1_T2_T3_mT4_P12ihipStream_tbEUlT_E1_NS1_11comp_targetILNS1_3genE10ELNS1_11target_archE1200ELNS1_3gpuE4ELNS1_3repE0EEENS1_30default_config_static_selectorELNS0_4arch9wavefront6targetE0EEEvS14_,comdat
	.protected	_ZN7rocprim17ROCPRIM_400000_NS6detail17trampoline_kernelINS0_14default_configENS1_22reduce_config_selectorIN6thrust23THRUST_200600_302600_NS5tupleIblNS6_9null_typeES8_S8_S8_S8_S8_S8_S8_EEEEZNS1_11reduce_implILb1ES3_NS6_12zip_iteratorINS7_INS6_11hip_rocprim26transform_input_iterator_tIbNSD_35transform_pair_of_input_iterators_tIbNS6_6detail15normal_iteratorINS6_10device_ptrIKyEEEESL_NS6_8equal_toIyEEEENSG_9not_fun_tINSD_8identityEEEEENSD_19counting_iterator_tIlEES8_S8_S8_S8_S8_S8_S8_S8_EEEEPS9_S9_NSD_9__find_if7functorIS9_EEEE10hipError_tPvRmT1_T2_T3_mT4_P12ihipStream_tbEUlT_E1_NS1_11comp_targetILNS1_3genE10ELNS1_11target_archE1200ELNS1_3gpuE4ELNS1_3repE0EEENS1_30default_config_static_selectorELNS0_4arch9wavefront6targetE0EEEvS14_ ; -- Begin function _ZN7rocprim17ROCPRIM_400000_NS6detail17trampoline_kernelINS0_14default_configENS1_22reduce_config_selectorIN6thrust23THRUST_200600_302600_NS5tupleIblNS6_9null_typeES8_S8_S8_S8_S8_S8_S8_EEEEZNS1_11reduce_implILb1ES3_NS6_12zip_iteratorINS7_INS6_11hip_rocprim26transform_input_iterator_tIbNSD_35transform_pair_of_input_iterators_tIbNS6_6detail15normal_iteratorINS6_10device_ptrIKyEEEESL_NS6_8equal_toIyEEEENSG_9not_fun_tINSD_8identityEEEEENSD_19counting_iterator_tIlEES8_S8_S8_S8_S8_S8_S8_S8_EEEEPS9_S9_NSD_9__find_if7functorIS9_EEEE10hipError_tPvRmT1_T2_T3_mT4_P12ihipStream_tbEUlT_E1_NS1_11comp_targetILNS1_3genE10ELNS1_11target_archE1200ELNS1_3gpuE4ELNS1_3repE0EEENS1_30default_config_static_selectorELNS0_4arch9wavefront6targetE0EEEvS14_
	.globl	_ZN7rocprim17ROCPRIM_400000_NS6detail17trampoline_kernelINS0_14default_configENS1_22reduce_config_selectorIN6thrust23THRUST_200600_302600_NS5tupleIblNS6_9null_typeES8_S8_S8_S8_S8_S8_S8_EEEEZNS1_11reduce_implILb1ES3_NS6_12zip_iteratorINS7_INS6_11hip_rocprim26transform_input_iterator_tIbNSD_35transform_pair_of_input_iterators_tIbNS6_6detail15normal_iteratorINS6_10device_ptrIKyEEEESL_NS6_8equal_toIyEEEENSG_9not_fun_tINSD_8identityEEEEENSD_19counting_iterator_tIlEES8_S8_S8_S8_S8_S8_S8_S8_EEEEPS9_S9_NSD_9__find_if7functorIS9_EEEE10hipError_tPvRmT1_T2_T3_mT4_P12ihipStream_tbEUlT_E1_NS1_11comp_targetILNS1_3genE10ELNS1_11target_archE1200ELNS1_3gpuE4ELNS1_3repE0EEENS1_30default_config_static_selectorELNS0_4arch9wavefront6targetE0EEEvS14_
	.p2align	8
	.type	_ZN7rocprim17ROCPRIM_400000_NS6detail17trampoline_kernelINS0_14default_configENS1_22reduce_config_selectorIN6thrust23THRUST_200600_302600_NS5tupleIblNS6_9null_typeES8_S8_S8_S8_S8_S8_S8_EEEEZNS1_11reduce_implILb1ES3_NS6_12zip_iteratorINS7_INS6_11hip_rocprim26transform_input_iterator_tIbNSD_35transform_pair_of_input_iterators_tIbNS6_6detail15normal_iteratorINS6_10device_ptrIKyEEEESL_NS6_8equal_toIyEEEENSG_9not_fun_tINSD_8identityEEEEENSD_19counting_iterator_tIlEES8_S8_S8_S8_S8_S8_S8_S8_EEEEPS9_S9_NSD_9__find_if7functorIS9_EEEE10hipError_tPvRmT1_T2_T3_mT4_P12ihipStream_tbEUlT_E1_NS1_11comp_targetILNS1_3genE10ELNS1_11target_archE1200ELNS1_3gpuE4ELNS1_3repE0EEENS1_30default_config_static_selectorELNS0_4arch9wavefront6targetE0EEEvS14_,@function
_ZN7rocprim17ROCPRIM_400000_NS6detail17trampoline_kernelINS0_14default_configENS1_22reduce_config_selectorIN6thrust23THRUST_200600_302600_NS5tupleIblNS6_9null_typeES8_S8_S8_S8_S8_S8_S8_EEEEZNS1_11reduce_implILb1ES3_NS6_12zip_iteratorINS7_INS6_11hip_rocprim26transform_input_iterator_tIbNSD_35transform_pair_of_input_iterators_tIbNS6_6detail15normal_iteratorINS6_10device_ptrIKyEEEESL_NS6_8equal_toIyEEEENSG_9not_fun_tINSD_8identityEEEEENSD_19counting_iterator_tIlEES8_S8_S8_S8_S8_S8_S8_S8_EEEEPS9_S9_NSD_9__find_if7functorIS9_EEEE10hipError_tPvRmT1_T2_T3_mT4_P12ihipStream_tbEUlT_E1_NS1_11comp_targetILNS1_3genE10ELNS1_11target_archE1200ELNS1_3gpuE4ELNS1_3repE0EEENS1_30default_config_static_selectorELNS0_4arch9wavefront6targetE0EEEvS14_: ; @_ZN7rocprim17ROCPRIM_400000_NS6detail17trampoline_kernelINS0_14default_configENS1_22reduce_config_selectorIN6thrust23THRUST_200600_302600_NS5tupleIblNS6_9null_typeES8_S8_S8_S8_S8_S8_S8_EEEEZNS1_11reduce_implILb1ES3_NS6_12zip_iteratorINS7_INS6_11hip_rocprim26transform_input_iterator_tIbNSD_35transform_pair_of_input_iterators_tIbNS6_6detail15normal_iteratorINS6_10device_ptrIKyEEEESL_NS6_8equal_toIyEEEENSG_9not_fun_tINSD_8identityEEEEENSD_19counting_iterator_tIlEES8_S8_S8_S8_S8_S8_S8_S8_EEEEPS9_S9_NSD_9__find_if7functorIS9_EEEE10hipError_tPvRmT1_T2_T3_mT4_P12ihipStream_tbEUlT_E1_NS1_11comp_targetILNS1_3genE10ELNS1_11target_archE1200ELNS1_3gpuE4ELNS1_3repE0EEENS1_30default_config_static_selectorELNS0_4arch9wavefront6targetE0EEEvS14_
; %bb.0:
	.section	.rodata,"a",@progbits
	.p2align	6, 0x0
	.amdhsa_kernel _ZN7rocprim17ROCPRIM_400000_NS6detail17trampoline_kernelINS0_14default_configENS1_22reduce_config_selectorIN6thrust23THRUST_200600_302600_NS5tupleIblNS6_9null_typeES8_S8_S8_S8_S8_S8_S8_EEEEZNS1_11reduce_implILb1ES3_NS6_12zip_iteratorINS7_INS6_11hip_rocprim26transform_input_iterator_tIbNSD_35transform_pair_of_input_iterators_tIbNS6_6detail15normal_iteratorINS6_10device_ptrIKyEEEESL_NS6_8equal_toIyEEEENSG_9not_fun_tINSD_8identityEEEEENSD_19counting_iterator_tIlEES8_S8_S8_S8_S8_S8_S8_S8_EEEEPS9_S9_NSD_9__find_if7functorIS9_EEEE10hipError_tPvRmT1_T2_T3_mT4_P12ihipStream_tbEUlT_E1_NS1_11comp_targetILNS1_3genE10ELNS1_11target_archE1200ELNS1_3gpuE4ELNS1_3repE0EEENS1_30default_config_static_selectorELNS0_4arch9wavefront6targetE0EEEvS14_
		.amdhsa_group_segment_fixed_size 0
		.amdhsa_private_segment_fixed_size 0
		.amdhsa_kernarg_size 88
		.amdhsa_user_sgpr_count 6
		.amdhsa_user_sgpr_private_segment_buffer 1
		.amdhsa_user_sgpr_dispatch_ptr 0
		.amdhsa_user_sgpr_queue_ptr 0
		.amdhsa_user_sgpr_kernarg_segment_ptr 1
		.amdhsa_user_sgpr_dispatch_id 0
		.amdhsa_user_sgpr_flat_scratch_init 0
		.amdhsa_user_sgpr_private_segment_size 0
		.amdhsa_wavefront_size32 1
		.amdhsa_uses_dynamic_stack 0
		.amdhsa_system_sgpr_private_segment_wavefront_offset 0
		.amdhsa_system_sgpr_workgroup_id_x 1
		.amdhsa_system_sgpr_workgroup_id_y 0
		.amdhsa_system_sgpr_workgroup_id_z 0
		.amdhsa_system_sgpr_workgroup_info 0
		.amdhsa_system_vgpr_workitem_id 0
		.amdhsa_next_free_vgpr 1
		.amdhsa_next_free_sgpr 1
		.amdhsa_reserve_vcc 0
		.amdhsa_reserve_flat_scratch 0
		.amdhsa_float_round_mode_32 0
		.amdhsa_float_round_mode_16_64 0
		.amdhsa_float_denorm_mode_32 3
		.amdhsa_float_denorm_mode_16_64 3
		.amdhsa_dx10_clamp 1
		.amdhsa_ieee_mode 1
		.amdhsa_fp16_overflow 0
		.amdhsa_workgroup_processor_mode 1
		.amdhsa_memory_ordered 1
		.amdhsa_forward_progress 1
		.amdhsa_shared_vgpr_count 0
		.amdhsa_exception_fp_ieee_invalid_op 0
		.amdhsa_exception_fp_denorm_src 0
		.amdhsa_exception_fp_ieee_div_zero 0
		.amdhsa_exception_fp_ieee_overflow 0
		.amdhsa_exception_fp_ieee_underflow 0
		.amdhsa_exception_fp_ieee_inexact 0
		.amdhsa_exception_int_div_zero 0
	.end_amdhsa_kernel
	.section	.text._ZN7rocprim17ROCPRIM_400000_NS6detail17trampoline_kernelINS0_14default_configENS1_22reduce_config_selectorIN6thrust23THRUST_200600_302600_NS5tupleIblNS6_9null_typeES8_S8_S8_S8_S8_S8_S8_EEEEZNS1_11reduce_implILb1ES3_NS6_12zip_iteratorINS7_INS6_11hip_rocprim26transform_input_iterator_tIbNSD_35transform_pair_of_input_iterators_tIbNS6_6detail15normal_iteratorINS6_10device_ptrIKyEEEESL_NS6_8equal_toIyEEEENSG_9not_fun_tINSD_8identityEEEEENSD_19counting_iterator_tIlEES8_S8_S8_S8_S8_S8_S8_S8_EEEEPS9_S9_NSD_9__find_if7functorIS9_EEEE10hipError_tPvRmT1_T2_T3_mT4_P12ihipStream_tbEUlT_E1_NS1_11comp_targetILNS1_3genE10ELNS1_11target_archE1200ELNS1_3gpuE4ELNS1_3repE0EEENS1_30default_config_static_selectorELNS0_4arch9wavefront6targetE0EEEvS14_,"axG",@progbits,_ZN7rocprim17ROCPRIM_400000_NS6detail17trampoline_kernelINS0_14default_configENS1_22reduce_config_selectorIN6thrust23THRUST_200600_302600_NS5tupleIblNS6_9null_typeES8_S8_S8_S8_S8_S8_S8_EEEEZNS1_11reduce_implILb1ES3_NS6_12zip_iteratorINS7_INS6_11hip_rocprim26transform_input_iterator_tIbNSD_35transform_pair_of_input_iterators_tIbNS6_6detail15normal_iteratorINS6_10device_ptrIKyEEEESL_NS6_8equal_toIyEEEENSG_9not_fun_tINSD_8identityEEEEENSD_19counting_iterator_tIlEES8_S8_S8_S8_S8_S8_S8_S8_EEEEPS9_S9_NSD_9__find_if7functorIS9_EEEE10hipError_tPvRmT1_T2_T3_mT4_P12ihipStream_tbEUlT_E1_NS1_11comp_targetILNS1_3genE10ELNS1_11target_archE1200ELNS1_3gpuE4ELNS1_3repE0EEENS1_30default_config_static_selectorELNS0_4arch9wavefront6targetE0EEEvS14_,comdat
.Lfunc_end129:
	.size	_ZN7rocprim17ROCPRIM_400000_NS6detail17trampoline_kernelINS0_14default_configENS1_22reduce_config_selectorIN6thrust23THRUST_200600_302600_NS5tupleIblNS6_9null_typeES8_S8_S8_S8_S8_S8_S8_EEEEZNS1_11reduce_implILb1ES3_NS6_12zip_iteratorINS7_INS6_11hip_rocprim26transform_input_iterator_tIbNSD_35transform_pair_of_input_iterators_tIbNS6_6detail15normal_iteratorINS6_10device_ptrIKyEEEESL_NS6_8equal_toIyEEEENSG_9not_fun_tINSD_8identityEEEEENSD_19counting_iterator_tIlEES8_S8_S8_S8_S8_S8_S8_S8_EEEEPS9_S9_NSD_9__find_if7functorIS9_EEEE10hipError_tPvRmT1_T2_T3_mT4_P12ihipStream_tbEUlT_E1_NS1_11comp_targetILNS1_3genE10ELNS1_11target_archE1200ELNS1_3gpuE4ELNS1_3repE0EEENS1_30default_config_static_selectorELNS0_4arch9wavefront6targetE0EEEvS14_, .Lfunc_end129-_ZN7rocprim17ROCPRIM_400000_NS6detail17trampoline_kernelINS0_14default_configENS1_22reduce_config_selectorIN6thrust23THRUST_200600_302600_NS5tupleIblNS6_9null_typeES8_S8_S8_S8_S8_S8_S8_EEEEZNS1_11reduce_implILb1ES3_NS6_12zip_iteratorINS7_INS6_11hip_rocprim26transform_input_iterator_tIbNSD_35transform_pair_of_input_iterators_tIbNS6_6detail15normal_iteratorINS6_10device_ptrIKyEEEESL_NS6_8equal_toIyEEEENSG_9not_fun_tINSD_8identityEEEEENSD_19counting_iterator_tIlEES8_S8_S8_S8_S8_S8_S8_S8_EEEEPS9_S9_NSD_9__find_if7functorIS9_EEEE10hipError_tPvRmT1_T2_T3_mT4_P12ihipStream_tbEUlT_E1_NS1_11comp_targetILNS1_3genE10ELNS1_11target_archE1200ELNS1_3gpuE4ELNS1_3repE0EEENS1_30default_config_static_selectorELNS0_4arch9wavefront6targetE0EEEvS14_
                                        ; -- End function
	.set _ZN7rocprim17ROCPRIM_400000_NS6detail17trampoline_kernelINS0_14default_configENS1_22reduce_config_selectorIN6thrust23THRUST_200600_302600_NS5tupleIblNS6_9null_typeES8_S8_S8_S8_S8_S8_S8_EEEEZNS1_11reduce_implILb1ES3_NS6_12zip_iteratorINS7_INS6_11hip_rocprim26transform_input_iterator_tIbNSD_35transform_pair_of_input_iterators_tIbNS6_6detail15normal_iteratorINS6_10device_ptrIKyEEEESL_NS6_8equal_toIyEEEENSG_9not_fun_tINSD_8identityEEEEENSD_19counting_iterator_tIlEES8_S8_S8_S8_S8_S8_S8_S8_EEEEPS9_S9_NSD_9__find_if7functorIS9_EEEE10hipError_tPvRmT1_T2_T3_mT4_P12ihipStream_tbEUlT_E1_NS1_11comp_targetILNS1_3genE10ELNS1_11target_archE1200ELNS1_3gpuE4ELNS1_3repE0EEENS1_30default_config_static_selectorELNS0_4arch9wavefront6targetE0EEEvS14_.num_vgpr, 0
	.set _ZN7rocprim17ROCPRIM_400000_NS6detail17trampoline_kernelINS0_14default_configENS1_22reduce_config_selectorIN6thrust23THRUST_200600_302600_NS5tupleIblNS6_9null_typeES8_S8_S8_S8_S8_S8_S8_EEEEZNS1_11reduce_implILb1ES3_NS6_12zip_iteratorINS7_INS6_11hip_rocprim26transform_input_iterator_tIbNSD_35transform_pair_of_input_iterators_tIbNS6_6detail15normal_iteratorINS6_10device_ptrIKyEEEESL_NS6_8equal_toIyEEEENSG_9not_fun_tINSD_8identityEEEEENSD_19counting_iterator_tIlEES8_S8_S8_S8_S8_S8_S8_S8_EEEEPS9_S9_NSD_9__find_if7functorIS9_EEEE10hipError_tPvRmT1_T2_T3_mT4_P12ihipStream_tbEUlT_E1_NS1_11comp_targetILNS1_3genE10ELNS1_11target_archE1200ELNS1_3gpuE4ELNS1_3repE0EEENS1_30default_config_static_selectorELNS0_4arch9wavefront6targetE0EEEvS14_.num_agpr, 0
	.set _ZN7rocprim17ROCPRIM_400000_NS6detail17trampoline_kernelINS0_14default_configENS1_22reduce_config_selectorIN6thrust23THRUST_200600_302600_NS5tupleIblNS6_9null_typeES8_S8_S8_S8_S8_S8_S8_EEEEZNS1_11reduce_implILb1ES3_NS6_12zip_iteratorINS7_INS6_11hip_rocprim26transform_input_iterator_tIbNSD_35transform_pair_of_input_iterators_tIbNS6_6detail15normal_iteratorINS6_10device_ptrIKyEEEESL_NS6_8equal_toIyEEEENSG_9not_fun_tINSD_8identityEEEEENSD_19counting_iterator_tIlEES8_S8_S8_S8_S8_S8_S8_S8_EEEEPS9_S9_NSD_9__find_if7functorIS9_EEEE10hipError_tPvRmT1_T2_T3_mT4_P12ihipStream_tbEUlT_E1_NS1_11comp_targetILNS1_3genE10ELNS1_11target_archE1200ELNS1_3gpuE4ELNS1_3repE0EEENS1_30default_config_static_selectorELNS0_4arch9wavefront6targetE0EEEvS14_.numbered_sgpr, 0
	.set _ZN7rocprim17ROCPRIM_400000_NS6detail17trampoline_kernelINS0_14default_configENS1_22reduce_config_selectorIN6thrust23THRUST_200600_302600_NS5tupleIblNS6_9null_typeES8_S8_S8_S8_S8_S8_S8_EEEEZNS1_11reduce_implILb1ES3_NS6_12zip_iteratorINS7_INS6_11hip_rocprim26transform_input_iterator_tIbNSD_35transform_pair_of_input_iterators_tIbNS6_6detail15normal_iteratorINS6_10device_ptrIKyEEEESL_NS6_8equal_toIyEEEENSG_9not_fun_tINSD_8identityEEEEENSD_19counting_iterator_tIlEES8_S8_S8_S8_S8_S8_S8_S8_EEEEPS9_S9_NSD_9__find_if7functorIS9_EEEE10hipError_tPvRmT1_T2_T3_mT4_P12ihipStream_tbEUlT_E1_NS1_11comp_targetILNS1_3genE10ELNS1_11target_archE1200ELNS1_3gpuE4ELNS1_3repE0EEENS1_30default_config_static_selectorELNS0_4arch9wavefront6targetE0EEEvS14_.num_named_barrier, 0
	.set _ZN7rocprim17ROCPRIM_400000_NS6detail17trampoline_kernelINS0_14default_configENS1_22reduce_config_selectorIN6thrust23THRUST_200600_302600_NS5tupleIblNS6_9null_typeES8_S8_S8_S8_S8_S8_S8_EEEEZNS1_11reduce_implILb1ES3_NS6_12zip_iteratorINS7_INS6_11hip_rocprim26transform_input_iterator_tIbNSD_35transform_pair_of_input_iterators_tIbNS6_6detail15normal_iteratorINS6_10device_ptrIKyEEEESL_NS6_8equal_toIyEEEENSG_9not_fun_tINSD_8identityEEEEENSD_19counting_iterator_tIlEES8_S8_S8_S8_S8_S8_S8_S8_EEEEPS9_S9_NSD_9__find_if7functorIS9_EEEE10hipError_tPvRmT1_T2_T3_mT4_P12ihipStream_tbEUlT_E1_NS1_11comp_targetILNS1_3genE10ELNS1_11target_archE1200ELNS1_3gpuE4ELNS1_3repE0EEENS1_30default_config_static_selectorELNS0_4arch9wavefront6targetE0EEEvS14_.private_seg_size, 0
	.set _ZN7rocprim17ROCPRIM_400000_NS6detail17trampoline_kernelINS0_14default_configENS1_22reduce_config_selectorIN6thrust23THRUST_200600_302600_NS5tupleIblNS6_9null_typeES8_S8_S8_S8_S8_S8_S8_EEEEZNS1_11reduce_implILb1ES3_NS6_12zip_iteratorINS7_INS6_11hip_rocprim26transform_input_iterator_tIbNSD_35transform_pair_of_input_iterators_tIbNS6_6detail15normal_iteratorINS6_10device_ptrIKyEEEESL_NS6_8equal_toIyEEEENSG_9not_fun_tINSD_8identityEEEEENSD_19counting_iterator_tIlEES8_S8_S8_S8_S8_S8_S8_S8_EEEEPS9_S9_NSD_9__find_if7functorIS9_EEEE10hipError_tPvRmT1_T2_T3_mT4_P12ihipStream_tbEUlT_E1_NS1_11comp_targetILNS1_3genE10ELNS1_11target_archE1200ELNS1_3gpuE4ELNS1_3repE0EEENS1_30default_config_static_selectorELNS0_4arch9wavefront6targetE0EEEvS14_.uses_vcc, 0
	.set _ZN7rocprim17ROCPRIM_400000_NS6detail17trampoline_kernelINS0_14default_configENS1_22reduce_config_selectorIN6thrust23THRUST_200600_302600_NS5tupleIblNS6_9null_typeES8_S8_S8_S8_S8_S8_S8_EEEEZNS1_11reduce_implILb1ES3_NS6_12zip_iteratorINS7_INS6_11hip_rocprim26transform_input_iterator_tIbNSD_35transform_pair_of_input_iterators_tIbNS6_6detail15normal_iteratorINS6_10device_ptrIKyEEEESL_NS6_8equal_toIyEEEENSG_9not_fun_tINSD_8identityEEEEENSD_19counting_iterator_tIlEES8_S8_S8_S8_S8_S8_S8_S8_EEEEPS9_S9_NSD_9__find_if7functorIS9_EEEE10hipError_tPvRmT1_T2_T3_mT4_P12ihipStream_tbEUlT_E1_NS1_11comp_targetILNS1_3genE10ELNS1_11target_archE1200ELNS1_3gpuE4ELNS1_3repE0EEENS1_30default_config_static_selectorELNS0_4arch9wavefront6targetE0EEEvS14_.uses_flat_scratch, 0
	.set _ZN7rocprim17ROCPRIM_400000_NS6detail17trampoline_kernelINS0_14default_configENS1_22reduce_config_selectorIN6thrust23THRUST_200600_302600_NS5tupleIblNS6_9null_typeES8_S8_S8_S8_S8_S8_S8_EEEEZNS1_11reduce_implILb1ES3_NS6_12zip_iteratorINS7_INS6_11hip_rocprim26transform_input_iterator_tIbNSD_35transform_pair_of_input_iterators_tIbNS6_6detail15normal_iteratorINS6_10device_ptrIKyEEEESL_NS6_8equal_toIyEEEENSG_9not_fun_tINSD_8identityEEEEENSD_19counting_iterator_tIlEES8_S8_S8_S8_S8_S8_S8_S8_EEEEPS9_S9_NSD_9__find_if7functorIS9_EEEE10hipError_tPvRmT1_T2_T3_mT4_P12ihipStream_tbEUlT_E1_NS1_11comp_targetILNS1_3genE10ELNS1_11target_archE1200ELNS1_3gpuE4ELNS1_3repE0EEENS1_30default_config_static_selectorELNS0_4arch9wavefront6targetE0EEEvS14_.has_dyn_sized_stack, 0
	.set _ZN7rocprim17ROCPRIM_400000_NS6detail17trampoline_kernelINS0_14default_configENS1_22reduce_config_selectorIN6thrust23THRUST_200600_302600_NS5tupleIblNS6_9null_typeES8_S8_S8_S8_S8_S8_S8_EEEEZNS1_11reduce_implILb1ES3_NS6_12zip_iteratorINS7_INS6_11hip_rocprim26transform_input_iterator_tIbNSD_35transform_pair_of_input_iterators_tIbNS6_6detail15normal_iteratorINS6_10device_ptrIKyEEEESL_NS6_8equal_toIyEEEENSG_9not_fun_tINSD_8identityEEEEENSD_19counting_iterator_tIlEES8_S8_S8_S8_S8_S8_S8_S8_EEEEPS9_S9_NSD_9__find_if7functorIS9_EEEE10hipError_tPvRmT1_T2_T3_mT4_P12ihipStream_tbEUlT_E1_NS1_11comp_targetILNS1_3genE10ELNS1_11target_archE1200ELNS1_3gpuE4ELNS1_3repE0EEENS1_30default_config_static_selectorELNS0_4arch9wavefront6targetE0EEEvS14_.has_recursion, 0
	.set _ZN7rocprim17ROCPRIM_400000_NS6detail17trampoline_kernelINS0_14default_configENS1_22reduce_config_selectorIN6thrust23THRUST_200600_302600_NS5tupleIblNS6_9null_typeES8_S8_S8_S8_S8_S8_S8_EEEEZNS1_11reduce_implILb1ES3_NS6_12zip_iteratorINS7_INS6_11hip_rocprim26transform_input_iterator_tIbNSD_35transform_pair_of_input_iterators_tIbNS6_6detail15normal_iteratorINS6_10device_ptrIKyEEEESL_NS6_8equal_toIyEEEENSG_9not_fun_tINSD_8identityEEEEENSD_19counting_iterator_tIlEES8_S8_S8_S8_S8_S8_S8_S8_EEEEPS9_S9_NSD_9__find_if7functorIS9_EEEE10hipError_tPvRmT1_T2_T3_mT4_P12ihipStream_tbEUlT_E1_NS1_11comp_targetILNS1_3genE10ELNS1_11target_archE1200ELNS1_3gpuE4ELNS1_3repE0EEENS1_30default_config_static_selectorELNS0_4arch9wavefront6targetE0EEEvS14_.has_indirect_call, 0
	.section	.AMDGPU.csdata,"",@progbits
; Kernel info:
; codeLenInByte = 0
; TotalNumSgprs: 0
; NumVgprs: 0
; ScratchSize: 0
; MemoryBound: 0
; FloatMode: 240
; IeeeMode: 1
; LDSByteSize: 0 bytes/workgroup (compile time only)
; SGPRBlocks: 0
; VGPRBlocks: 0
; NumSGPRsForWavesPerEU: 1
; NumVGPRsForWavesPerEU: 1
; Occupancy: 16
; WaveLimiterHint : 0
; COMPUTE_PGM_RSRC2:SCRATCH_EN: 0
; COMPUTE_PGM_RSRC2:USER_SGPR: 6
; COMPUTE_PGM_RSRC2:TRAP_HANDLER: 0
; COMPUTE_PGM_RSRC2:TGID_X_EN: 1
; COMPUTE_PGM_RSRC2:TGID_Y_EN: 0
; COMPUTE_PGM_RSRC2:TGID_Z_EN: 0
; COMPUTE_PGM_RSRC2:TIDIG_COMP_CNT: 0
	.section	.text._ZN7rocprim17ROCPRIM_400000_NS6detail17trampoline_kernelINS0_14default_configENS1_22reduce_config_selectorIN6thrust23THRUST_200600_302600_NS5tupleIblNS6_9null_typeES8_S8_S8_S8_S8_S8_S8_EEEEZNS1_11reduce_implILb1ES3_NS6_12zip_iteratorINS7_INS6_11hip_rocprim26transform_input_iterator_tIbNSD_35transform_pair_of_input_iterators_tIbNS6_6detail15normal_iteratorINS6_10device_ptrIKyEEEESL_NS6_8equal_toIyEEEENSG_9not_fun_tINSD_8identityEEEEENSD_19counting_iterator_tIlEES8_S8_S8_S8_S8_S8_S8_S8_EEEEPS9_S9_NSD_9__find_if7functorIS9_EEEE10hipError_tPvRmT1_T2_T3_mT4_P12ihipStream_tbEUlT_E1_NS1_11comp_targetILNS1_3genE9ELNS1_11target_archE1100ELNS1_3gpuE3ELNS1_3repE0EEENS1_30default_config_static_selectorELNS0_4arch9wavefront6targetE0EEEvS14_,"axG",@progbits,_ZN7rocprim17ROCPRIM_400000_NS6detail17trampoline_kernelINS0_14default_configENS1_22reduce_config_selectorIN6thrust23THRUST_200600_302600_NS5tupleIblNS6_9null_typeES8_S8_S8_S8_S8_S8_S8_EEEEZNS1_11reduce_implILb1ES3_NS6_12zip_iteratorINS7_INS6_11hip_rocprim26transform_input_iterator_tIbNSD_35transform_pair_of_input_iterators_tIbNS6_6detail15normal_iteratorINS6_10device_ptrIKyEEEESL_NS6_8equal_toIyEEEENSG_9not_fun_tINSD_8identityEEEEENSD_19counting_iterator_tIlEES8_S8_S8_S8_S8_S8_S8_S8_EEEEPS9_S9_NSD_9__find_if7functorIS9_EEEE10hipError_tPvRmT1_T2_T3_mT4_P12ihipStream_tbEUlT_E1_NS1_11comp_targetILNS1_3genE9ELNS1_11target_archE1100ELNS1_3gpuE3ELNS1_3repE0EEENS1_30default_config_static_selectorELNS0_4arch9wavefront6targetE0EEEvS14_,comdat
	.protected	_ZN7rocprim17ROCPRIM_400000_NS6detail17trampoline_kernelINS0_14default_configENS1_22reduce_config_selectorIN6thrust23THRUST_200600_302600_NS5tupleIblNS6_9null_typeES8_S8_S8_S8_S8_S8_S8_EEEEZNS1_11reduce_implILb1ES3_NS6_12zip_iteratorINS7_INS6_11hip_rocprim26transform_input_iterator_tIbNSD_35transform_pair_of_input_iterators_tIbNS6_6detail15normal_iteratorINS6_10device_ptrIKyEEEESL_NS6_8equal_toIyEEEENSG_9not_fun_tINSD_8identityEEEEENSD_19counting_iterator_tIlEES8_S8_S8_S8_S8_S8_S8_S8_EEEEPS9_S9_NSD_9__find_if7functorIS9_EEEE10hipError_tPvRmT1_T2_T3_mT4_P12ihipStream_tbEUlT_E1_NS1_11comp_targetILNS1_3genE9ELNS1_11target_archE1100ELNS1_3gpuE3ELNS1_3repE0EEENS1_30default_config_static_selectorELNS0_4arch9wavefront6targetE0EEEvS14_ ; -- Begin function _ZN7rocprim17ROCPRIM_400000_NS6detail17trampoline_kernelINS0_14default_configENS1_22reduce_config_selectorIN6thrust23THRUST_200600_302600_NS5tupleIblNS6_9null_typeES8_S8_S8_S8_S8_S8_S8_EEEEZNS1_11reduce_implILb1ES3_NS6_12zip_iteratorINS7_INS6_11hip_rocprim26transform_input_iterator_tIbNSD_35transform_pair_of_input_iterators_tIbNS6_6detail15normal_iteratorINS6_10device_ptrIKyEEEESL_NS6_8equal_toIyEEEENSG_9not_fun_tINSD_8identityEEEEENSD_19counting_iterator_tIlEES8_S8_S8_S8_S8_S8_S8_S8_EEEEPS9_S9_NSD_9__find_if7functorIS9_EEEE10hipError_tPvRmT1_T2_T3_mT4_P12ihipStream_tbEUlT_E1_NS1_11comp_targetILNS1_3genE9ELNS1_11target_archE1100ELNS1_3gpuE3ELNS1_3repE0EEENS1_30default_config_static_selectorELNS0_4arch9wavefront6targetE0EEEvS14_
	.globl	_ZN7rocprim17ROCPRIM_400000_NS6detail17trampoline_kernelINS0_14default_configENS1_22reduce_config_selectorIN6thrust23THRUST_200600_302600_NS5tupleIblNS6_9null_typeES8_S8_S8_S8_S8_S8_S8_EEEEZNS1_11reduce_implILb1ES3_NS6_12zip_iteratorINS7_INS6_11hip_rocprim26transform_input_iterator_tIbNSD_35transform_pair_of_input_iterators_tIbNS6_6detail15normal_iteratorINS6_10device_ptrIKyEEEESL_NS6_8equal_toIyEEEENSG_9not_fun_tINSD_8identityEEEEENSD_19counting_iterator_tIlEES8_S8_S8_S8_S8_S8_S8_S8_EEEEPS9_S9_NSD_9__find_if7functorIS9_EEEE10hipError_tPvRmT1_T2_T3_mT4_P12ihipStream_tbEUlT_E1_NS1_11comp_targetILNS1_3genE9ELNS1_11target_archE1100ELNS1_3gpuE3ELNS1_3repE0EEENS1_30default_config_static_selectorELNS0_4arch9wavefront6targetE0EEEvS14_
	.p2align	8
	.type	_ZN7rocprim17ROCPRIM_400000_NS6detail17trampoline_kernelINS0_14default_configENS1_22reduce_config_selectorIN6thrust23THRUST_200600_302600_NS5tupleIblNS6_9null_typeES8_S8_S8_S8_S8_S8_S8_EEEEZNS1_11reduce_implILb1ES3_NS6_12zip_iteratorINS7_INS6_11hip_rocprim26transform_input_iterator_tIbNSD_35transform_pair_of_input_iterators_tIbNS6_6detail15normal_iteratorINS6_10device_ptrIKyEEEESL_NS6_8equal_toIyEEEENSG_9not_fun_tINSD_8identityEEEEENSD_19counting_iterator_tIlEES8_S8_S8_S8_S8_S8_S8_S8_EEEEPS9_S9_NSD_9__find_if7functorIS9_EEEE10hipError_tPvRmT1_T2_T3_mT4_P12ihipStream_tbEUlT_E1_NS1_11comp_targetILNS1_3genE9ELNS1_11target_archE1100ELNS1_3gpuE3ELNS1_3repE0EEENS1_30default_config_static_selectorELNS0_4arch9wavefront6targetE0EEEvS14_,@function
_ZN7rocprim17ROCPRIM_400000_NS6detail17trampoline_kernelINS0_14default_configENS1_22reduce_config_selectorIN6thrust23THRUST_200600_302600_NS5tupleIblNS6_9null_typeES8_S8_S8_S8_S8_S8_S8_EEEEZNS1_11reduce_implILb1ES3_NS6_12zip_iteratorINS7_INS6_11hip_rocprim26transform_input_iterator_tIbNSD_35transform_pair_of_input_iterators_tIbNS6_6detail15normal_iteratorINS6_10device_ptrIKyEEEESL_NS6_8equal_toIyEEEENSG_9not_fun_tINSD_8identityEEEEENSD_19counting_iterator_tIlEES8_S8_S8_S8_S8_S8_S8_S8_EEEEPS9_S9_NSD_9__find_if7functorIS9_EEEE10hipError_tPvRmT1_T2_T3_mT4_P12ihipStream_tbEUlT_E1_NS1_11comp_targetILNS1_3genE9ELNS1_11target_archE1100ELNS1_3gpuE3ELNS1_3repE0EEENS1_30default_config_static_selectorELNS0_4arch9wavefront6targetE0EEEvS14_: ; @_ZN7rocprim17ROCPRIM_400000_NS6detail17trampoline_kernelINS0_14default_configENS1_22reduce_config_selectorIN6thrust23THRUST_200600_302600_NS5tupleIblNS6_9null_typeES8_S8_S8_S8_S8_S8_S8_EEEEZNS1_11reduce_implILb1ES3_NS6_12zip_iteratorINS7_INS6_11hip_rocprim26transform_input_iterator_tIbNSD_35transform_pair_of_input_iterators_tIbNS6_6detail15normal_iteratorINS6_10device_ptrIKyEEEESL_NS6_8equal_toIyEEEENSG_9not_fun_tINSD_8identityEEEEENSD_19counting_iterator_tIlEES8_S8_S8_S8_S8_S8_S8_S8_EEEEPS9_S9_NSD_9__find_if7functorIS9_EEEE10hipError_tPvRmT1_T2_T3_mT4_P12ihipStream_tbEUlT_E1_NS1_11comp_targetILNS1_3genE9ELNS1_11target_archE1100ELNS1_3gpuE3ELNS1_3repE0EEENS1_30default_config_static_selectorELNS0_4arch9wavefront6targetE0EEEvS14_
; %bb.0:
	.section	.rodata,"a",@progbits
	.p2align	6, 0x0
	.amdhsa_kernel _ZN7rocprim17ROCPRIM_400000_NS6detail17trampoline_kernelINS0_14default_configENS1_22reduce_config_selectorIN6thrust23THRUST_200600_302600_NS5tupleIblNS6_9null_typeES8_S8_S8_S8_S8_S8_S8_EEEEZNS1_11reduce_implILb1ES3_NS6_12zip_iteratorINS7_INS6_11hip_rocprim26transform_input_iterator_tIbNSD_35transform_pair_of_input_iterators_tIbNS6_6detail15normal_iteratorINS6_10device_ptrIKyEEEESL_NS6_8equal_toIyEEEENSG_9not_fun_tINSD_8identityEEEEENSD_19counting_iterator_tIlEES8_S8_S8_S8_S8_S8_S8_S8_EEEEPS9_S9_NSD_9__find_if7functorIS9_EEEE10hipError_tPvRmT1_T2_T3_mT4_P12ihipStream_tbEUlT_E1_NS1_11comp_targetILNS1_3genE9ELNS1_11target_archE1100ELNS1_3gpuE3ELNS1_3repE0EEENS1_30default_config_static_selectorELNS0_4arch9wavefront6targetE0EEEvS14_
		.amdhsa_group_segment_fixed_size 0
		.amdhsa_private_segment_fixed_size 0
		.amdhsa_kernarg_size 88
		.amdhsa_user_sgpr_count 6
		.amdhsa_user_sgpr_private_segment_buffer 1
		.amdhsa_user_sgpr_dispatch_ptr 0
		.amdhsa_user_sgpr_queue_ptr 0
		.amdhsa_user_sgpr_kernarg_segment_ptr 1
		.amdhsa_user_sgpr_dispatch_id 0
		.amdhsa_user_sgpr_flat_scratch_init 0
		.amdhsa_user_sgpr_private_segment_size 0
		.amdhsa_wavefront_size32 1
		.amdhsa_uses_dynamic_stack 0
		.amdhsa_system_sgpr_private_segment_wavefront_offset 0
		.amdhsa_system_sgpr_workgroup_id_x 1
		.amdhsa_system_sgpr_workgroup_id_y 0
		.amdhsa_system_sgpr_workgroup_id_z 0
		.amdhsa_system_sgpr_workgroup_info 0
		.amdhsa_system_vgpr_workitem_id 0
		.amdhsa_next_free_vgpr 1
		.amdhsa_next_free_sgpr 1
		.amdhsa_reserve_vcc 0
		.amdhsa_reserve_flat_scratch 0
		.amdhsa_float_round_mode_32 0
		.amdhsa_float_round_mode_16_64 0
		.amdhsa_float_denorm_mode_32 3
		.amdhsa_float_denorm_mode_16_64 3
		.amdhsa_dx10_clamp 1
		.amdhsa_ieee_mode 1
		.amdhsa_fp16_overflow 0
		.amdhsa_workgroup_processor_mode 1
		.amdhsa_memory_ordered 1
		.amdhsa_forward_progress 1
		.amdhsa_shared_vgpr_count 0
		.amdhsa_exception_fp_ieee_invalid_op 0
		.amdhsa_exception_fp_denorm_src 0
		.amdhsa_exception_fp_ieee_div_zero 0
		.amdhsa_exception_fp_ieee_overflow 0
		.amdhsa_exception_fp_ieee_underflow 0
		.amdhsa_exception_fp_ieee_inexact 0
		.amdhsa_exception_int_div_zero 0
	.end_amdhsa_kernel
	.section	.text._ZN7rocprim17ROCPRIM_400000_NS6detail17trampoline_kernelINS0_14default_configENS1_22reduce_config_selectorIN6thrust23THRUST_200600_302600_NS5tupleIblNS6_9null_typeES8_S8_S8_S8_S8_S8_S8_EEEEZNS1_11reduce_implILb1ES3_NS6_12zip_iteratorINS7_INS6_11hip_rocprim26transform_input_iterator_tIbNSD_35transform_pair_of_input_iterators_tIbNS6_6detail15normal_iteratorINS6_10device_ptrIKyEEEESL_NS6_8equal_toIyEEEENSG_9not_fun_tINSD_8identityEEEEENSD_19counting_iterator_tIlEES8_S8_S8_S8_S8_S8_S8_S8_EEEEPS9_S9_NSD_9__find_if7functorIS9_EEEE10hipError_tPvRmT1_T2_T3_mT4_P12ihipStream_tbEUlT_E1_NS1_11comp_targetILNS1_3genE9ELNS1_11target_archE1100ELNS1_3gpuE3ELNS1_3repE0EEENS1_30default_config_static_selectorELNS0_4arch9wavefront6targetE0EEEvS14_,"axG",@progbits,_ZN7rocprim17ROCPRIM_400000_NS6detail17trampoline_kernelINS0_14default_configENS1_22reduce_config_selectorIN6thrust23THRUST_200600_302600_NS5tupleIblNS6_9null_typeES8_S8_S8_S8_S8_S8_S8_EEEEZNS1_11reduce_implILb1ES3_NS6_12zip_iteratorINS7_INS6_11hip_rocprim26transform_input_iterator_tIbNSD_35transform_pair_of_input_iterators_tIbNS6_6detail15normal_iteratorINS6_10device_ptrIKyEEEESL_NS6_8equal_toIyEEEENSG_9not_fun_tINSD_8identityEEEEENSD_19counting_iterator_tIlEES8_S8_S8_S8_S8_S8_S8_S8_EEEEPS9_S9_NSD_9__find_if7functorIS9_EEEE10hipError_tPvRmT1_T2_T3_mT4_P12ihipStream_tbEUlT_E1_NS1_11comp_targetILNS1_3genE9ELNS1_11target_archE1100ELNS1_3gpuE3ELNS1_3repE0EEENS1_30default_config_static_selectorELNS0_4arch9wavefront6targetE0EEEvS14_,comdat
.Lfunc_end130:
	.size	_ZN7rocprim17ROCPRIM_400000_NS6detail17trampoline_kernelINS0_14default_configENS1_22reduce_config_selectorIN6thrust23THRUST_200600_302600_NS5tupleIblNS6_9null_typeES8_S8_S8_S8_S8_S8_S8_EEEEZNS1_11reduce_implILb1ES3_NS6_12zip_iteratorINS7_INS6_11hip_rocprim26transform_input_iterator_tIbNSD_35transform_pair_of_input_iterators_tIbNS6_6detail15normal_iteratorINS6_10device_ptrIKyEEEESL_NS6_8equal_toIyEEEENSG_9not_fun_tINSD_8identityEEEEENSD_19counting_iterator_tIlEES8_S8_S8_S8_S8_S8_S8_S8_EEEEPS9_S9_NSD_9__find_if7functorIS9_EEEE10hipError_tPvRmT1_T2_T3_mT4_P12ihipStream_tbEUlT_E1_NS1_11comp_targetILNS1_3genE9ELNS1_11target_archE1100ELNS1_3gpuE3ELNS1_3repE0EEENS1_30default_config_static_selectorELNS0_4arch9wavefront6targetE0EEEvS14_, .Lfunc_end130-_ZN7rocprim17ROCPRIM_400000_NS6detail17trampoline_kernelINS0_14default_configENS1_22reduce_config_selectorIN6thrust23THRUST_200600_302600_NS5tupleIblNS6_9null_typeES8_S8_S8_S8_S8_S8_S8_EEEEZNS1_11reduce_implILb1ES3_NS6_12zip_iteratorINS7_INS6_11hip_rocprim26transform_input_iterator_tIbNSD_35transform_pair_of_input_iterators_tIbNS6_6detail15normal_iteratorINS6_10device_ptrIKyEEEESL_NS6_8equal_toIyEEEENSG_9not_fun_tINSD_8identityEEEEENSD_19counting_iterator_tIlEES8_S8_S8_S8_S8_S8_S8_S8_EEEEPS9_S9_NSD_9__find_if7functorIS9_EEEE10hipError_tPvRmT1_T2_T3_mT4_P12ihipStream_tbEUlT_E1_NS1_11comp_targetILNS1_3genE9ELNS1_11target_archE1100ELNS1_3gpuE3ELNS1_3repE0EEENS1_30default_config_static_selectorELNS0_4arch9wavefront6targetE0EEEvS14_
                                        ; -- End function
	.set _ZN7rocprim17ROCPRIM_400000_NS6detail17trampoline_kernelINS0_14default_configENS1_22reduce_config_selectorIN6thrust23THRUST_200600_302600_NS5tupleIblNS6_9null_typeES8_S8_S8_S8_S8_S8_S8_EEEEZNS1_11reduce_implILb1ES3_NS6_12zip_iteratorINS7_INS6_11hip_rocprim26transform_input_iterator_tIbNSD_35transform_pair_of_input_iterators_tIbNS6_6detail15normal_iteratorINS6_10device_ptrIKyEEEESL_NS6_8equal_toIyEEEENSG_9not_fun_tINSD_8identityEEEEENSD_19counting_iterator_tIlEES8_S8_S8_S8_S8_S8_S8_S8_EEEEPS9_S9_NSD_9__find_if7functorIS9_EEEE10hipError_tPvRmT1_T2_T3_mT4_P12ihipStream_tbEUlT_E1_NS1_11comp_targetILNS1_3genE9ELNS1_11target_archE1100ELNS1_3gpuE3ELNS1_3repE0EEENS1_30default_config_static_selectorELNS0_4arch9wavefront6targetE0EEEvS14_.num_vgpr, 0
	.set _ZN7rocprim17ROCPRIM_400000_NS6detail17trampoline_kernelINS0_14default_configENS1_22reduce_config_selectorIN6thrust23THRUST_200600_302600_NS5tupleIblNS6_9null_typeES8_S8_S8_S8_S8_S8_S8_EEEEZNS1_11reduce_implILb1ES3_NS6_12zip_iteratorINS7_INS6_11hip_rocprim26transform_input_iterator_tIbNSD_35transform_pair_of_input_iterators_tIbNS6_6detail15normal_iteratorINS6_10device_ptrIKyEEEESL_NS6_8equal_toIyEEEENSG_9not_fun_tINSD_8identityEEEEENSD_19counting_iterator_tIlEES8_S8_S8_S8_S8_S8_S8_S8_EEEEPS9_S9_NSD_9__find_if7functorIS9_EEEE10hipError_tPvRmT1_T2_T3_mT4_P12ihipStream_tbEUlT_E1_NS1_11comp_targetILNS1_3genE9ELNS1_11target_archE1100ELNS1_3gpuE3ELNS1_3repE0EEENS1_30default_config_static_selectorELNS0_4arch9wavefront6targetE0EEEvS14_.num_agpr, 0
	.set _ZN7rocprim17ROCPRIM_400000_NS6detail17trampoline_kernelINS0_14default_configENS1_22reduce_config_selectorIN6thrust23THRUST_200600_302600_NS5tupleIblNS6_9null_typeES8_S8_S8_S8_S8_S8_S8_EEEEZNS1_11reduce_implILb1ES3_NS6_12zip_iteratorINS7_INS6_11hip_rocprim26transform_input_iterator_tIbNSD_35transform_pair_of_input_iterators_tIbNS6_6detail15normal_iteratorINS6_10device_ptrIKyEEEESL_NS6_8equal_toIyEEEENSG_9not_fun_tINSD_8identityEEEEENSD_19counting_iterator_tIlEES8_S8_S8_S8_S8_S8_S8_S8_EEEEPS9_S9_NSD_9__find_if7functorIS9_EEEE10hipError_tPvRmT1_T2_T3_mT4_P12ihipStream_tbEUlT_E1_NS1_11comp_targetILNS1_3genE9ELNS1_11target_archE1100ELNS1_3gpuE3ELNS1_3repE0EEENS1_30default_config_static_selectorELNS0_4arch9wavefront6targetE0EEEvS14_.numbered_sgpr, 0
	.set _ZN7rocprim17ROCPRIM_400000_NS6detail17trampoline_kernelINS0_14default_configENS1_22reduce_config_selectorIN6thrust23THRUST_200600_302600_NS5tupleIblNS6_9null_typeES8_S8_S8_S8_S8_S8_S8_EEEEZNS1_11reduce_implILb1ES3_NS6_12zip_iteratorINS7_INS6_11hip_rocprim26transform_input_iterator_tIbNSD_35transform_pair_of_input_iterators_tIbNS6_6detail15normal_iteratorINS6_10device_ptrIKyEEEESL_NS6_8equal_toIyEEEENSG_9not_fun_tINSD_8identityEEEEENSD_19counting_iterator_tIlEES8_S8_S8_S8_S8_S8_S8_S8_EEEEPS9_S9_NSD_9__find_if7functorIS9_EEEE10hipError_tPvRmT1_T2_T3_mT4_P12ihipStream_tbEUlT_E1_NS1_11comp_targetILNS1_3genE9ELNS1_11target_archE1100ELNS1_3gpuE3ELNS1_3repE0EEENS1_30default_config_static_selectorELNS0_4arch9wavefront6targetE0EEEvS14_.num_named_barrier, 0
	.set _ZN7rocprim17ROCPRIM_400000_NS6detail17trampoline_kernelINS0_14default_configENS1_22reduce_config_selectorIN6thrust23THRUST_200600_302600_NS5tupleIblNS6_9null_typeES8_S8_S8_S8_S8_S8_S8_EEEEZNS1_11reduce_implILb1ES3_NS6_12zip_iteratorINS7_INS6_11hip_rocprim26transform_input_iterator_tIbNSD_35transform_pair_of_input_iterators_tIbNS6_6detail15normal_iteratorINS6_10device_ptrIKyEEEESL_NS6_8equal_toIyEEEENSG_9not_fun_tINSD_8identityEEEEENSD_19counting_iterator_tIlEES8_S8_S8_S8_S8_S8_S8_S8_EEEEPS9_S9_NSD_9__find_if7functorIS9_EEEE10hipError_tPvRmT1_T2_T3_mT4_P12ihipStream_tbEUlT_E1_NS1_11comp_targetILNS1_3genE9ELNS1_11target_archE1100ELNS1_3gpuE3ELNS1_3repE0EEENS1_30default_config_static_selectorELNS0_4arch9wavefront6targetE0EEEvS14_.private_seg_size, 0
	.set _ZN7rocprim17ROCPRIM_400000_NS6detail17trampoline_kernelINS0_14default_configENS1_22reduce_config_selectorIN6thrust23THRUST_200600_302600_NS5tupleIblNS6_9null_typeES8_S8_S8_S8_S8_S8_S8_EEEEZNS1_11reduce_implILb1ES3_NS6_12zip_iteratorINS7_INS6_11hip_rocprim26transform_input_iterator_tIbNSD_35transform_pair_of_input_iterators_tIbNS6_6detail15normal_iteratorINS6_10device_ptrIKyEEEESL_NS6_8equal_toIyEEEENSG_9not_fun_tINSD_8identityEEEEENSD_19counting_iterator_tIlEES8_S8_S8_S8_S8_S8_S8_S8_EEEEPS9_S9_NSD_9__find_if7functorIS9_EEEE10hipError_tPvRmT1_T2_T3_mT4_P12ihipStream_tbEUlT_E1_NS1_11comp_targetILNS1_3genE9ELNS1_11target_archE1100ELNS1_3gpuE3ELNS1_3repE0EEENS1_30default_config_static_selectorELNS0_4arch9wavefront6targetE0EEEvS14_.uses_vcc, 0
	.set _ZN7rocprim17ROCPRIM_400000_NS6detail17trampoline_kernelINS0_14default_configENS1_22reduce_config_selectorIN6thrust23THRUST_200600_302600_NS5tupleIblNS6_9null_typeES8_S8_S8_S8_S8_S8_S8_EEEEZNS1_11reduce_implILb1ES3_NS6_12zip_iteratorINS7_INS6_11hip_rocprim26transform_input_iterator_tIbNSD_35transform_pair_of_input_iterators_tIbNS6_6detail15normal_iteratorINS6_10device_ptrIKyEEEESL_NS6_8equal_toIyEEEENSG_9not_fun_tINSD_8identityEEEEENSD_19counting_iterator_tIlEES8_S8_S8_S8_S8_S8_S8_S8_EEEEPS9_S9_NSD_9__find_if7functorIS9_EEEE10hipError_tPvRmT1_T2_T3_mT4_P12ihipStream_tbEUlT_E1_NS1_11comp_targetILNS1_3genE9ELNS1_11target_archE1100ELNS1_3gpuE3ELNS1_3repE0EEENS1_30default_config_static_selectorELNS0_4arch9wavefront6targetE0EEEvS14_.uses_flat_scratch, 0
	.set _ZN7rocprim17ROCPRIM_400000_NS6detail17trampoline_kernelINS0_14default_configENS1_22reduce_config_selectorIN6thrust23THRUST_200600_302600_NS5tupleIblNS6_9null_typeES8_S8_S8_S8_S8_S8_S8_EEEEZNS1_11reduce_implILb1ES3_NS6_12zip_iteratorINS7_INS6_11hip_rocprim26transform_input_iterator_tIbNSD_35transform_pair_of_input_iterators_tIbNS6_6detail15normal_iteratorINS6_10device_ptrIKyEEEESL_NS6_8equal_toIyEEEENSG_9not_fun_tINSD_8identityEEEEENSD_19counting_iterator_tIlEES8_S8_S8_S8_S8_S8_S8_S8_EEEEPS9_S9_NSD_9__find_if7functorIS9_EEEE10hipError_tPvRmT1_T2_T3_mT4_P12ihipStream_tbEUlT_E1_NS1_11comp_targetILNS1_3genE9ELNS1_11target_archE1100ELNS1_3gpuE3ELNS1_3repE0EEENS1_30default_config_static_selectorELNS0_4arch9wavefront6targetE0EEEvS14_.has_dyn_sized_stack, 0
	.set _ZN7rocprim17ROCPRIM_400000_NS6detail17trampoline_kernelINS0_14default_configENS1_22reduce_config_selectorIN6thrust23THRUST_200600_302600_NS5tupleIblNS6_9null_typeES8_S8_S8_S8_S8_S8_S8_EEEEZNS1_11reduce_implILb1ES3_NS6_12zip_iteratorINS7_INS6_11hip_rocprim26transform_input_iterator_tIbNSD_35transform_pair_of_input_iterators_tIbNS6_6detail15normal_iteratorINS6_10device_ptrIKyEEEESL_NS6_8equal_toIyEEEENSG_9not_fun_tINSD_8identityEEEEENSD_19counting_iterator_tIlEES8_S8_S8_S8_S8_S8_S8_S8_EEEEPS9_S9_NSD_9__find_if7functorIS9_EEEE10hipError_tPvRmT1_T2_T3_mT4_P12ihipStream_tbEUlT_E1_NS1_11comp_targetILNS1_3genE9ELNS1_11target_archE1100ELNS1_3gpuE3ELNS1_3repE0EEENS1_30default_config_static_selectorELNS0_4arch9wavefront6targetE0EEEvS14_.has_recursion, 0
	.set _ZN7rocprim17ROCPRIM_400000_NS6detail17trampoline_kernelINS0_14default_configENS1_22reduce_config_selectorIN6thrust23THRUST_200600_302600_NS5tupleIblNS6_9null_typeES8_S8_S8_S8_S8_S8_S8_EEEEZNS1_11reduce_implILb1ES3_NS6_12zip_iteratorINS7_INS6_11hip_rocprim26transform_input_iterator_tIbNSD_35transform_pair_of_input_iterators_tIbNS6_6detail15normal_iteratorINS6_10device_ptrIKyEEEESL_NS6_8equal_toIyEEEENSG_9not_fun_tINSD_8identityEEEEENSD_19counting_iterator_tIlEES8_S8_S8_S8_S8_S8_S8_S8_EEEEPS9_S9_NSD_9__find_if7functorIS9_EEEE10hipError_tPvRmT1_T2_T3_mT4_P12ihipStream_tbEUlT_E1_NS1_11comp_targetILNS1_3genE9ELNS1_11target_archE1100ELNS1_3gpuE3ELNS1_3repE0EEENS1_30default_config_static_selectorELNS0_4arch9wavefront6targetE0EEEvS14_.has_indirect_call, 0
	.section	.AMDGPU.csdata,"",@progbits
; Kernel info:
; codeLenInByte = 0
; TotalNumSgprs: 0
; NumVgprs: 0
; ScratchSize: 0
; MemoryBound: 0
; FloatMode: 240
; IeeeMode: 1
; LDSByteSize: 0 bytes/workgroup (compile time only)
; SGPRBlocks: 0
; VGPRBlocks: 0
; NumSGPRsForWavesPerEU: 1
; NumVGPRsForWavesPerEU: 1
; Occupancy: 16
; WaveLimiterHint : 0
; COMPUTE_PGM_RSRC2:SCRATCH_EN: 0
; COMPUTE_PGM_RSRC2:USER_SGPR: 6
; COMPUTE_PGM_RSRC2:TRAP_HANDLER: 0
; COMPUTE_PGM_RSRC2:TGID_X_EN: 1
; COMPUTE_PGM_RSRC2:TGID_Y_EN: 0
; COMPUTE_PGM_RSRC2:TGID_Z_EN: 0
; COMPUTE_PGM_RSRC2:TIDIG_COMP_CNT: 0
	.section	.text._ZN7rocprim17ROCPRIM_400000_NS6detail17trampoline_kernelINS0_14default_configENS1_22reduce_config_selectorIN6thrust23THRUST_200600_302600_NS5tupleIblNS6_9null_typeES8_S8_S8_S8_S8_S8_S8_EEEEZNS1_11reduce_implILb1ES3_NS6_12zip_iteratorINS7_INS6_11hip_rocprim26transform_input_iterator_tIbNSD_35transform_pair_of_input_iterators_tIbNS6_6detail15normal_iteratorINS6_10device_ptrIKyEEEESL_NS6_8equal_toIyEEEENSG_9not_fun_tINSD_8identityEEEEENSD_19counting_iterator_tIlEES8_S8_S8_S8_S8_S8_S8_S8_EEEEPS9_S9_NSD_9__find_if7functorIS9_EEEE10hipError_tPvRmT1_T2_T3_mT4_P12ihipStream_tbEUlT_E1_NS1_11comp_targetILNS1_3genE8ELNS1_11target_archE1030ELNS1_3gpuE2ELNS1_3repE0EEENS1_30default_config_static_selectorELNS0_4arch9wavefront6targetE0EEEvS14_,"axG",@progbits,_ZN7rocprim17ROCPRIM_400000_NS6detail17trampoline_kernelINS0_14default_configENS1_22reduce_config_selectorIN6thrust23THRUST_200600_302600_NS5tupleIblNS6_9null_typeES8_S8_S8_S8_S8_S8_S8_EEEEZNS1_11reduce_implILb1ES3_NS6_12zip_iteratorINS7_INS6_11hip_rocprim26transform_input_iterator_tIbNSD_35transform_pair_of_input_iterators_tIbNS6_6detail15normal_iteratorINS6_10device_ptrIKyEEEESL_NS6_8equal_toIyEEEENSG_9not_fun_tINSD_8identityEEEEENSD_19counting_iterator_tIlEES8_S8_S8_S8_S8_S8_S8_S8_EEEEPS9_S9_NSD_9__find_if7functorIS9_EEEE10hipError_tPvRmT1_T2_T3_mT4_P12ihipStream_tbEUlT_E1_NS1_11comp_targetILNS1_3genE8ELNS1_11target_archE1030ELNS1_3gpuE2ELNS1_3repE0EEENS1_30default_config_static_selectorELNS0_4arch9wavefront6targetE0EEEvS14_,comdat
	.protected	_ZN7rocprim17ROCPRIM_400000_NS6detail17trampoline_kernelINS0_14default_configENS1_22reduce_config_selectorIN6thrust23THRUST_200600_302600_NS5tupleIblNS6_9null_typeES8_S8_S8_S8_S8_S8_S8_EEEEZNS1_11reduce_implILb1ES3_NS6_12zip_iteratorINS7_INS6_11hip_rocprim26transform_input_iterator_tIbNSD_35transform_pair_of_input_iterators_tIbNS6_6detail15normal_iteratorINS6_10device_ptrIKyEEEESL_NS6_8equal_toIyEEEENSG_9not_fun_tINSD_8identityEEEEENSD_19counting_iterator_tIlEES8_S8_S8_S8_S8_S8_S8_S8_EEEEPS9_S9_NSD_9__find_if7functorIS9_EEEE10hipError_tPvRmT1_T2_T3_mT4_P12ihipStream_tbEUlT_E1_NS1_11comp_targetILNS1_3genE8ELNS1_11target_archE1030ELNS1_3gpuE2ELNS1_3repE0EEENS1_30default_config_static_selectorELNS0_4arch9wavefront6targetE0EEEvS14_ ; -- Begin function _ZN7rocprim17ROCPRIM_400000_NS6detail17trampoline_kernelINS0_14default_configENS1_22reduce_config_selectorIN6thrust23THRUST_200600_302600_NS5tupleIblNS6_9null_typeES8_S8_S8_S8_S8_S8_S8_EEEEZNS1_11reduce_implILb1ES3_NS6_12zip_iteratorINS7_INS6_11hip_rocprim26transform_input_iterator_tIbNSD_35transform_pair_of_input_iterators_tIbNS6_6detail15normal_iteratorINS6_10device_ptrIKyEEEESL_NS6_8equal_toIyEEEENSG_9not_fun_tINSD_8identityEEEEENSD_19counting_iterator_tIlEES8_S8_S8_S8_S8_S8_S8_S8_EEEEPS9_S9_NSD_9__find_if7functorIS9_EEEE10hipError_tPvRmT1_T2_T3_mT4_P12ihipStream_tbEUlT_E1_NS1_11comp_targetILNS1_3genE8ELNS1_11target_archE1030ELNS1_3gpuE2ELNS1_3repE0EEENS1_30default_config_static_selectorELNS0_4arch9wavefront6targetE0EEEvS14_
	.globl	_ZN7rocprim17ROCPRIM_400000_NS6detail17trampoline_kernelINS0_14default_configENS1_22reduce_config_selectorIN6thrust23THRUST_200600_302600_NS5tupleIblNS6_9null_typeES8_S8_S8_S8_S8_S8_S8_EEEEZNS1_11reduce_implILb1ES3_NS6_12zip_iteratorINS7_INS6_11hip_rocprim26transform_input_iterator_tIbNSD_35transform_pair_of_input_iterators_tIbNS6_6detail15normal_iteratorINS6_10device_ptrIKyEEEESL_NS6_8equal_toIyEEEENSG_9not_fun_tINSD_8identityEEEEENSD_19counting_iterator_tIlEES8_S8_S8_S8_S8_S8_S8_S8_EEEEPS9_S9_NSD_9__find_if7functorIS9_EEEE10hipError_tPvRmT1_T2_T3_mT4_P12ihipStream_tbEUlT_E1_NS1_11comp_targetILNS1_3genE8ELNS1_11target_archE1030ELNS1_3gpuE2ELNS1_3repE0EEENS1_30default_config_static_selectorELNS0_4arch9wavefront6targetE0EEEvS14_
	.p2align	8
	.type	_ZN7rocprim17ROCPRIM_400000_NS6detail17trampoline_kernelINS0_14default_configENS1_22reduce_config_selectorIN6thrust23THRUST_200600_302600_NS5tupleIblNS6_9null_typeES8_S8_S8_S8_S8_S8_S8_EEEEZNS1_11reduce_implILb1ES3_NS6_12zip_iteratorINS7_INS6_11hip_rocprim26transform_input_iterator_tIbNSD_35transform_pair_of_input_iterators_tIbNS6_6detail15normal_iteratorINS6_10device_ptrIKyEEEESL_NS6_8equal_toIyEEEENSG_9not_fun_tINSD_8identityEEEEENSD_19counting_iterator_tIlEES8_S8_S8_S8_S8_S8_S8_S8_EEEEPS9_S9_NSD_9__find_if7functorIS9_EEEE10hipError_tPvRmT1_T2_T3_mT4_P12ihipStream_tbEUlT_E1_NS1_11comp_targetILNS1_3genE8ELNS1_11target_archE1030ELNS1_3gpuE2ELNS1_3repE0EEENS1_30default_config_static_selectorELNS0_4arch9wavefront6targetE0EEEvS14_,@function
_ZN7rocprim17ROCPRIM_400000_NS6detail17trampoline_kernelINS0_14default_configENS1_22reduce_config_selectorIN6thrust23THRUST_200600_302600_NS5tupleIblNS6_9null_typeES8_S8_S8_S8_S8_S8_S8_EEEEZNS1_11reduce_implILb1ES3_NS6_12zip_iteratorINS7_INS6_11hip_rocprim26transform_input_iterator_tIbNSD_35transform_pair_of_input_iterators_tIbNS6_6detail15normal_iteratorINS6_10device_ptrIKyEEEESL_NS6_8equal_toIyEEEENSG_9not_fun_tINSD_8identityEEEEENSD_19counting_iterator_tIlEES8_S8_S8_S8_S8_S8_S8_S8_EEEEPS9_S9_NSD_9__find_if7functorIS9_EEEE10hipError_tPvRmT1_T2_T3_mT4_P12ihipStream_tbEUlT_E1_NS1_11comp_targetILNS1_3genE8ELNS1_11target_archE1030ELNS1_3gpuE2ELNS1_3repE0EEENS1_30default_config_static_selectorELNS0_4arch9wavefront6targetE0EEEvS14_: ; @_ZN7rocprim17ROCPRIM_400000_NS6detail17trampoline_kernelINS0_14default_configENS1_22reduce_config_selectorIN6thrust23THRUST_200600_302600_NS5tupleIblNS6_9null_typeES8_S8_S8_S8_S8_S8_S8_EEEEZNS1_11reduce_implILb1ES3_NS6_12zip_iteratorINS7_INS6_11hip_rocprim26transform_input_iterator_tIbNSD_35transform_pair_of_input_iterators_tIbNS6_6detail15normal_iteratorINS6_10device_ptrIKyEEEESL_NS6_8equal_toIyEEEENSG_9not_fun_tINSD_8identityEEEEENSD_19counting_iterator_tIlEES8_S8_S8_S8_S8_S8_S8_S8_EEEEPS9_S9_NSD_9__find_if7functorIS9_EEEE10hipError_tPvRmT1_T2_T3_mT4_P12ihipStream_tbEUlT_E1_NS1_11comp_targetILNS1_3genE8ELNS1_11target_archE1030ELNS1_3gpuE2ELNS1_3repE0EEENS1_30default_config_static_selectorELNS0_4arch9wavefront6targetE0EEEvS14_
; %bb.0:
	s_clause 0x4
	s_load_dword s25, s[4:5], 0x4
	s_load_dwordx4 s[16:19], s[4:5], 0x8
	s_load_dwordx4 s[12:15], s[4:5], 0x28
	s_load_dword s24, s[4:5], 0x40
	s_load_dwordx2 s[20:21], s[4:5], 0x48
	s_waitcnt lgkmcnt(0)
	s_cmp_lt_i32 s25, 4
	s_cbranch_scc1 .LBB131_21
; %bb.1:
	s_cmp_gt_i32 s25, 7
	s_cbranch_scc0 .LBB131_22
; %bb.2:
	s_cmp_eq_u32 s25, 8
	s_mov_b32 s26, 0
	s_cbranch_scc0 .LBB131_23
; %bb.3:
	s_mov_b32 s7, 0
	s_lshl_b32 s8, s6, 11
	s_mov_b32 s9, s7
	s_lshr_b64 s[2:3], s[14:15], 11
	s_lshl_b64 s[0:1], s[8:9], 3
	s_add_u32 s10, s16, s0
	s_addc_u32 s11, s17, s1
	s_add_u32 s22, s18, s0
	s_addc_u32 s23, s19, s1
	s_add_u32 s28, s12, s8
	s_addc_u32 s29, s13, 0
	s_cmp_lg_u64 s[2:3], s[6:7]
	s_cbranch_scc0 .LBB131_44
; %bb.4:
	v_lshlrev_b32_e32 v7, 3, v0
	v_mov_b32_e32 v33, 0x100
	v_mov_b32_e32 v34, 0x300
	;; [unrolled: 1-line block ×3, first 2 shown]
	v_add_co_u32 v29, s0, s10, v7
	v_add_co_ci_u32_e64 v30, null, s11, 0, s0
	v_add_co_u32 v31, s0, s22, v7
	v_add_co_ci_u32_e64 v32, null, s23, 0, s0
	v_add_co_u32 v1, vcc_lo, v29, 0x1000
	v_add_co_ci_u32_e64 v2, null, 0, v30, vcc_lo
	v_add_co_u32 v3, vcc_lo, v31, 0x1000
	v_add_co_ci_u32_e64 v4, null, 0, v32, vcc_lo
	v_add_co_u32 v13, vcc_lo, v29, 0x2000
	s_clause 0x1
	global_load_dwordx2 v[5:6], v7, s[10:11]
	global_load_dwordx2 v[7:8], v7, s[22:23]
	s_clause 0x1
	global_load_dwordx2 v[9:10], v[1:2], off offset:-2048
	global_load_dwordx2 v[1:2], v[1:2], off
	s_clause 0x1
	global_load_dwordx2 v[11:12], v[3:4], off offset:-2048
	global_load_dwordx2 v[3:4], v[3:4], off
	v_add_co_ci_u32_e64 v14, null, 0, v30, vcc_lo
	v_add_co_u32 v15, vcc_lo, v31, 0x2000
	v_add_co_ci_u32_e64 v16, null, 0, v32, vcc_lo
	v_add_co_u32 v19, vcc_lo, v29, 0x3000
	v_add_co_ci_u32_e64 v20, null, 0, v30, vcc_lo
	v_add_co_u32 v21, vcc_lo, v31, 0x3000
	s_clause 0x1
	global_load_dwordx2 v[17:18], v[13:14], off offset:-2048
	global_load_dwordx2 v[13:14], v[13:14], off
	v_add_co_ci_u32_e64 v22, null, 0, v32, vcc_lo
	s_clause 0x2
	global_load_dwordx2 v[23:24], v[15:16], off
	global_load_dwordx2 v[15:16], v[15:16], off offset:-2048
	global_load_dwordx2 v[25:26], v[21:22], off offset:-2048
	s_clause 0x1
	global_load_dwordx2 v[27:28], v[19:20], off offset:-2048
	global_load_dwordx2 v[19:20], v[19:20], off
	global_load_dwordx2 v[21:22], v[21:22], off
	v_add_co_u32 v29, vcc_lo, 0x3800, v29
	v_add_co_ci_u32_e64 v30, null, 0, v30, vcc_lo
	v_add_co_u32 v31, vcc_lo, 0x3800, v31
	v_add_co_ci_u32_e64 v32, null, 0, v32, vcc_lo
	global_load_dwordx2 v[29:30], v[29:30], off
	global_load_dwordx2 v[31:32], v[31:32], off
	s_waitcnt vmcnt(14)
	v_cmp_ne_u64_e64 s0, v[5:6], v[7:8]
	s_waitcnt vmcnt(11)
	v_cmp_ne_u64_e32 vcc_lo, v[9:10], v[11:12]
	s_waitcnt vmcnt(10)
	v_cmp_ne_u64_e64 s1, v[1:2], v[3:4]
	v_cndmask_b32_e32 v9, 0x200, v33, vcc_lo
	v_cndmask_b32_e64 v2, v9, 0, s0
	s_or_b32 s0, s0, vcc_lo
	s_waitcnt vmcnt(6)
	v_cmp_ne_u64_e64 s3, v[17:18], v[15:16]
	v_cmp_ne_u64_e64 s2, v[13:14], v[23:24]
	s_waitcnt vmcnt(4)
	v_cmp_ne_u64_e32 vcc_lo, v[27:28], v[25:26]
	s_or_b32 s0, s0, s1
	v_cndmask_b32_e64 v1, 0x400, v34, s3
	s_or_b32 s1, s0, s3
	v_cndmask_b32_e32 v3, 0x600, v35, vcc_lo
	s_or_b32 s1, s1, s2
	v_cndmask_b32_e64 v1, v1, v2, s0
	s_waitcnt vmcnt(2)
	v_cmp_ne_u64_e64 s0, v[19:20], v[21:22]
	v_cndmask_b32_e64 v1, v3, v1, s1
	s_or_b32 s1, s1, vcc_lo
	s_or_b32 vcc_lo, s1, s0
	v_add_co_u32 v2, s0, s28, v0
	v_cndmask_b32_e32 v1, 0x700, v1, vcc_lo
	v_add_co_ci_u32_e64 v3, null, s29, 0, s0
	s_waitcnt vmcnt(0)
	v_cmp_ne_u64_e64 s0, v[29:30], v[31:32]
	v_add_co_u32 v1, s1, v2, v1
	v_add_co_ci_u32_e64 v2, null, 0, v3, s1
	s_or_b32 s0, vcc_lo, s0
	v_mov_b32_dpp v3, v1 quad_perm:[1,0,3,2] row_mask:0xf bank_mask:0xf
	v_cndmask_b32_e64 v5, 0, 1, s0
	v_mov_b32_dpp v4, v2 quad_perm:[1,0,3,2] row_mask:0xf bank_mask:0xf
	v_mov_b32_dpp v6, v5 quad_perm:[1,0,3,2] row_mask:0xf bank_mask:0xf
	v_cmp_lt_i64_e32 vcc_lo, v[1:2], v[3:4]
	v_and_b32_e32 v6, 1, v6
	s_and_b32 vcc_lo, s0, vcc_lo
	v_cndmask_b32_e32 v3, v3, v1, vcc_lo
	v_cndmask_b32_e32 v4, v4, v2, vcc_lo
	v_cmp_eq_u32_e32 vcc_lo, 1, v6
	v_cndmask_b32_e32 v2, v2, v4, vcc_lo
	v_cndmask_b32_e32 v1, v1, v3, vcc_lo
	v_cndmask_b32_e64 v5, v5, 1, vcc_lo
	v_mov_b32_dpp v4, v2 quad_perm:[2,3,0,1] row_mask:0xf bank_mask:0xf
	v_mov_b32_dpp v3, v1 quad_perm:[2,3,0,1] row_mask:0xf bank_mask:0xf
	v_and_b32_e32 v7, 1, v5
	v_mov_b32_dpp v6, v5 quad_perm:[2,3,0,1] row_mask:0xf bank_mask:0xf
	v_cmp_lt_i64_e32 vcc_lo, v[1:2], v[3:4]
	v_cmp_eq_u32_e64 s0, 1, v7
	v_and_b32_e32 v6, 1, v6
	s_and_b32 vcc_lo, s0, vcc_lo
	v_cmp_eq_u32_e64 s1, 1, v6
	v_cndmask_b32_e32 v3, v3, v1, vcc_lo
	v_cndmask_b32_e32 v4, v4, v2, vcc_lo
	v_cndmask_b32_e64 v5, v5, 1, s1
	v_cndmask_b32_e64 v1, v1, v3, s1
	;; [unrolled: 1-line block ×3, first 2 shown]
	v_and_b32_e32 v7, 1, v5
	v_mov_b32_dpp v3, v1 row_ror:4 row_mask:0xf bank_mask:0xf
	v_mov_b32_dpp v4, v2 row_ror:4 row_mask:0xf bank_mask:0xf
	v_mov_b32_dpp v6, v5 row_ror:4 row_mask:0xf bank_mask:0xf
	v_cmp_eq_u32_e64 s0, 1, v7
	v_cmp_lt_i64_e32 vcc_lo, v[1:2], v[3:4]
	v_and_b32_e32 v6, 1, v6
	s_and_b32 vcc_lo, s0, vcc_lo
	v_cmp_eq_u32_e64 s1, 1, v6
	v_cndmask_b32_e32 v3, v3, v1, vcc_lo
	v_cndmask_b32_e32 v4, v4, v2, vcc_lo
	v_cndmask_b32_e64 v5, v5, 1, s1
	v_cndmask_b32_e64 v1, v1, v3, s1
	;; [unrolled: 1-line block ×3, first 2 shown]
	v_and_b32_e32 v7, 1, v5
	v_mov_b32_dpp v3, v1 row_ror:8 row_mask:0xf bank_mask:0xf
	v_mov_b32_dpp v4, v2 row_ror:8 row_mask:0xf bank_mask:0xf
	;; [unrolled: 1-line block ×3, first 2 shown]
	v_cmp_eq_u32_e64 s0, 1, v7
	v_cmp_lt_i64_e32 vcc_lo, v[1:2], v[3:4]
	v_and_b32_e32 v6, 1, v6
	s_and_b32 vcc_lo, s0, vcc_lo
	v_cmp_eq_u32_e64 s1, 1, v6
	v_cndmask_b32_e32 v3, v3, v1, vcc_lo
	v_cndmask_b32_e32 v4, v4, v2, vcc_lo
	v_cndmask_b32_e64 v5, v5, 1, s1
	v_cndmask_b32_e64 v1, v1, v3, s1
	;; [unrolled: 1-line block ×3, first 2 shown]
	ds_swizzle_b32 v6, v5 offset:swizzle(BROADCAST,32,15)
	ds_swizzle_b32 v3, v1 offset:swizzle(BROADCAST,32,15)
	;; [unrolled: 1-line block ×3, first 2 shown]
	v_and_b32_e32 v7, 1, v5
	v_cmp_eq_u32_e64 s0, 1, v7
	v_mbcnt_lo_u32_b32 v7, -1, 0
	s_waitcnt lgkmcnt(2)
	v_and_b32_e32 v6, 1, v6
	s_waitcnt lgkmcnt(0)
	v_cmp_lt_i64_e32 vcc_lo, v[1:2], v[3:4]
	v_cmp_eq_u32_e64 s1, 1, v6
	v_mov_b32_e32 v6, 0
	s_and_b32 vcc_lo, s0, vcc_lo
	s_mov_b32 s0, exec_lo
	v_cndmask_b32_e32 v3, v3, v1, vcc_lo
	v_cndmask_b32_e32 v4, v4, v2, vcc_lo
	v_cndmask_b32_e64 v5, v5, 1, s1
	v_cndmask_b32_e64 v1, v1, v3, s1
	v_cndmask_b32_e64 v2, v2, v4, s1
	ds_bpermute_b32 v17, v6, v5 offset:124
	ds_bpermute_b32 v1, v6, v1 offset:124
	;; [unrolled: 1-line block ×3, first 2 shown]
	v_cmpx_eq_u32_e32 0, v7
	s_cbranch_execz .LBB131_6
; %bb.5:
	v_lshrrev_b32_e32 v3, 1, v0
	v_and_b32_e32 v3, 0x70, v3
	s_waitcnt lgkmcnt(2)
	ds_write_b8 v3, v17 offset:384
	s_waitcnt lgkmcnt(1)
	ds_write_b64 v3, v[1:2] offset:392
.LBB131_6:
	s_or_b32 exec_lo, exec_lo, s0
	s_mov_b32 s0, exec_lo
	s_waitcnt lgkmcnt(0)
	s_barrier
	buffer_gl0_inv
	v_cmpx_gt_u32_e32 32, v0
	s_cbranch_execz .LBB131_20
; %bb.7:
	v_and_b32_e32 v8, 7, v7
	v_lshlrev_b32_e32 v1, 4, v8
	v_cmp_ne_u32_e32 vcc_lo, 7, v8
	ds_read_u8 v10, v1 offset:384
	ds_read_b64 v[3:4], v1 offset:392
	v_add_co_ci_u32_e64 v2, null, 0, v7, vcc_lo
	v_lshlrev_b32_e32 v2, 2, v2
	s_waitcnt lgkmcnt(1)
	v_and_b32_e32 v1, 0xff, v10
	s_waitcnt lgkmcnt(0)
	ds_bpermute_b32 v5, v2, v3
	ds_bpermute_b32 v6, v2, v4
	;; [unrolled: 1-line block ×3, first 2 shown]
	s_waitcnt lgkmcnt(0)
	v_and_b32_e32 v1, v10, v11
	v_and_b32_e32 v1, 1, v1
	v_cmp_eq_u32_e32 vcc_lo, 1, v1
                                        ; implicit-def: $vgpr1_vgpr2
	s_and_saveexec_b32 s1, vcc_lo
	s_xor_b32 s1, exec_lo, s1
; %bb.8:
	v_cmp_lt_i64_e32 vcc_lo, v[5:6], v[3:4]
                                        ; implicit-def: $vgpr10
                                        ; implicit-def: $vgpr11
	v_cndmask_b32_e32 v2, v4, v6, vcc_lo
	v_cndmask_b32_e32 v1, v3, v5, vcc_lo
                                        ; implicit-def: $vgpr5_vgpr6
                                        ; implicit-def: $vgpr3_vgpr4
; %bb.9:
	s_or_saveexec_b32 s1, s1
	v_mov_b32_e32 v9, 1
	s_xor_b32 exec_lo, exec_lo, s1
; %bb.10:
	v_and_b32_e32 v1, 1, v10
	v_and_b32_e32 v9, 0xff, v11
	v_cmp_eq_u32_e32 vcc_lo, 1, v1
	v_cndmask_b32_e32 v2, v6, v4, vcc_lo
	v_cndmask_b32_e32 v1, v5, v3, vcc_lo
	v_cndmask_b32_e64 v9, v9, 1, vcc_lo
; %bb.11:
	s_or_b32 exec_lo, exec_lo, s1
	v_cmp_gt_u32_e32 vcc_lo, 6, v8
	v_cndmask_b32_e64 v3, 0, 2, vcc_lo
	v_add_lshl_u32 v3, v3, v7, 2
	ds_bpermute_b32 v8, v3, v9
	ds_bpermute_b32 v5, v3, v1
	;; [unrolled: 1-line block ×3, first 2 shown]
	s_waitcnt lgkmcnt(2)
	v_and_b32_e32 v3, v9, v8
	v_and_b32_e32 v3, 1, v3
	v_cmp_eq_u32_e32 vcc_lo, 1, v3
                                        ; implicit-def: $vgpr3_vgpr4
	s_and_saveexec_b32 s1, vcc_lo
	s_xor_b32 s1, exec_lo, s1
	s_cbranch_execz .LBB131_13
; %bb.12:
	s_waitcnt lgkmcnt(0)
	v_cmp_lt_i64_e32 vcc_lo, v[5:6], v[1:2]
                                        ; implicit-def: $vgpr9
                                        ; implicit-def: $vgpr8
	v_cndmask_b32_e32 v4, v2, v6, vcc_lo
	v_cndmask_b32_e32 v3, v1, v5, vcc_lo
                                        ; implicit-def: $vgpr5_vgpr6
                                        ; implicit-def: $vgpr1_vgpr2
.LBB131_13:
	s_or_saveexec_b32 s1, s1
	v_lshlrev_b32_e32 v10, 2, v7
	v_mov_b32_e32 v7, 1
	s_xor_b32 exec_lo, exec_lo, s1
	s_cbranch_execz .LBB131_15
; %bb.14:
	v_and_b32_e32 v3, 1, v9
	v_and_b32_e32 v7, 0xff, v8
	v_cmp_eq_u32_e32 vcc_lo, 1, v3
	s_waitcnt lgkmcnt(0)
	v_cndmask_b32_e32 v4, v6, v2, vcc_lo
	v_cndmask_b32_e32 v3, v5, v1, vcc_lo
	v_cndmask_b32_e64 v7, v7, 1, vcc_lo
.LBB131_15:
	s_or_b32 exec_lo, exec_lo, s1
	v_or_b32_e32 v1, 16, v10
	ds_bpermute_b32 v8, v1, v7
	s_waitcnt lgkmcnt(2)
	ds_bpermute_b32 v5, v1, v3
	s_waitcnt lgkmcnt(2)
	;; [unrolled: 2-line block ×3, first 2 shown]
	v_and_b32_e32 v1, v7, v8
	v_and_b32_e32 v1, 1, v1
	v_cmp_eq_u32_e32 vcc_lo, 1, v1
                                        ; implicit-def: $vgpr1_vgpr2
	s_and_saveexec_b32 s1, vcc_lo
	s_xor_b32 s1, exec_lo, s1
	s_cbranch_execz .LBB131_17
; %bb.16:
	s_waitcnt lgkmcnt(0)
	v_cmp_lt_i64_e32 vcc_lo, v[5:6], v[3:4]
                                        ; implicit-def: $vgpr7
                                        ; implicit-def: $vgpr8
	v_cndmask_b32_e32 v2, v4, v6, vcc_lo
	v_cndmask_b32_e32 v1, v3, v5, vcc_lo
                                        ; implicit-def: $vgpr5_vgpr6
                                        ; implicit-def: $vgpr3_vgpr4
.LBB131_17:
	s_or_saveexec_b32 s1, s1
	v_mov_b32_e32 v17, 1
	s_xor_b32 exec_lo, exec_lo, s1
	s_cbranch_execz .LBB131_19
; %bb.18:
	v_and_b32_e32 v1, 1, v7
	v_cmp_eq_u32_e32 vcc_lo, 1, v1
	s_waitcnt lgkmcnt(0)
	v_cndmask_b32_e32 v2, v6, v4, vcc_lo
	v_cndmask_b32_e32 v1, v5, v3, vcc_lo
	v_cndmask_b32_e64 v17, v8, 1, vcc_lo
.LBB131_19:
	s_or_b32 exec_lo, exec_lo, s1
.LBB131_20:
	s_or_b32 exec_lo, exec_lo, s0
	s_branch .LBB131_167
.LBB131_21:
	s_mov_b32 s22, 0
                                        ; implicit-def: $vgpr3_vgpr4
                                        ; implicit-def: $vgpr5
                                        ; implicit-def: $vgpr1_vgpr2
	s_cbranch_execnz .LBB131_247
	s_branch .LBB131_356
.LBB131_22:
	s_mov_b32 s26, -1
.LBB131_23:
	s_mov_b32 s22, 0
                                        ; implicit-def: $vgpr3_vgpr4
                                        ; implicit-def: $vgpr5
                                        ; implicit-def: $vgpr1_vgpr2
	s_and_b32 vcc_lo, exec_lo, s26
	s_cbranch_vccz .LBB131_172
.LBB131_24:
	s_cmp_eq_u32 s25, 4
	s_cbranch_scc0 .LBB131_43
; %bb.25:
	s_mov_b32 s7, 0
	s_lshl_b32 s10, s6, 10
	s_mov_b32 s11, s7
	s_lshr_b64 s[26:27], s[14:15], 10
	s_lshl_b64 s[0:1], s[10:11], 3
	s_add_u32 s2, s16, s0
	s_addc_u32 s3, s17, s1
	s_add_u32 s8, s18, s0
	s_addc_u32 s9, s19, s1
	;; [unrolled: 2-line block ×3, first 2 shown]
	s_cmp_lg_u64 s[26:27], s[6:7]
	s_cbranch_scc0 .LBB131_67
; %bb.26:
	v_lshlrev_b32_e32 v11, 3, v0
	v_mov_b32_e32 v17, 0x100
	v_add_co_u32 v13, s0, s2, v11
	v_add_co_ci_u32_e64 v14, null, s3, 0, s0
	v_add_co_u32 v15, s0, s8, v11
	v_add_co_ci_u32_e64 v16, null, s9, 0, s0
	v_add_co_u32 v1, vcc_lo, v13, 0x1000
	v_add_co_ci_u32_e64 v2, null, 0, v14, vcc_lo
	s_waitcnt lgkmcnt(1)
	v_add_co_u32 v3, vcc_lo, v15, 0x1000
	s_waitcnt lgkmcnt(0)
	v_add_co_ci_u32_e64 v4, null, 0, v16, vcc_lo
	global_load_dwordx2 v[5:6], v[1:2], off offset:-2048
	global_load_dwordx2 v[7:8], v[3:4], off offset:-2048
	s_clause 0x1
	global_load_dwordx2 v[9:10], v11, s[2:3]
	global_load_dwordx2 v[11:12], v11, s[8:9]
	global_load_dwordx2 v[1:2], v[1:2], off
	global_load_dwordx2 v[3:4], v[3:4], off
	v_add_co_u32 v13, vcc_lo, 0x1800, v13
	v_add_co_ci_u32_e64 v14, null, 0, v14, vcc_lo
	v_add_co_u32 v15, vcc_lo, 0x1800, v15
	v_add_co_ci_u32_e64 v16, null, 0, v16, vcc_lo
	global_load_dwordx2 v[13:14], v[13:14], off
	global_load_dwordx2 v[15:16], v[15:16], off
	s_waitcnt vmcnt(6)
	v_cmp_ne_u64_e32 vcc_lo, v[5:6], v[7:8]
	s_waitcnt vmcnt(4)
	v_cmp_ne_u64_e64 s0, v[9:10], v[11:12]
	s_waitcnt vmcnt(2)
	v_cmp_ne_u64_e64 s1, v[1:2], v[3:4]
	v_cndmask_b32_e32 v5, 0x200, v17, vcc_lo
	v_cndmask_b32_e64 v1, v5, 0, s0
	s_or_b32 s0, s0, vcc_lo
	s_or_b32 vcc_lo, s0, s1
	v_add_co_u32 v2, s0, s11, v0
	v_cndmask_b32_e32 v1, 0x300, v1, vcc_lo
	v_add_co_ci_u32_e64 v3, null, s23, 0, s0
	s_waitcnt vmcnt(0)
	v_cmp_ne_u64_e64 s0, v[13:14], v[15:16]
	v_add_co_u32 v1, s1, v2, v1
	v_add_co_ci_u32_e64 v2, null, 0, v3, s1
	s_or_b32 s0, vcc_lo, s0
	v_mov_b32_dpp v3, v1 quad_perm:[1,0,3,2] row_mask:0xf bank_mask:0xf
	v_cndmask_b32_e64 v5, 0, 1, s0
	v_mov_b32_dpp v4, v2 quad_perm:[1,0,3,2] row_mask:0xf bank_mask:0xf
	v_mov_b32_dpp v6, v5 quad_perm:[1,0,3,2] row_mask:0xf bank_mask:0xf
	v_cmp_lt_i64_e32 vcc_lo, v[1:2], v[3:4]
	v_and_b32_e32 v6, 1, v6
	s_and_b32 vcc_lo, s0, vcc_lo
	v_cndmask_b32_e32 v3, v3, v1, vcc_lo
	v_cndmask_b32_e32 v4, v4, v2, vcc_lo
	v_cmp_eq_u32_e32 vcc_lo, 1, v6
	v_cndmask_b32_e32 v2, v2, v4, vcc_lo
	v_cndmask_b32_e32 v1, v1, v3, vcc_lo
	v_cndmask_b32_e64 v5, v5, 1, vcc_lo
	v_mov_b32_dpp v4, v2 quad_perm:[2,3,0,1] row_mask:0xf bank_mask:0xf
	v_mov_b32_dpp v3, v1 quad_perm:[2,3,0,1] row_mask:0xf bank_mask:0xf
	v_and_b32_e32 v7, 1, v5
	v_mov_b32_dpp v6, v5 quad_perm:[2,3,0,1] row_mask:0xf bank_mask:0xf
	v_cmp_lt_i64_e32 vcc_lo, v[1:2], v[3:4]
	v_cmp_eq_u32_e64 s0, 1, v7
	v_and_b32_e32 v6, 1, v6
	s_and_b32 vcc_lo, s0, vcc_lo
	v_cmp_eq_u32_e64 s1, 1, v6
	v_cndmask_b32_e32 v3, v3, v1, vcc_lo
	v_cndmask_b32_e32 v4, v4, v2, vcc_lo
	v_cndmask_b32_e64 v5, v5, 1, s1
	v_cndmask_b32_e64 v1, v1, v3, s1
	;; [unrolled: 1-line block ×3, first 2 shown]
	v_and_b32_e32 v7, 1, v5
	v_mov_b32_dpp v3, v1 row_ror:4 row_mask:0xf bank_mask:0xf
	v_mov_b32_dpp v4, v2 row_ror:4 row_mask:0xf bank_mask:0xf
	;; [unrolled: 1-line block ×3, first 2 shown]
	v_cmp_eq_u32_e64 s0, 1, v7
	v_cmp_lt_i64_e32 vcc_lo, v[1:2], v[3:4]
	v_and_b32_e32 v6, 1, v6
	s_and_b32 vcc_lo, s0, vcc_lo
	v_cmp_eq_u32_e64 s1, 1, v6
	v_cndmask_b32_e32 v3, v3, v1, vcc_lo
	v_cndmask_b32_e32 v4, v4, v2, vcc_lo
	v_cndmask_b32_e64 v5, v5, 1, s1
	v_cndmask_b32_e64 v1, v1, v3, s1
	;; [unrolled: 1-line block ×3, first 2 shown]
	v_and_b32_e32 v7, 1, v5
	v_mov_b32_dpp v3, v1 row_ror:8 row_mask:0xf bank_mask:0xf
	v_mov_b32_dpp v4, v2 row_ror:8 row_mask:0xf bank_mask:0xf
	;; [unrolled: 1-line block ×3, first 2 shown]
	v_cmp_eq_u32_e64 s0, 1, v7
	v_cmp_lt_i64_e32 vcc_lo, v[1:2], v[3:4]
	v_and_b32_e32 v6, 1, v6
	s_and_b32 vcc_lo, s0, vcc_lo
	v_cmp_eq_u32_e64 s1, 1, v6
	v_cndmask_b32_e32 v3, v3, v1, vcc_lo
	v_cndmask_b32_e32 v4, v4, v2, vcc_lo
	v_cndmask_b32_e64 v5, v5, 1, s1
	v_cndmask_b32_e64 v1, v1, v3, s1
	;; [unrolled: 1-line block ×3, first 2 shown]
	ds_swizzle_b32 v6, v5 offset:swizzle(BROADCAST,32,15)
	ds_swizzle_b32 v3, v1 offset:swizzle(BROADCAST,32,15)
	;; [unrolled: 1-line block ×3, first 2 shown]
	v_and_b32_e32 v7, 1, v5
	v_cmp_eq_u32_e64 s0, 1, v7
	v_mbcnt_lo_u32_b32 v7, -1, 0
	s_waitcnt lgkmcnt(2)
	v_and_b32_e32 v6, 1, v6
	s_waitcnt lgkmcnt(0)
	v_cmp_lt_i64_e32 vcc_lo, v[1:2], v[3:4]
	v_cmp_eq_u32_e64 s1, 1, v6
	v_mov_b32_e32 v6, 0
	s_and_b32 vcc_lo, s0, vcc_lo
	s_mov_b32 s0, exec_lo
	v_cndmask_b32_e32 v3, v3, v1, vcc_lo
	v_cndmask_b32_e32 v4, v4, v2, vcc_lo
	v_cndmask_b32_e64 v5, v5, 1, s1
	v_cndmask_b32_e64 v1, v1, v3, s1
	;; [unrolled: 1-line block ×3, first 2 shown]
	ds_bpermute_b32 v9, v6, v5 offset:124
	ds_bpermute_b32 v1, v6, v1 offset:124
	;; [unrolled: 1-line block ×3, first 2 shown]
	v_cmpx_eq_u32_e32 0, v7
	s_cbranch_execz .LBB131_28
; %bb.27:
	v_lshrrev_b32_e32 v3, 1, v0
	v_and_b32_e32 v3, 0x70, v3
	s_waitcnt lgkmcnt(2)
	ds_write_b8 v3, v9 offset:256
	s_waitcnt lgkmcnt(1)
	ds_write_b64 v3, v[1:2] offset:264
.LBB131_28:
	s_or_b32 exec_lo, exec_lo, s0
	s_mov_b32 s0, exec_lo
	s_waitcnt lgkmcnt(0)
	s_barrier
	buffer_gl0_inv
	v_cmpx_gt_u32_e32 32, v0
	s_cbranch_execz .LBB131_42
; %bb.29:
	v_and_b32_e32 v8, 7, v7
	v_lshlrev_b32_e32 v1, 4, v8
	v_cmp_ne_u32_e32 vcc_lo, 7, v8
	ds_read_u8 v10, v1 offset:256
	ds_read_b64 v[3:4], v1 offset:264
	v_add_co_ci_u32_e64 v2, null, 0, v7, vcc_lo
	v_lshlrev_b32_e32 v2, 2, v2
	s_waitcnt lgkmcnt(1)
	v_and_b32_e32 v1, 0xff, v10
	s_waitcnt lgkmcnt(0)
	ds_bpermute_b32 v5, v2, v3
	ds_bpermute_b32 v6, v2, v4
	;; [unrolled: 1-line block ×3, first 2 shown]
	s_waitcnt lgkmcnt(0)
	v_and_b32_e32 v1, v10, v11
	v_and_b32_e32 v1, 1, v1
	v_cmp_eq_u32_e32 vcc_lo, 1, v1
                                        ; implicit-def: $vgpr1_vgpr2
	s_and_saveexec_b32 s1, vcc_lo
	s_xor_b32 s1, exec_lo, s1
; %bb.30:
	v_cmp_lt_i64_e32 vcc_lo, v[5:6], v[3:4]
                                        ; implicit-def: $vgpr10
                                        ; implicit-def: $vgpr11
	v_cndmask_b32_e32 v2, v4, v6, vcc_lo
	v_cndmask_b32_e32 v1, v3, v5, vcc_lo
                                        ; implicit-def: $vgpr5_vgpr6
                                        ; implicit-def: $vgpr3_vgpr4
; %bb.31:
	s_or_saveexec_b32 s1, s1
	v_mov_b32_e32 v9, 1
	s_xor_b32 exec_lo, exec_lo, s1
; %bb.32:
	v_and_b32_e32 v1, 1, v10
	v_and_b32_e32 v9, 0xff, v11
	v_cmp_eq_u32_e32 vcc_lo, 1, v1
	v_cndmask_b32_e32 v2, v6, v4, vcc_lo
	v_cndmask_b32_e32 v1, v5, v3, vcc_lo
	v_cndmask_b32_e64 v9, v9, 1, vcc_lo
; %bb.33:
	s_or_b32 exec_lo, exec_lo, s1
	v_cmp_gt_u32_e32 vcc_lo, 6, v8
	v_cndmask_b32_e64 v3, 0, 2, vcc_lo
	v_add_lshl_u32 v3, v3, v7, 2
	ds_bpermute_b32 v8, v3, v9
	ds_bpermute_b32 v5, v3, v1
	;; [unrolled: 1-line block ×3, first 2 shown]
	s_waitcnt lgkmcnt(2)
	v_and_b32_e32 v3, v9, v8
	v_and_b32_e32 v3, 1, v3
	v_cmp_eq_u32_e32 vcc_lo, 1, v3
                                        ; implicit-def: $vgpr3_vgpr4
	s_and_saveexec_b32 s1, vcc_lo
	s_xor_b32 s1, exec_lo, s1
	s_cbranch_execz .LBB131_35
; %bb.34:
	s_waitcnt lgkmcnt(0)
	v_cmp_lt_i64_e32 vcc_lo, v[5:6], v[1:2]
                                        ; implicit-def: $vgpr9
                                        ; implicit-def: $vgpr8
	v_cndmask_b32_e32 v4, v2, v6, vcc_lo
	v_cndmask_b32_e32 v3, v1, v5, vcc_lo
                                        ; implicit-def: $vgpr5_vgpr6
                                        ; implicit-def: $vgpr1_vgpr2
.LBB131_35:
	s_or_saveexec_b32 s1, s1
	v_lshlrev_b32_e32 v10, 2, v7
	v_mov_b32_e32 v7, 1
	s_xor_b32 exec_lo, exec_lo, s1
	s_cbranch_execz .LBB131_37
; %bb.36:
	v_and_b32_e32 v3, 1, v9
	v_and_b32_e32 v7, 0xff, v8
	v_cmp_eq_u32_e32 vcc_lo, 1, v3
	s_waitcnt lgkmcnt(0)
	v_cndmask_b32_e32 v4, v6, v2, vcc_lo
	v_cndmask_b32_e32 v3, v5, v1, vcc_lo
	v_cndmask_b32_e64 v7, v7, 1, vcc_lo
.LBB131_37:
	s_or_b32 exec_lo, exec_lo, s1
	v_or_b32_e32 v1, 16, v10
	ds_bpermute_b32 v8, v1, v7
	s_waitcnt lgkmcnt(2)
	ds_bpermute_b32 v5, v1, v3
	s_waitcnt lgkmcnt(2)
	;; [unrolled: 2-line block ×3, first 2 shown]
	v_and_b32_e32 v1, v7, v8
	v_and_b32_e32 v1, 1, v1
	v_cmp_eq_u32_e32 vcc_lo, 1, v1
                                        ; implicit-def: $vgpr1_vgpr2
	s_and_saveexec_b32 s1, vcc_lo
	s_xor_b32 s1, exec_lo, s1
	s_cbranch_execz .LBB131_39
; %bb.38:
	s_waitcnt lgkmcnt(0)
	v_cmp_lt_i64_e32 vcc_lo, v[5:6], v[3:4]
                                        ; implicit-def: $vgpr7
                                        ; implicit-def: $vgpr8
	v_cndmask_b32_e32 v2, v4, v6, vcc_lo
	v_cndmask_b32_e32 v1, v3, v5, vcc_lo
                                        ; implicit-def: $vgpr5_vgpr6
                                        ; implicit-def: $vgpr3_vgpr4
.LBB131_39:
	s_or_saveexec_b32 s1, s1
	v_mov_b32_e32 v9, 1
	s_xor_b32 exec_lo, exec_lo, s1
	s_cbranch_execz .LBB131_41
; %bb.40:
	v_and_b32_e32 v1, 1, v7
	v_cmp_eq_u32_e32 vcc_lo, 1, v1
	s_waitcnt lgkmcnt(0)
	v_cndmask_b32_e32 v2, v6, v4, vcc_lo
	v_cndmask_b32_e32 v1, v5, v3, vcc_lo
	v_cndmask_b32_e64 v9, v8, 1, vcc_lo
.LBB131_41:
	s_or_b32 exec_lo, exec_lo, s1
.LBB131_42:
	s_or_b32 exec_lo, exec_lo, s0
	s_branch .LBB131_242
.LBB131_43:
                                        ; implicit-def: $vgpr3_vgpr4
                                        ; implicit-def: $vgpr5
                                        ; implicit-def: $vgpr1_vgpr2
	s_branch .LBB131_356
.LBB131_44:
                                        ; implicit-def: $vgpr1_vgpr2
                                        ; implicit-def: $vgpr17
	s_cbranch_execz .LBB131_167
; %bb.45:
	v_mov_b32_e32 v15, 0
	v_mov_b32_e32 v1, 0
	;; [unrolled: 1-line block ×6, first 2 shown]
	s_sub_i32 s27, s14, s8
	s_mov_b32 s0, exec_lo
	v_cmpx_gt_u32_e64 s27, v0
	s_cbranch_execz .LBB131_47
; %bb.46:
	v_lshlrev_b32_e32 v1, 3, v0
	global_load_dwordx2 v[3:4], v1, s[10:11]
	s_waitcnt lgkmcnt(0)
	global_load_dwordx2 v[5:6], v1, s[22:23]
	v_add_co_u32 v1, s1, s28, v0
	v_add_co_ci_u32_e64 v2, null, s29, 0, s1
	s_waitcnt vmcnt(0)
	v_cmp_ne_u64_e32 vcc_lo, v[3:4], v[5:6]
	v_cndmask_b32_e64 v17, 0, 1, vcc_lo
.LBB131_47:
	s_or_b32 exec_lo, exec_lo, s0
	v_or_b32_e32 v3, 0x100, v0
	v_cmp_gt_u32_e64 s9, s27, v3
	s_and_saveexec_b32 s0, s9
	s_cbranch_execz .LBB131_49
; %bb.48:
	s_waitcnt lgkmcnt(0)
	v_lshlrev_b32_e32 v6, 3, v3
	v_add_co_u32 v15, s1, s28, v3
	v_add_co_ci_u32_e64 v16, null, s29, 0, s1
	s_clause 0x1
	global_load_dwordx2 v[4:5], v6, s[10:11]
	global_load_dwordx2 v[6:7], v6, s[22:23]
	s_waitcnt vmcnt(0)
	v_cmp_ne_u64_e32 vcc_lo, v[4:5], v[6:7]
	v_cndmask_b32_e64 v24, 0, 1, vcc_lo
.LBB131_49:
	s_or_b32 exec_lo, exec_lo, s0
	v_or_b32_e32 v3, 0x200, v0
	v_mov_b32_e32 v11, 0
	v_mov_b32_e32 v13, 0
	;; [unrolled: 1-line block ×5, first 2 shown]
	v_cmp_gt_u32_e64 s8, s27, v3
	v_mov_b32_e32 v23, 0
	s_and_saveexec_b32 s0, s8
	s_cbranch_execz .LBB131_51
; %bb.50:
	s_waitcnt lgkmcnt(0)
	v_lshlrev_b32_e32 v6, 3, v3
	v_add_co_u32 v13, s1, s28, v3
	v_add_co_ci_u32_e64 v14, null, s29, 0, s1
	s_clause 0x1
	global_load_dwordx2 v[4:5], v6, s[10:11]
	global_load_dwordx2 v[6:7], v6, s[22:23]
	s_waitcnt vmcnt(0)
	v_cmp_ne_u64_e32 vcc_lo, v[4:5], v[6:7]
	v_cndmask_b32_e64 v23, 0, 1, vcc_lo
.LBB131_51:
	s_or_b32 exec_lo, exec_lo, s0
	v_or_b32_e32 v3, 0x300, v0
	v_cmp_gt_u32_e64 s3, s27, v3
	s_and_saveexec_b32 s0, s3
	s_cbranch_execz .LBB131_53
; %bb.52:
	s_waitcnt lgkmcnt(0)
	v_lshlrev_b32_e32 v6, 3, v3
	v_add_co_u32 v11, s1, s28, v3
	v_add_co_ci_u32_e64 v12, null, s29, 0, s1
	s_clause 0x1
	global_load_dwordx2 v[4:5], v6, s[10:11]
	global_load_dwordx2 v[6:7], v6, s[22:23]
	s_waitcnt vmcnt(0)
	v_cmp_ne_u64_e32 vcc_lo, v[4:5], v[6:7]
	v_cndmask_b32_e64 v22, 0, 1, vcc_lo
.LBB131_53:
	s_or_b32 exec_lo, exec_lo, s0
	v_or_b32_e32 v3, 0x400, v0
	v_mov_b32_e32 v7, 0
	v_mov_b32_e32 v9, 0
	;; [unrolled: 1-line block ×5, first 2 shown]
	v_cmp_gt_u32_e64 s2, s27, v3
	v_mov_b32_e32 v21, 0
	s_and_saveexec_b32 s0, s2
	s_cbranch_execz .LBB131_55
; %bb.54:
	s_waitcnt lgkmcnt(0)
	v_lshlrev_b32_e32 v6, 3, v3
	v_add_co_u32 v9, s1, s28, v3
	v_add_co_ci_u32_e64 v10, null, s29, 0, s1
	s_clause 0x1
	global_load_dwordx2 v[4:5], v6, s[10:11]
	global_load_dwordx2 v[18:19], v6, s[22:23]
	s_waitcnt vmcnt(0)
	v_cmp_ne_u64_e32 vcc_lo, v[4:5], v[18:19]
	v_cndmask_b32_e64 v21, 0, 1, vcc_lo
.LBB131_55:
	s_or_b32 exec_lo, exec_lo, s0
	v_or_b32_e32 v3, 0x500, v0
	v_cmp_gt_u32_e64 s1, s27, v3
	s_and_saveexec_b32 s0, s1
	s_cbranch_execz .LBB131_57
; %bb.56:
	s_waitcnt lgkmcnt(0)
	v_lshlrev_b32_e32 v6, 3, v3
	v_add_co_u32 v7, s30, s28, v3
	v_add_co_ci_u32_e64 v8, null, s29, 0, s30
	s_clause 0x1
	global_load_dwordx2 v[4:5], v6, s[10:11]
	global_load_dwordx2 v[18:19], v6, s[22:23]
	s_waitcnt vmcnt(0)
	v_cmp_ne_u64_e32 vcc_lo, v[4:5], v[18:19]
	v_cndmask_b32_e64 v20, 0, 1, vcc_lo
.LBB131_57:
	s_or_b32 exec_lo, exec_lo, s0
	v_or_b32_e32 v25, 0x600, v0
	v_mov_b32_e32 v3, 0
	s_waitcnt lgkmcnt(0)
	v_mov_b32_e32 v5, 0
	v_mov_b32_e32 v4, 0
	;; [unrolled: 1-line block ×4, first 2 shown]
	v_cmp_gt_u32_e64 s0, s27, v25
	v_mov_b32_e32 v19, 0
	s_and_saveexec_b32 s30, s0
	s_cbranch_execz .LBB131_59
; %bb.58:
	v_lshlrev_b32_e32 v5, 3, v25
	s_clause 0x1
	global_load_dwordx2 v[26:27], v5, s[10:11]
	global_load_dwordx2 v[28:29], v5, s[22:23]
	v_add_co_u32 v5, s31, s28, v25
	v_add_co_ci_u32_e64 v6, null, s29, 0, s31
	s_waitcnt vmcnt(0)
	v_cmp_ne_u64_e32 vcc_lo, v[26:27], v[28:29]
	v_cndmask_b32_e64 v19, 0, 1, vcc_lo
.LBB131_59:
	s_or_b32 exec_lo, exec_lo, s30
	v_or_b32_e32 v25, 0x700, v0
	v_cmp_gt_u32_e32 vcc_lo, s27, v25
	s_and_saveexec_b32 s30, vcc_lo
	s_cbranch_execnz .LBB131_78
; %bb.60:
	s_or_b32 exec_lo, exec_lo, s30
	s_and_saveexec_b32 s11, s9
	s_cbranch_execnz .LBB131_79
.LBB131_61:
	s_or_b32 exec_lo, exec_lo, s11
	s_and_saveexec_b32 s10, s8
	s_cbranch_execnz .LBB131_84
.LBB131_62:
	s_or_b32 exec_lo, exec_lo, s10
	s_and_saveexec_b32 s9, s3
	s_cbranch_execnz .LBB131_89
.LBB131_63:
	s_or_b32 exec_lo, exec_lo, s9
	s_and_saveexec_b32 s8, s2
	s_cbranch_execnz .LBB131_94
.LBB131_64:
	s_or_b32 exec_lo, exec_lo, s8
	s_and_saveexec_b32 s3, s1
	s_cbranch_execnz .LBB131_99
.LBB131_65:
	s_or_b32 exec_lo, exec_lo, s3
	s_and_saveexec_b32 s2, s0
	s_cbranch_execnz .LBB131_104
.LBB131_66:
	s_or_b32 exec_lo, exec_lo, s2
	s_and_saveexec_b32 s1, vcc_lo
	s_cbranch_execnz .LBB131_109
	s_branch .LBB131_114
.LBB131_67:
                                        ; implicit-def: $vgpr1_vgpr2
                                        ; implicit-def: $vgpr9
	s_cbranch_execz .LBB131_242
; %bb.68:
	v_mov_b32_e32 v7, 0
	v_mov_b32_e32 v1, 0
	;; [unrolled: 1-line block ×6, first 2 shown]
	s_sub_i32 s10, s14, s10
	s_mov_b32 s0, exec_lo
	v_cmpx_gt_u32_e64 s10, v0
	s_cbranch_execz .LBB131_70
; %bb.69:
	v_lshlrev_b32_e32 v1, 3, v0
	s_waitcnt lgkmcnt(0)
	s_clause 0x1
	global_load_dwordx2 v[3:4], v1, s[2:3]
	global_load_dwordx2 v[5:6], v1, s[8:9]
	v_add_co_u32 v1, s1, s11, v0
	v_add_co_ci_u32_e64 v2, null, s23, 0, s1
	s_waitcnt vmcnt(0)
	v_cmp_ne_u64_e32 vcc_lo, v[3:4], v[5:6]
	v_cndmask_b32_e64 v9, 0, 1, vcc_lo
.LBB131_70:
	s_or_b32 exec_lo, exec_lo, s0
	s_waitcnt lgkmcnt(1)
	v_or_b32_e32 v3, 0x100, v0
	v_cmp_gt_u32_e64 s1, s10, v3
	s_and_saveexec_b32 s0, s1
	s_cbranch_execz .LBB131_72
; %bb.71:
	s_waitcnt lgkmcnt(0)
	v_lshlrev_b32_e32 v6, 3, v3
	v_add_co_u32 v7, s26, s11, v3
	v_add_co_ci_u32_e64 v8, null, s23, 0, s26
	s_clause 0x1
	global_load_dwordx2 v[4:5], v6, s[2:3]
	global_load_dwordx2 v[10:11], v6, s[8:9]
	s_waitcnt vmcnt(0)
	v_cmp_ne_u64_e32 vcc_lo, v[4:5], v[10:11]
	v_cndmask_b32_e64 v12, 0, 1, vcc_lo
.LBB131_72:
	s_or_b32 exec_lo, exec_lo, s0
	v_or_b32_e32 v13, 0x200, v0
	s_waitcnt lgkmcnt(0)
	v_mov_b32_e32 v3, 0
	v_mov_b32_e32 v5, 0
	;; [unrolled: 1-line block ×5, first 2 shown]
	v_cmp_gt_u32_e64 s0, s10, v13
	v_mov_b32_e32 v11, 0
	s_and_saveexec_b32 s26, s0
	s_cbranch_execz .LBB131_74
; %bb.73:
	v_lshlrev_b32_e32 v5, 3, v13
	s_clause 0x1
	global_load_dwordx2 v[14:15], v5, s[2:3]
	global_load_dwordx2 v[16:17], v5, s[8:9]
	v_add_co_u32 v5, s27, s11, v13
	v_add_co_ci_u32_e64 v6, null, s23, 0, s27
	s_waitcnt vmcnt(0)
	v_cmp_ne_u64_e32 vcc_lo, v[14:15], v[16:17]
	v_cndmask_b32_e64 v11, 0, 1, vcc_lo
.LBB131_74:
	s_or_b32 exec_lo, exec_lo, s26
	v_or_b32_e32 v13, 0x300, v0
	v_cmp_gt_u32_e32 vcc_lo, s10, v13
	s_and_saveexec_b32 s26, vcc_lo
	s_cbranch_execnz .LBB131_173
; %bb.75:
	s_or_b32 exec_lo, exec_lo, s26
	s_and_saveexec_b32 s3, s1
	s_cbranch_execnz .LBB131_174
.LBB131_76:
	s_or_b32 exec_lo, exec_lo, s3
	s_and_saveexec_b32 s2, s0
	s_cbranch_execnz .LBB131_179
.LBB131_77:
	s_or_b32 exec_lo, exec_lo, s2
	s_and_saveexec_b32 s1, vcc_lo
	s_cbranch_execnz .LBB131_184
	s_branch .LBB131_189
.LBB131_78:
	v_lshlrev_b32_e32 v3, 3, v25
	s_clause 0x1
	global_load_dwordx2 v[26:27], v3, s[10:11]
	global_load_dwordx2 v[28:29], v3, s[22:23]
	v_add_co_u32 v3, s10, s28, v25
	v_add_co_ci_u32_e64 v4, null, s29, 0, s10
	s_waitcnt vmcnt(0)
	v_cmp_ne_u64_e64 s10, v[26:27], v[28:29]
	v_cndmask_b32_e64 v18, 0, 1, s10
	s_or_b32 exec_lo, exec_lo, s30
	s_and_saveexec_b32 s11, s9
	s_cbranch_execz .LBB131_61
.LBB131_79:
	v_and_b32_e32 v17, 1, v17
	v_and_b32_e32 v25, 1, v24
	v_cmp_eq_u32_e64 s9, 1, v17
	v_cmp_eq_u32_e64 s10, 1, v25
                                        ; implicit-def: $vgpr17
	s_and_b32 s10, s9, s10
	s_xor_b32 s10, s10, -1
	s_and_saveexec_b32 s22, s10
	s_xor_b32 s10, exec_lo, s22
; %bb.80:
	v_and_b32_e32 v17, 0xffff, v24
	v_cndmask_b32_e64 v2, v16, v2, s9
	v_cndmask_b32_e64 v1, v15, v1, s9
                                        ; implicit-def: $vgpr15_vgpr16
	v_cndmask_b32_e64 v17, v17, 1, s9
; %bb.81:
	s_andn2_saveexec_b32 s10, s10
; %bb.82:
	v_cmp_lt_i64_e64 s9, v[15:16], v[1:2]
	v_mov_b32_e32 v17, 1
	v_cndmask_b32_e64 v2, v2, v16, s9
	v_cndmask_b32_e64 v1, v1, v15, s9
; %bb.83:
	s_or_b32 exec_lo, exec_lo, s10
	s_or_b32 exec_lo, exec_lo, s11
	s_and_saveexec_b32 s10, s8
	s_cbranch_execz .LBB131_62
.LBB131_84:
	v_and_b32_e32 v15, 1, v17
	v_and_b32_e32 v16, 1, v23
                                        ; implicit-def: $vgpr17
	v_cmp_eq_u32_e64 s8, 1, v15
	v_cmp_eq_u32_e64 s9, 1, v16
	s_and_b32 s9, s8, s9
	s_xor_b32 s9, s9, -1
	s_and_saveexec_b32 s11, s9
	s_xor_b32 s9, exec_lo, s11
; %bb.85:
	v_and_b32_e32 v15, 0xffff, v23
	v_cndmask_b32_e64 v2, v14, v2, s8
	v_cndmask_b32_e64 v1, v13, v1, s8
                                        ; implicit-def: $vgpr13_vgpr14
	v_cndmask_b32_e64 v17, v15, 1, s8
; %bb.86:
	s_andn2_saveexec_b32 s9, s9
; %bb.87:
	v_cmp_lt_i64_e64 s8, v[13:14], v[1:2]
	v_mov_b32_e32 v17, 1
	v_cndmask_b32_e64 v2, v2, v14, s8
	v_cndmask_b32_e64 v1, v1, v13, s8
; %bb.88:
	s_or_b32 exec_lo, exec_lo, s9
	s_or_b32 exec_lo, exec_lo, s10
	s_and_saveexec_b32 s9, s3
	s_cbranch_execz .LBB131_63
.LBB131_89:
	v_and_b32_e32 v13, 1, v17
	v_and_b32_e32 v14, 1, v22
                                        ; implicit-def: $vgpr17
	v_cmp_eq_u32_e64 s3, 1, v13
	v_cmp_eq_u32_e64 s8, 1, v14
	s_and_b32 s8, s3, s8
	s_xor_b32 s8, s8, -1
	s_and_saveexec_b32 s10, s8
	s_xor_b32 s8, exec_lo, s10
; %bb.90:
	v_and_b32_e32 v13, 0xffff, v22
	v_cndmask_b32_e64 v2, v12, v2, s3
	v_cndmask_b32_e64 v1, v11, v1, s3
                                        ; implicit-def: $vgpr11_vgpr12
	v_cndmask_b32_e64 v17, v13, 1, s3
; %bb.91:
	s_andn2_saveexec_b32 s8, s8
; %bb.92:
	v_cmp_lt_i64_e64 s3, v[11:12], v[1:2]
	v_mov_b32_e32 v17, 1
	v_cndmask_b32_e64 v2, v2, v12, s3
	v_cndmask_b32_e64 v1, v1, v11, s3
; %bb.93:
	s_or_b32 exec_lo, exec_lo, s8
	s_or_b32 exec_lo, exec_lo, s9
	s_and_saveexec_b32 s8, s2
	s_cbranch_execz .LBB131_64
.LBB131_94:
	v_and_b32_e32 v11, 1, v17
	v_and_b32_e32 v12, 1, v21
                                        ; implicit-def: $vgpr17
	v_cmp_eq_u32_e64 s2, 1, v11
	v_cmp_eq_u32_e64 s3, 1, v12
	s_and_b32 s3, s2, s3
	s_xor_b32 s3, s3, -1
	s_and_saveexec_b32 s9, s3
	s_xor_b32 s3, exec_lo, s9
; %bb.95:
	v_and_b32_e32 v11, 0xffff, v21
	v_cndmask_b32_e64 v2, v10, v2, s2
	v_cndmask_b32_e64 v1, v9, v1, s2
                                        ; implicit-def: $vgpr9_vgpr10
	v_cndmask_b32_e64 v17, v11, 1, s2
; %bb.96:
	s_andn2_saveexec_b32 s3, s3
; %bb.97:
	v_cmp_lt_i64_e64 s2, v[9:10], v[1:2]
	v_mov_b32_e32 v17, 1
	v_cndmask_b32_e64 v2, v2, v10, s2
	v_cndmask_b32_e64 v1, v1, v9, s2
; %bb.98:
	s_or_b32 exec_lo, exec_lo, s3
	s_or_b32 exec_lo, exec_lo, s8
	s_and_saveexec_b32 s3, s1
	s_cbranch_execz .LBB131_65
.LBB131_99:
	v_and_b32_e32 v9, 1, v17
	v_and_b32_e32 v10, 1, v20
                                        ; implicit-def: $vgpr17
	v_cmp_eq_u32_e64 s1, 1, v9
	v_cmp_eq_u32_e64 s2, 1, v10
	s_and_b32 s2, s1, s2
	s_xor_b32 s2, s2, -1
	s_and_saveexec_b32 s8, s2
	s_xor_b32 s2, exec_lo, s8
; %bb.100:
	v_and_b32_e32 v9, 0xffff, v20
	v_cndmask_b32_e64 v2, v8, v2, s1
	v_cndmask_b32_e64 v1, v7, v1, s1
                                        ; implicit-def: $vgpr7_vgpr8
	v_cndmask_b32_e64 v17, v9, 1, s1
; %bb.101:
	s_andn2_saveexec_b32 s2, s2
; %bb.102:
	v_cmp_lt_i64_e64 s1, v[7:8], v[1:2]
	v_mov_b32_e32 v17, 1
	v_cndmask_b32_e64 v2, v2, v8, s1
	v_cndmask_b32_e64 v1, v1, v7, s1
; %bb.103:
	s_or_b32 exec_lo, exec_lo, s2
	s_or_b32 exec_lo, exec_lo, s3
	s_and_saveexec_b32 s2, s0
	s_cbranch_execz .LBB131_66
.LBB131_104:
	v_and_b32_e32 v7, 1, v17
	v_and_b32_e32 v8, 1, v19
                                        ; implicit-def: $vgpr17
	v_cmp_eq_u32_e64 s0, 1, v7
	v_cmp_eq_u32_e64 s1, 1, v8
	s_and_b32 s1, s0, s1
	s_xor_b32 s1, s1, -1
	s_and_saveexec_b32 s3, s1
	s_xor_b32 s1, exec_lo, s3
; %bb.105:
	v_and_b32_e32 v7, 0xffff, v19
	v_cndmask_b32_e64 v2, v6, v2, s0
	v_cndmask_b32_e64 v1, v5, v1, s0
                                        ; implicit-def: $vgpr5_vgpr6
	v_cndmask_b32_e64 v17, v7, 1, s0
; %bb.106:
	s_andn2_saveexec_b32 s1, s1
; %bb.107:
	v_cmp_lt_i64_e64 s0, v[5:6], v[1:2]
	v_mov_b32_e32 v17, 1
	v_cndmask_b32_e64 v2, v2, v6, s0
	v_cndmask_b32_e64 v1, v1, v5, s0
; %bb.108:
	s_or_b32 exec_lo, exec_lo, s1
	s_or_b32 exec_lo, exec_lo, s2
	s_and_saveexec_b32 s1, vcc_lo
	s_cbranch_execz .LBB131_114
.LBB131_109:
	v_and_b32_e32 v5, 1, v17
	v_and_b32_e32 v6, 1, v18
                                        ; implicit-def: $vgpr17
	v_cmp_eq_u32_e32 vcc_lo, 1, v5
	v_cmp_eq_u32_e64 s0, 1, v6
	s_and_b32 s0, vcc_lo, s0
	s_xor_b32 s0, s0, -1
	s_and_saveexec_b32 s2, s0
	s_xor_b32 s0, exec_lo, s2
; %bb.110:
	v_and_b32_e32 v5, 0xffff, v18
	v_cndmask_b32_e32 v2, v4, v2, vcc_lo
	v_cndmask_b32_e32 v1, v3, v1, vcc_lo
                                        ; implicit-def: $vgpr3_vgpr4
	v_cndmask_b32_e64 v17, v5, 1, vcc_lo
; %bb.111:
	s_andn2_saveexec_b32 s0, s0
; %bb.112:
	v_cmp_lt_i64_e32 vcc_lo, v[3:4], v[1:2]
	v_mov_b32_e32 v17, 1
	v_cndmask_b32_e32 v2, v2, v4, vcc_lo
	v_cndmask_b32_e32 v1, v1, v3, vcc_lo
; %bb.113:
	s_or_b32 exec_lo, exec_lo, s0
.LBB131_114:
	s_or_b32 exec_lo, exec_lo, s1
	v_mbcnt_lo_u32_b32 v5, -1, 0
	v_and_b32_e32 v6, 0xe0, v0
	s_min_u32 s0, s27, 0x100
	s_mov_b32 s1, exec_lo
	v_cmp_ne_u32_e32 vcc_lo, 31, v5
	v_sub_nc_u32_e64 v6, s0, v6 clamp
	v_add_nc_u32_e32 v8, 1, v5
	v_add_co_ci_u32_e64 v3, null, 0, v5, vcc_lo
	v_lshlrev_b32_e32 v4, 2, v3
	ds_bpermute_b32 v7, v4, v17
	ds_bpermute_b32 v3, v4, v1
	ds_bpermute_b32 v4, v4, v2
	v_cmpx_lt_u32_e64 v8, v6
	s_xor_b32 s1, exec_lo, s1
	s_cbranch_execz .LBB131_120
; %bb.115:
	s_waitcnt lgkmcnt(2)
	v_and_b32_e32 v8, v7, v17
	s_mov_b32 s2, exec_lo
	v_cmpx_ne_u32_e32 0, v8
	s_xor_b32 s2, exec_lo, s2
	s_cbranch_execz .LBB131_117
; %bb.116:
	s_waitcnt lgkmcnt(0)
	v_cmp_lt_i64_e32 vcc_lo, v[3:4], v[1:2]
                                        ; implicit-def: $vgpr17
                                        ; implicit-def: $vgpr7
	v_cndmask_b32_e32 v2, v2, v4, vcc_lo
	v_cndmask_b32_e32 v1, v1, v3, vcc_lo
                                        ; implicit-def: $vgpr3_vgpr4
.LBB131_117:
	s_or_saveexec_b32 s2, s2
	v_mov_b32_e32 v8, 1
	s_xor_b32 exec_lo, exec_lo, s2
	s_cbranch_execz .LBB131_119
; %bb.118:
	v_and_b32_e32 v8, 1, v17
	v_and_b32_e32 v7, 0xff, v7
	v_cmp_eq_u32_e32 vcc_lo, 1, v8
	s_waitcnt lgkmcnt(0)
	v_cndmask_b32_e32 v2, v4, v2, vcc_lo
	v_cndmask_b32_e32 v1, v3, v1, vcc_lo
	v_cndmask_b32_e64 v8, v7, 1, vcc_lo
.LBB131_119:
	s_or_b32 exec_lo, exec_lo, s2
	v_mov_b32_e32 v17, v8
.LBB131_120:
	s_or_b32 exec_lo, exec_lo, s1
	v_cmp_gt_u32_e32 vcc_lo, 30, v5
	v_add_nc_u32_e32 v8, 2, v5
	s_mov_b32 s1, exec_lo
	s_waitcnt lgkmcnt(1)
	v_cndmask_b32_e64 v3, 0, 2, vcc_lo
	s_waitcnt lgkmcnt(0)
	v_add_lshl_u32 v4, v3, v5, 2
	ds_bpermute_b32 v7, v4, v17
	ds_bpermute_b32 v3, v4, v1
	ds_bpermute_b32 v4, v4, v2
	v_cmpx_lt_u32_e64 v8, v6
	s_cbranch_execz .LBB131_126
; %bb.121:
	s_waitcnt lgkmcnt(2)
	v_and_b32_e32 v8, v17, v7
	s_mov_b32 s2, exec_lo
	v_and_b32_e32 v8, 1, v8
	v_cmpx_eq_u32_e32 1, v8
	s_xor_b32 s2, exec_lo, s2
	s_cbranch_execz .LBB131_123
; %bb.122:
	s_waitcnt lgkmcnt(0)
	v_cmp_lt_i64_e32 vcc_lo, v[3:4], v[1:2]
                                        ; implicit-def: $vgpr17
                                        ; implicit-def: $vgpr7
	v_cndmask_b32_e32 v2, v2, v4, vcc_lo
	v_cndmask_b32_e32 v1, v1, v3, vcc_lo
                                        ; implicit-def: $vgpr3_vgpr4
.LBB131_123:
	s_or_saveexec_b32 s2, s2
	v_mov_b32_e32 v8, 1
	s_xor_b32 exec_lo, exec_lo, s2
	s_cbranch_execz .LBB131_125
; %bb.124:
	v_and_b32_e32 v8, 1, v17
	v_and_b32_e32 v7, 0xff, v7
	v_cmp_eq_u32_e32 vcc_lo, 1, v8
	s_waitcnt lgkmcnt(0)
	v_cndmask_b32_e32 v2, v4, v2, vcc_lo
	v_cndmask_b32_e32 v1, v3, v1, vcc_lo
	v_cndmask_b32_e64 v8, v7, 1, vcc_lo
.LBB131_125:
	s_or_b32 exec_lo, exec_lo, s2
	v_mov_b32_e32 v17, v8
.LBB131_126:
	s_or_b32 exec_lo, exec_lo, s1
	v_cmp_gt_u32_e32 vcc_lo, 28, v5
	v_add_nc_u32_e32 v8, 4, v5
	s_mov_b32 s1, exec_lo
	s_waitcnt lgkmcnt(1)
	v_cndmask_b32_e64 v3, 0, 4, vcc_lo
	s_waitcnt lgkmcnt(0)
	v_add_lshl_u32 v4, v3, v5, 2
	ds_bpermute_b32 v7, v4, v17
	ds_bpermute_b32 v3, v4, v1
	ds_bpermute_b32 v4, v4, v2
	v_cmpx_lt_u32_e64 v8, v6
	s_cbranch_execz .LBB131_132
; %bb.127:
	s_waitcnt lgkmcnt(2)
	v_and_b32_e32 v8, v17, v7
	s_mov_b32 s2, exec_lo
	v_and_b32_e32 v8, 1, v8
	v_cmpx_eq_u32_e32 1, v8
	s_xor_b32 s2, exec_lo, s2
	s_cbranch_execz .LBB131_129
; %bb.128:
	s_waitcnt lgkmcnt(0)
	v_cmp_lt_i64_e32 vcc_lo, v[3:4], v[1:2]
                                        ; implicit-def: $vgpr17
                                        ; implicit-def: $vgpr7
	v_cndmask_b32_e32 v2, v2, v4, vcc_lo
	v_cndmask_b32_e32 v1, v1, v3, vcc_lo
                                        ; implicit-def: $vgpr3_vgpr4
.LBB131_129:
	s_or_saveexec_b32 s2, s2
	v_mov_b32_e32 v8, 1
	s_xor_b32 exec_lo, exec_lo, s2
	s_cbranch_execz .LBB131_131
; %bb.130:
	v_and_b32_e32 v8, 1, v17
	v_and_b32_e32 v7, 0xff, v7
	v_cmp_eq_u32_e32 vcc_lo, 1, v8
	s_waitcnt lgkmcnt(0)
	v_cndmask_b32_e32 v2, v4, v2, vcc_lo
	v_cndmask_b32_e32 v1, v3, v1, vcc_lo
	v_cndmask_b32_e64 v8, v7, 1, vcc_lo
.LBB131_131:
	s_or_b32 exec_lo, exec_lo, s2
	v_mov_b32_e32 v17, v8
.LBB131_132:
	;; [unrolled: 46-line block ×3, first 2 shown]
	s_or_b32 exec_lo, exec_lo, s1
	s_waitcnt lgkmcnt(2)
	v_lshlrev_b32_e32 v7, 2, v5
	v_add_nc_u32_e32 v9, 16, v5
	s_waitcnt lgkmcnt(0)
	v_or_b32_e32 v4, 64, v7
	v_cmp_lt_u32_e32 vcc_lo, v9, v6
	v_mov_b32_e32 v6, v17
	ds_bpermute_b32 v8, v4, v17
	ds_bpermute_b32 v3, v4, v1
	;; [unrolled: 1-line block ×3, first 2 shown]
	s_and_saveexec_b32 s1, vcc_lo
	s_cbranch_execz .LBB131_144
; %bb.139:
	s_waitcnt lgkmcnt(2)
	v_and_b32_e32 v6, v17, v8
	s_mov_b32 s2, exec_lo
	v_and_b32_e32 v6, 1, v6
	v_cmpx_eq_u32_e32 1, v6
	s_xor_b32 s2, exec_lo, s2
	s_cbranch_execz .LBB131_141
; %bb.140:
	s_waitcnt lgkmcnt(0)
	v_cmp_lt_i64_e32 vcc_lo, v[3:4], v[1:2]
                                        ; implicit-def: $vgpr17
                                        ; implicit-def: $vgpr8
	v_cndmask_b32_e32 v2, v2, v4, vcc_lo
	v_cndmask_b32_e32 v1, v1, v3, vcc_lo
                                        ; implicit-def: $vgpr3_vgpr4
.LBB131_141:
	s_or_saveexec_b32 s2, s2
	v_mov_b32_e32 v6, 1
	s_xor_b32 exec_lo, exec_lo, s2
	s_cbranch_execz .LBB131_143
; %bb.142:
	v_and_b32_e32 v6, 1, v17
	v_cmp_eq_u32_e32 vcc_lo, 1, v6
	v_cndmask_b32_e64 v6, v8, 1, vcc_lo
	s_waitcnt lgkmcnt(0)
	v_cndmask_b32_e32 v2, v4, v2, vcc_lo
	v_cndmask_b32_e32 v1, v3, v1, vcc_lo
.LBB131_143:
	s_or_b32 exec_lo, exec_lo, s2
	v_and_b32_e32 v17, 0xff, v6
.LBB131_144:
	s_or_b32 exec_lo, exec_lo, s1
	s_mov_b32 s1, exec_lo
	v_cmpx_eq_u32_e32 0, v5
	s_cbranch_execz .LBB131_146
; %bb.145:
	s_waitcnt lgkmcnt(1)
	v_lshrrev_b32_e32 v3, 1, v0
	v_and_b32_e32 v3, 0x70, v3
	ds_write_b8 v3, v6 offset:512
	ds_write_b64 v3, v[1:2] offset:520
.LBB131_146:
	s_or_b32 exec_lo, exec_lo, s1
	s_mov_b32 s1, exec_lo
	s_waitcnt lgkmcnt(0)
	s_barrier
	buffer_gl0_inv
	v_cmpx_gt_u32_e32 8, v0
	s_cbranch_execz .LBB131_166
; %bb.147:
	v_lshlrev_b32_e32 v1, 4, v5
	v_and_b32_e32 v6, 7, v5
	s_add_i32 s0, s0, 31
	s_mov_b32 s2, exec_lo
	s_lshr_b32 s0, s0, 5
	ds_read_u8 v8, v1 offset:512
	ds_read_b64 v[1:2], v1 offset:520
	v_cmp_ne_u32_e32 vcc_lo, 7, v6
	v_add_nc_u32_e32 v10, 1, v6
	v_add_co_ci_u32_e64 v3, null, 0, v5, vcc_lo
	v_lshlrev_b32_e32 v4, 2, v3
	s_waitcnt lgkmcnt(1)
	v_and_b32_e32 v17, 0xff, v8
	s_waitcnt lgkmcnt(0)
	ds_bpermute_b32 v3, v4, v1
	ds_bpermute_b32 v9, v4, v17
	;; [unrolled: 1-line block ×3, first 2 shown]
	v_cmpx_gt_u32_e64 s0, v10
	s_cbranch_execz .LBB131_153
; %bb.148:
	s_waitcnt lgkmcnt(1)
	v_and_b32_e32 v10, v17, v9
	s_mov_b32 s3, exec_lo
	v_and_b32_e32 v10, 1, v10
	v_cmpx_eq_u32_e32 1, v10
	s_xor_b32 s3, exec_lo, s3
	s_cbranch_execz .LBB131_150
; %bb.149:
	s_waitcnt lgkmcnt(0)
	v_cmp_lt_i64_e32 vcc_lo, v[3:4], v[1:2]
                                        ; implicit-def: $vgpr8
                                        ; implicit-def: $vgpr9
	v_cndmask_b32_e32 v2, v2, v4, vcc_lo
	v_cndmask_b32_e32 v1, v1, v3, vcc_lo
                                        ; implicit-def: $vgpr3_vgpr4
.LBB131_150:
	s_or_saveexec_b32 s3, s3
	v_mov_b32_e32 v17, 1
	s_xor_b32 exec_lo, exec_lo, s3
	s_cbranch_execz .LBB131_152
; %bb.151:
	v_and_b32_e32 v8, 1, v8
	v_cmp_eq_u32_e32 vcc_lo, 1, v8
	v_and_b32_e32 v8, 0xff, v9
	s_waitcnt lgkmcnt(0)
	v_cndmask_b32_e32 v2, v4, v2, vcc_lo
	v_cndmask_b32_e32 v1, v3, v1, vcc_lo
	v_cndmask_b32_e64 v17, v8, 1, vcc_lo
.LBB131_152:
	s_or_b32 exec_lo, exec_lo, s3
.LBB131_153:
	s_or_b32 exec_lo, exec_lo, s2
	v_cmp_gt_u32_e32 vcc_lo, 6, v6
	v_add_nc_u32_e32 v8, 2, v6
	s_mov_b32 s2, exec_lo
	s_waitcnt lgkmcnt(2)
	v_cndmask_b32_e64 v3, 0, 2, vcc_lo
	s_waitcnt lgkmcnt(0)
	v_add_lshl_u32 v4, v3, v5, 2
	ds_bpermute_b32 v5, v4, v17
	ds_bpermute_b32 v3, v4, v1
	;; [unrolled: 1-line block ×3, first 2 shown]
	v_cmpx_gt_u32_e64 s0, v8
	s_cbranch_execz .LBB131_159
; %bb.154:
	s_waitcnt lgkmcnt(2)
	v_and_b32_e32 v8, v17, v5
	s_mov_b32 s3, exec_lo
	v_and_b32_e32 v8, 1, v8
	v_cmpx_eq_u32_e32 1, v8
	s_xor_b32 s3, exec_lo, s3
	s_cbranch_execz .LBB131_156
; %bb.155:
	s_waitcnt lgkmcnt(0)
	v_cmp_lt_i64_e32 vcc_lo, v[3:4], v[1:2]
                                        ; implicit-def: $vgpr17
                                        ; implicit-def: $vgpr5
	v_cndmask_b32_e32 v2, v2, v4, vcc_lo
	v_cndmask_b32_e32 v1, v1, v3, vcc_lo
                                        ; implicit-def: $vgpr3_vgpr4
.LBB131_156:
	s_or_saveexec_b32 s3, s3
	v_mov_b32_e32 v8, 1
	s_xor_b32 exec_lo, exec_lo, s3
	s_cbranch_execz .LBB131_158
; %bb.157:
	v_and_b32_e32 v8, 1, v17
	v_and_b32_e32 v5, 0xff, v5
	v_cmp_eq_u32_e32 vcc_lo, 1, v8
	s_waitcnt lgkmcnt(0)
	v_cndmask_b32_e32 v2, v4, v2, vcc_lo
	v_cndmask_b32_e32 v1, v3, v1, vcc_lo
	v_cndmask_b32_e64 v8, v5, 1, vcc_lo
.LBB131_158:
	s_or_b32 exec_lo, exec_lo, s3
	v_mov_b32_e32 v17, v8
.LBB131_159:
	s_or_b32 exec_lo, exec_lo, s2
	s_waitcnt lgkmcnt(0)
	v_or_b32_e32 v4, 16, v7
	v_add_nc_u32_e32 v6, 4, v6
	ds_bpermute_b32 v5, v4, v17
	ds_bpermute_b32 v3, v4, v1
	;; [unrolled: 1-line block ×3, first 2 shown]
	v_cmp_gt_u32_e32 vcc_lo, s0, v6
	s_and_saveexec_b32 s0, vcc_lo
	s_cbranch_execz .LBB131_165
; %bb.160:
	s_waitcnt lgkmcnt(2)
	v_and_b32_e32 v6, v17, v5
	s_mov_b32 s2, exec_lo
	v_and_b32_e32 v6, 1, v6
	v_cmpx_eq_u32_e32 1, v6
	s_xor_b32 s2, exec_lo, s2
	s_cbranch_execz .LBB131_162
; %bb.161:
	s_waitcnt lgkmcnt(0)
	v_cmp_lt_i64_e32 vcc_lo, v[3:4], v[1:2]
                                        ; implicit-def: $vgpr17
                                        ; implicit-def: $vgpr5
	v_cndmask_b32_e32 v2, v2, v4, vcc_lo
	v_cndmask_b32_e32 v1, v1, v3, vcc_lo
                                        ; implicit-def: $vgpr3_vgpr4
.LBB131_162:
	s_or_saveexec_b32 s2, s2
	v_mov_b32_e32 v6, 1
	s_xor_b32 exec_lo, exec_lo, s2
	s_cbranch_execz .LBB131_164
; %bb.163:
	v_and_b32_e32 v6, 1, v17
	v_cmp_eq_u32_e32 vcc_lo, 1, v6
	s_waitcnt lgkmcnt(0)
	v_cndmask_b32_e32 v2, v4, v2, vcc_lo
	v_cndmask_b32_e32 v1, v3, v1, vcc_lo
	v_cndmask_b32_e64 v6, v5, 1, vcc_lo
.LBB131_164:
	s_or_b32 exec_lo, exec_lo, s2
	v_mov_b32_e32 v17, v6
.LBB131_165:
	s_or_b32 exec_lo, exec_lo, s0
.LBB131_166:
	s_or_b32 exec_lo, exec_lo, s1
.LBB131_167:
	s_mov_b32 s22, 0
                                        ; implicit-def: $vgpr3_vgpr4
                                        ; implicit-def: $vgpr5
	s_mov_b32 s0, exec_lo
	v_cmpx_eq_u32_e32 0, v0
	s_xor_b32 s2, exec_lo, s0
	s_cbranch_execz .LBB131_171
; %bb.168:
	s_waitcnt lgkmcnt(0)
	v_mov_b32_e32 v3, s20
	v_mov_b32_e32 v4, s21
	;; [unrolled: 1-line block ×3, first 2 shown]
	s_cmp_eq_u64 s[14:15], 0
	s_cbranch_scc1 .LBB131_170
; %bb.169:
	v_and_b32_e32 v3, 1, v17
	v_cmp_gt_i64_e32 vcc_lo, s[20:21], v[1:2]
	s_bitcmp1_b32 s24, 0
	s_cselect_b32 s1, -1, 0
	v_cmp_eq_u32_e64 s0, 1, v3
	v_cndmask_b32_e64 v5, v17, 1, s1
	s_and_b32 vcc_lo, s0, vcc_lo
	v_cndmask_b32_e32 v3, s20, v1, vcc_lo
	v_cndmask_b32_e32 v4, s21, v2, vcc_lo
	v_cndmask_b32_e64 v3, v1, v3, s1
	v_cndmask_b32_e64 v4, v2, v4, s1
.LBB131_170:
	s_mov_b32 s22, exec_lo
.LBB131_171:
	s_or_b32 exec_lo, exec_lo, s2
	v_mov_b32_e32 v1, s6
	v_mov_b32_e32 v2, s7
	s_and_b32 vcc_lo, exec_lo, s26
	s_cbranch_vccnz .LBB131_24
.LBB131_172:
	s_branch .LBB131_356
.LBB131_173:
	v_lshlrev_b32_e32 v3, 3, v13
	s_clause 0x1
	global_load_dwordx2 v[14:15], v3, s[2:3]
	global_load_dwordx2 v[16:17], v3, s[8:9]
	v_add_co_u32 v3, s2, s11, v13
	v_add_co_ci_u32_e64 v4, null, s23, 0, s2
	s_waitcnt vmcnt(0)
	v_cmp_ne_u64_e64 s2, v[14:15], v[16:17]
	v_cndmask_b32_e64 v10, 0, 1, s2
	s_or_b32 exec_lo, exec_lo, s26
	s_and_saveexec_b32 s3, s1
	s_cbranch_execz .LBB131_76
.LBB131_174:
	v_and_b32_e32 v9, 1, v9
	v_and_b32_e32 v13, 1, v12
	v_cmp_eq_u32_e64 s1, 1, v9
	v_cmp_eq_u32_e64 s2, 1, v13
                                        ; implicit-def: $vgpr9
	s_and_b32 s2, s1, s2
	s_xor_b32 s2, s2, -1
	s_and_saveexec_b32 s8, s2
	s_xor_b32 s2, exec_lo, s8
; %bb.175:
	v_and_b32_e32 v9, 0xffff, v12
	v_cndmask_b32_e64 v2, v8, v2, s1
	v_cndmask_b32_e64 v1, v7, v1, s1
                                        ; implicit-def: $vgpr7_vgpr8
	v_cndmask_b32_e64 v9, v9, 1, s1
; %bb.176:
	s_andn2_saveexec_b32 s2, s2
; %bb.177:
	v_cmp_lt_i64_e64 s1, v[7:8], v[1:2]
	v_mov_b32_e32 v9, 1
	v_cndmask_b32_e64 v2, v2, v8, s1
	v_cndmask_b32_e64 v1, v1, v7, s1
; %bb.178:
	s_or_b32 exec_lo, exec_lo, s2
	s_or_b32 exec_lo, exec_lo, s3
	s_and_saveexec_b32 s2, s0
	s_cbranch_execz .LBB131_77
.LBB131_179:
	v_and_b32_e32 v7, 1, v9
	v_and_b32_e32 v8, 1, v11
                                        ; implicit-def: $vgpr9
	v_cmp_eq_u32_e64 s0, 1, v7
	v_cmp_eq_u32_e64 s1, 1, v8
	s_and_b32 s1, s0, s1
	s_xor_b32 s1, s1, -1
	s_and_saveexec_b32 s3, s1
	s_xor_b32 s1, exec_lo, s3
; %bb.180:
	v_and_b32_e32 v7, 0xffff, v11
	v_cndmask_b32_e64 v2, v6, v2, s0
	v_cndmask_b32_e64 v1, v5, v1, s0
                                        ; implicit-def: $vgpr5_vgpr6
	v_cndmask_b32_e64 v9, v7, 1, s0
; %bb.181:
	s_andn2_saveexec_b32 s1, s1
; %bb.182:
	v_cmp_lt_i64_e64 s0, v[5:6], v[1:2]
	v_mov_b32_e32 v9, 1
	v_cndmask_b32_e64 v2, v2, v6, s0
	v_cndmask_b32_e64 v1, v1, v5, s0
; %bb.183:
	s_or_b32 exec_lo, exec_lo, s1
	s_or_b32 exec_lo, exec_lo, s2
	s_and_saveexec_b32 s1, vcc_lo
	s_cbranch_execz .LBB131_189
.LBB131_184:
	v_and_b32_e32 v5, 1, v9
	v_and_b32_e32 v6, 1, v10
                                        ; implicit-def: $vgpr9
	v_cmp_eq_u32_e32 vcc_lo, 1, v5
	v_cmp_eq_u32_e64 s0, 1, v6
	s_and_b32 s0, vcc_lo, s0
	s_xor_b32 s0, s0, -1
	s_and_saveexec_b32 s2, s0
	s_xor_b32 s0, exec_lo, s2
; %bb.185:
	v_and_b32_e32 v5, 0xffff, v10
	v_cndmask_b32_e32 v2, v4, v2, vcc_lo
	v_cndmask_b32_e32 v1, v3, v1, vcc_lo
                                        ; implicit-def: $vgpr3_vgpr4
	v_cndmask_b32_e64 v9, v5, 1, vcc_lo
; %bb.186:
	s_andn2_saveexec_b32 s0, s0
; %bb.187:
	v_cmp_lt_i64_e32 vcc_lo, v[3:4], v[1:2]
	v_mov_b32_e32 v9, 1
	v_cndmask_b32_e32 v2, v2, v4, vcc_lo
	v_cndmask_b32_e32 v1, v1, v3, vcc_lo
; %bb.188:
	s_or_b32 exec_lo, exec_lo, s0
.LBB131_189:
	s_or_b32 exec_lo, exec_lo, s1
	v_mbcnt_lo_u32_b32 v5, -1, 0
	v_and_b32_e32 v6, 0xe0, v0
	s_min_u32 s0, s10, 0x100
	s_mov_b32 s1, exec_lo
	v_cmp_ne_u32_e32 vcc_lo, 31, v5
	v_sub_nc_u32_e64 v6, s0, v6 clamp
	v_add_nc_u32_e32 v8, 1, v5
	v_add_co_ci_u32_e64 v3, null, 0, v5, vcc_lo
	v_lshlrev_b32_e32 v4, 2, v3
	ds_bpermute_b32 v7, v4, v9
	ds_bpermute_b32 v3, v4, v1
	;; [unrolled: 1-line block ×3, first 2 shown]
	v_cmpx_lt_u32_e64 v8, v6
	s_xor_b32 s1, exec_lo, s1
	s_cbranch_execz .LBB131_195
; %bb.190:
	s_waitcnt lgkmcnt(2)
	v_and_b32_e32 v8, v7, v9
	s_mov_b32 s2, exec_lo
	v_cmpx_ne_u32_e32 0, v8
	s_xor_b32 s2, exec_lo, s2
	s_cbranch_execz .LBB131_192
; %bb.191:
	s_waitcnt lgkmcnt(0)
	v_cmp_lt_i64_e32 vcc_lo, v[3:4], v[1:2]
                                        ; implicit-def: $vgpr9
                                        ; implicit-def: $vgpr7
	v_cndmask_b32_e32 v2, v2, v4, vcc_lo
	v_cndmask_b32_e32 v1, v1, v3, vcc_lo
                                        ; implicit-def: $vgpr3_vgpr4
.LBB131_192:
	s_or_saveexec_b32 s2, s2
	v_mov_b32_e32 v8, 1
	s_xor_b32 exec_lo, exec_lo, s2
	s_cbranch_execz .LBB131_194
; %bb.193:
	v_and_b32_e32 v8, 1, v9
	v_and_b32_e32 v7, 0xff, v7
	v_cmp_eq_u32_e32 vcc_lo, 1, v8
	s_waitcnt lgkmcnt(0)
	v_cndmask_b32_e32 v2, v4, v2, vcc_lo
	v_cndmask_b32_e32 v1, v3, v1, vcc_lo
	v_cndmask_b32_e64 v8, v7, 1, vcc_lo
.LBB131_194:
	s_or_b32 exec_lo, exec_lo, s2
	v_mov_b32_e32 v9, v8
.LBB131_195:
	s_or_b32 exec_lo, exec_lo, s1
	v_cmp_gt_u32_e32 vcc_lo, 30, v5
	v_add_nc_u32_e32 v8, 2, v5
	s_mov_b32 s1, exec_lo
	s_waitcnt lgkmcnt(1)
	v_cndmask_b32_e64 v3, 0, 2, vcc_lo
	s_waitcnt lgkmcnt(0)
	v_add_lshl_u32 v4, v3, v5, 2
	ds_bpermute_b32 v7, v4, v9
	ds_bpermute_b32 v3, v4, v1
	ds_bpermute_b32 v4, v4, v2
	v_cmpx_lt_u32_e64 v8, v6
	s_cbranch_execz .LBB131_201
; %bb.196:
	s_waitcnt lgkmcnt(2)
	v_and_b32_e32 v8, v9, v7
	s_mov_b32 s2, exec_lo
	v_and_b32_e32 v8, 1, v8
	v_cmpx_eq_u32_e32 1, v8
	s_xor_b32 s2, exec_lo, s2
	s_cbranch_execz .LBB131_198
; %bb.197:
	s_waitcnt lgkmcnt(0)
	v_cmp_lt_i64_e32 vcc_lo, v[3:4], v[1:2]
                                        ; implicit-def: $vgpr9
                                        ; implicit-def: $vgpr7
	v_cndmask_b32_e32 v2, v2, v4, vcc_lo
	v_cndmask_b32_e32 v1, v1, v3, vcc_lo
                                        ; implicit-def: $vgpr3_vgpr4
.LBB131_198:
	s_or_saveexec_b32 s2, s2
	v_mov_b32_e32 v8, 1
	s_xor_b32 exec_lo, exec_lo, s2
	s_cbranch_execz .LBB131_200
; %bb.199:
	v_and_b32_e32 v8, 1, v9
	v_and_b32_e32 v7, 0xff, v7
	v_cmp_eq_u32_e32 vcc_lo, 1, v8
	s_waitcnt lgkmcnt(0)
	v_cndmask_b32_e32 v2, v4, v2, vcc_lo
	v_cndmask_b32_e32 v1, v3, v1, vcc_lo
	v_cndmask_b32_e64 v8, v7, 1, vcc_lo
.LBB131_200:
	s_or_b32 exec_lo, exec_lo, s2
	v_mov_b32_e32 v9, v8
.LBB131_201:
	s_or_b32 exec_lo, exec_lo, s1
	v_cmp_gt_u32_e32 vcc_lo, 28, v5
	v_add_nc_u32_e32 v8, 4, v5
	s_mov_b32 s1, exec_lo
	s_waitcnt lgkmcnt(1)
	v_cndmask_b32_e64 v3, 0, 4, vcc_lo
	s_waitcnt lgkmcnt(0)
	v_add_lshl_u32 v4, v3, v5, 2
	ds_bpermute_b32 v7, v4, v9
	ds_bpermute_b32 v3, v4, v1
	ds_bpermute_b32 v4, v4, v2
	v_cmpx_lt_u32_e64 v8, v6
	s_cbranch_execz .LBB131_207
; %bb.202:
	s_waitcnt lgkmcnt(2)
	v_and_b32_e32 v8, v9, v7
	s_mov_b32 s2, exec_lo
	v_and_b32_e32 v8, 1, v8
	v_cmpx_eq_u32_e32 1, v8
	s_xor_b32 s2, exec_lo, s2
	s_cbranch_execz .LBB131_204
; %bb.203:
	s_waitcnt lgkmcnt(0)
	v_cmp_lt_i64_e32 vcc_lo, v[3:4], v[1:2]
                                        ; implicit-def: $vgpr9
                                        ; implicit-def: $vgpr7
	v_cndmask_b32_e32 v2, v2, v4, vcc_lo
	v_cndmask_b32_e32 v1, v1, v3, vcc_lo
                                        ; implicit-def: $vgpr3_vgpr4
.LBB131_204:
	s_or_saveexec_b32 s2, s2
	v_mov_b32_e32 v8, 1
	s_xor_b32 exec_lo, exec_lo, s2
	s_cbranch_execz .LBB131_206
; %bb.205:
	v_and_b32_e32 v8, 1, v9
	v_and_b32_e32 v7, 0xff, v7
	v_cmp_eq_u32_e32 vcc_lo, 1, v8
	s_waitcnt lgkmcnt(0)
	v_cndmask_b32_e32 v2, v4, v2, vcc_lo
	v_cndmask_b32_e32 v1, v3, v1, vcc_lo
	v_cndmask_b32_e64 v8, v7, 1, vcc_lo
.LBB131_206:
	s_or_b32 exec_lo, exec_lo, s2
	v_mov_b32_e32 v9, v8
.LBB131_207:
	s_or_b32 exec_lo, exec_lo, s1
	v_cmp_gt_u32_e32 vcc_lo, 24, v5
	v_add_nc_u32_e32 v8, 8, v5
	s_mov_b32 s1, exec_lo
	s_waitcnt lgkmcnt(1)
	v_cndmask_b32_e64 v3, 0, 8, vcc_lo
	s_waitcnt lgkmcnt(0)
	v_add_lshl_u32 v4, v3, v5, 2
	ds_bpermute_b32 v7, v4, v9
	ds_bpermute_b32 v3, v4, v1
	ds_bpermute_b32 v4, v4, v2
	v_cmpx_lt_u32_e64 v8, v6
	s_cbranch_execz .LBB131_213
; %bb.208:
	s_waitcnt lgkmcnt(2)
	v_and_b32_e32 v8, v9, v7
	s_mov_b32 s2, exec_lo
	v_and_b32_e32 v8, 1, v8
	v_cmpx_eq_u32_e32 1, v8
	s_xor_b32 s2, exec_lo, s2
	s_cbranch_execz .LBB131_210
; %bb.209:
	s_waitcnt lgkmcnt(0)
	v_cmp_lt_i64_e32 vcc_lo, v[3:4], v[1:2]
                                        ; implicit-def: $vgpr9
                                        ; implicit-def: $vgpr7
	v_cndmask_b32_e32 v2, v2, v4, vcc_lo
	v_cndmask_b32_e32 v1, v1, v3, vcc_lo
                                        ; implicit-def: $vgpr3_vgpr4
.LBB131_210:
	s_or_saveexec_b32 s2, s2
	v_mov_b32_e32 v8, 1
	s_xor_b32 exec_lo, exec_lo, s2
	s_cbranch_execz .LBB131_212
; %bb.211:
	v_and_b32_e32 v8, 1, v9
	v_and_b32_e32 v7, 0xff, v7
	v_cmp_eq_u32_e32 vcc_lo, 1, v8
	s_waitcnt lgkmcnt(0)
	v_cndmask_b32_e32 v2, v4, v2, vcc_lo
	v_cndmask_b32_e32 v1, v3, v1, vcc_lo
	v_cndmask_b32_e64 v8, v7, 1, vcc_lo
.LBB131_212:
	s_or_b32 exec_lo, exec_lo, s2
	v_mov_b32_e32 v9, v8
.LBB131_213:
	s_or_b32 exec_lo, exec_lo, s1
	s_waitcnt lgkmcnt(2)
	v_lshlrev_b32_e32 v7, 2, v5
	v_add_nc_u32_e32 v10, 16, v5
	s_waitcnt lgkmcnt(0)
	v_or_b32_e32 v4, 64, v7
	v_cmp_lt_u32_e32 vcc_lo, v10, v6
	v_mov_b32_e32 v6, v9
	ds_bpermute_b32 v8, v4, v9
	ds_bpermute_b32 v3, v4, v1
	;; [unrolled: 1-line block ×3, first 2 shown]
	s_and_saveexec_b32 s1, vcc_lo
	s_cbranch_execz .LBB131_219
; %bb.214:
	s_waitcnt lgkmcnt(2)
	v_and_b32_e32 v6, v9, v8
	s_mov_b32 s2, exec_lo
	v_and_b32_e32 v6, 1, v6
	v_cmpx_eq_u32_e32 1, v6
	s_xor_b32 s2, exec_lo, s2
	s_cbranch_execz .LBB131_216
; %bb.215:
	s_waitcnt lgkmcnt(0)
	v_cmp_lt_i64_e32 vcc_lo, v[3:4], v[1:2]
                                        ; implicit-def: $vgpr9
                                        ; implicit-def: $vgpr8
	v_cndmask_b32_e32 v2, v2, v4, vcc_lo
	v_cndmask_b32_e32 v1, v1, v3, vcc_lo
                                        ; implicit-def: $vgpr3_vgpr4
.LBB131_216:
	s_or_saveexec_b32 s2, s2
	v_mov_b32_e32 v6, 1
	s_xor_b32 exec_lo, exec_lo, s2
	s_cbranch_execz .LBB131_218
; %bb.217:
	v_and_b32_e32 v6, 1, v9
	v_cmp_eq_u32_e32 vcc_lo, 1, v6
	v_cndmask_b32_e64 v6, v8, 1, vcc_lo
	s_waitcnt lgkmcnt(0)
	v_cndmask_b32_e32 v2, v4, v2, vcc_lo
	v_cndmask_b32_e32 v1, v3, v1, vcc_lo
.LBB131_218:
	s_or_b32 exec_lo, exec_lo, s2
	v_and_b32_e32 v9, 0xff, v6
.LBB131_219:
	s_or_b32 exec_lo, exec_lo, s1
	s_mov_b32 s1, exec_lo
	v_cmpx_eq_u32_e32 0, v5
	s_cbranch_execz .LBB131_221
; %bb.220:
	s_waitcnt lgkmcnt(1)
	v_lshrrev_b32_e32 v3, 1, v0
	v_and_b32_e32 v3, 0x70, v3
	ds_write_b8 v3, v6 offset:512
	ds_write_b64 v3, v[1:2] offset:520
.LBB131_221:
	s_or_b32 exec_lo, exec_lo, s1
	s_mov_b32 s1, exec_lo
	s_waitcnt lgkmcnt(0)
	s_barrier
	buffer_gl0_inv
	v_cmpx_gt_u32_e32 8, v0
	s_cbranch_execz .LBB131_241
; %bb.222:
	v_lshlrev_b32_e32 v1, 4, v5
	v_and_b32_e32 v6, 7, v5
	s_add_i32 s0, s0, 31
	s_mov_b32 s2, exec_lo
	s_lshr_b32 s0, s0, 5
	ds_read_u8 v8, v1 offset:512
	ds_read_b64 v[1:2], v1 offset:520
	v_cmp_ne_u32_e32 vcc_lo, 7, v6
	v_add_nc_u32_e32 v11, 1, v6
	v_add_co_ci_u32_e64 v3, null, 0, v5, vcc_lo
	v_lshlrev_b32_e32 v4, 2, v3
	s_waitcnt lgkmcnt(1)
	v_and_b32_e32 v9, 0xff, v8
	s_waitcnt lgkmcnt(0)
	ds_bpermute_b32 v3, v4, v1
	ds_bpermute_b32 v10, v4, v9
	;; [unrolled: 1-line block ×3, first 2 shown]
	v_cmpx_gt_u32_e64 s0, v11
	s_cbranch_execz .LBB131_228
; %bb.223:
	s_waitcnt lgkmcnt(1)
	v_and_b32_e32 v9, v9, v10
	s_mov_b32 s3, exec_lo
	v_and_b32_e32 v9, 1, v9
	v_cmpx_eq_u32_e32 1, v9
	s_xor_b32 s3, exec_lo, s3
	s_cbranch_execz .LBB131_225
; %bb.224:
	s_waitcnt lgkmcnt(0)
	v_cmp_lt_i64_e32 vcc_lo, v[3:4], v[1:2]
                                        ; implicit-def: $vgpr8
                                        ; implicit-def: $vgpr10
	v_cndmask_b32_e32 v2, v2, v4, vcc_lo
	v_cndmask_b32_e32 v1, v1, v3, vcc_lo
                                        ; implicit-def: $vgpr3_vgpr4
.LBB131_225:
	s_or_saveexec_b32 s3, s3
	v_mov_b32_e32 v9, 1
	s_xor_b32 exec_lo, exec_lo, s3
	s_cbranch_execz .LBB131_227
; %bb.226:
	v_and_b32_e32 v8, 1, v8
	v_cmp_eq_u32_e32 vcc_lo, 1, v8
	v_and_b32_e32 v8, 0xff, v10
	s_waitcnt lgkmcnt(0)
	v_cndmask_b32_e32 v2, v4, v2, vcc_lo
	v_cndmask_b32_e32 v1, v3, v1, vcc_lo
	v_cndmask_b32_e64 v9, v8, 1, vcc_lo
.LBB131_227:
	s_or_b32 exec_lo, exec_lo, s3
.LBB131_228:
	s_or_b32 exec_lo, exec_lo, s2
	v_cmp_gt_u32_e32 vcc_lo, 6, v6
	v_add_nc_u32_e32 v8, 2, v6
	s_mov_b32 s2, exec_lo
	s_waitcnt lgkmcnt(2)
	v_cndmask_b32_e64 v3, 0, 2, vcc_lo
	s_waitcnt lgkmcnt(0)
	v_add_lshl_u32 v4, v3, v5, 2
	ds_bpermute_b32 v5, v4, v9
	ds_bpermute_b32 v3, v4, v1
	;; [unrolled: 1-line block ×3, first 2 shown]
	v_cmpx_gt_u32_e64 s0, v8
	s_cbranch_execz .LBB131_234
; %bb.229:
	s_waitcnt lgkmcnt(2)
	v_and_b32_e32 v8, v9, v5
	s_mov_b32 s3, exec_lo
	v_and_b32_e32 v8, 1, v8
	v_cmpx_eq_u32_e32 1, v8
	s_xor_b32 s3, exec_lo, s3
	s_cbranch_execz .LBB131_231
; %bb.230:
	s_waitcnt lgkmcnt(0)
	v_cmp_lt_i64_e32 vcc_lo, v[3:4], v[1:2]
                                        ; implicit-def: $vgpr9
                                        ; implicit-def: $vgpr5
	v_cndmask_b32_e32 v2, v2, v4, vcc_lo
	v_cndmask_b32_e32 v1, v1, v3, vcc_lo
                                        ; implicit-def: $vgpr3_vgpr4
.LBB131_231:
	s_or_saveexec_b32 s3, s3
	v_mov_b32_e32 v8, 1
	s_xor_b32 exec_lo, exec_lo, s3
	s_cbranch_execz .LBB131_233
; %bb.232:
	v_and_b32_e32 v8, 1, v9
	v_and_b32_e32 v5, 0xff, v5
	v_cmp_eq_u32_e32 vcc_lo, 1, v8
	s_waitcnt lgkmcnt(0)
	v_cndmask_b32_e32 v2, v4, v2, vcc_lo
	v_cndmask_b32_e32 v1, v3, v1, vcc_lo
	v_cndmask_b32_e64 v8, v5, 1, vcc_lo
.LBB131_233:
	s_or_b32 exec_lo, exec_lo, s3
	v_mov_b32_e32 v9, v8
.LBB131_234:
	s_or_b32 exec_lo, exec_lo, s2
	s_waitcnt lgkmcnt(0)
	v_or_b32_e32 v4, 16, v7
	v_add_nc_u32_e32 v6, 4, v6
	ds_bpermute_b32 v5, v4, v9
	ds_bpermute_b32 v3, v4, v1
	;; [unrolled: 1-line block ×3, first 2 shown]
	v_cmp_gt_u32_e32 vcc_lo, s0, v6
	s_and_saveexec_b32 s0, vcc_lo
	s_cbranch_execz .LBB131_240
; %bb.235:
	s_waitcnt lgkmcnt(2)
	v_and_b32_e32 v6, v9, v5
	s_mov_b32 s2, exec_lo
	v_and_b32_e32 v6, 1, v6
	v_cmpx_eq_u32_e32 1, v6
	s_xor_b32 s2, exec_lo, s2
	s_cbranch_execz .LBB131_237
; %bb.236:
	s_waitcnt lgkmcnt(0)
	v_cmp_lt_i64_e32 vcc_lo, v[3:4], v[1:2]
                                        ; implicit-def: $vgpr9
                                        ; implicit-def: $vgpr5
	v_cndmask_b32_e32 v2, v2, v4, vcc_lo
	v_cndmask_b32_e32 v1, v1, v3, vcc_lo
                                        ; implicit-def: $vgpr3_vgpr4
.LBB131_237:
	s_or_saveexec_b32 s2, s2
	v_mov_b32_e32 v6, 1
	s_xor_b32 exec_lo, exec_lo, s2
	s_cbranch_execz .LBB131_239
; %bb.238:
	v_and_b32_e32 v6, 1, v9
	v_cmp_eq_u32_e32 vcc_lo, 1, v6
	s_waitcnt lgkmcnt(0)
	v_cndmask_b32_e32 v2, v4, v2, vcc_lo
	v_cndmask_b32_e32 v1, v3, v1, vcc_lo
	v_cndmask_b32_e64 v6, v5, 1, vcc_lo
.LBB131_239:
	s_or_b32 exec_lo, exec_lo, s2
	v_mov_b32_e32 v9, v6
.LBB131_240:
	s_or_b32 exec_lo, exec_lo, s0
.LBB131_241:
	s_or_b32 exec_lo, exec_lo, s1
.LBB131_242:
                                        ; implicit-def: $vgpr3_vgpr4
                                        ; implicit-def: $vgpr5
	s_mov_b32 s0, exec_lo
	v_cmpx_eq_u32_e32 0, v0
	s_xor_b32 s2, exec_lo, s0
	s_cbranch_execz .LBB131_246
; %bb.243:
	s_waitcnt lgkmcnt(0)
	v_mov_b32_e32 v3, s20
	v_mov_b32_e32 v4, s21
	;; [unrolled: 1-line block ×3, first 2 shown]
	s_cmp_eq_u64 s[14:15], 0
	s_cbranch_scc1 .LBB131_245
; %bb.244:
	v_and_b32_e32 v3, 1, v9
	v_cmp_gt_i64_e32 vcc_lo, s[20:21], v[1:2]
	s_bitcmp1_b32 s24, 0
	s_cselect_b32 s1, -1, 0
	v_cmp_eq_u32_e64 s0, 1, v3
	v_cndmask_b32_e64 v5, v9, 1, s1
	s_and_b32 vcc_lo, s0, vcc_lo
	v_cndmask_b32_e32 v3, s20, v1, vcc_lo
	v_cndmask_b32_e32 v4, s21, v2, vcc_lo
	v_cndmask_b32_e64 v3, v1, v3, s1
	v_cndmask_b32_e64 v4, v2, v4, s1
.LBB131_245:
	s_or_b32 s22, s22, exec_lo
.LBB131_246:
	s_or_b32 exec_lo, exec_lo, s2
	v_mov_b32_e32 v1, s6
	v_mov_b32_e32 v2, s7
	s_branch .LBB131_356
.LBB131_247:
	s_cmp_gt_i32 s25, 1
	s_cbranch_scc0 .LBB131_267
; %bb.248:
	s_cmp_eq_u32 s25, 2
	s_cbranch_scc0 .LBB131_268
; %bb.249:
	s_mov_b32 s7, 0
	s_lshl_b32 s10, s6, 9
	s_mov_b32 s11, s7
	s_lshr_b64 s[26:27], s[14:15], 9
	s_lshl_b64 s[0:1], s[10:11], 3
	s_add_u32 s2, s16, s0
	s_addc_u32 s3, s17, s1
	s_add_u32 s8, s18, s0
	s_addc_u32 s9, s19, s1
	;; [unrolled: 2-line block ×3, first 2 shown]
	s_cmp_lg_u64 s[26:27], s[6:7]
	s_cbranch_scc0 .LBB131_269
; %bb.250:
	v_lshlrev_b32_e32 v7, 3, v0
	v_add_co_u32 v1, s0, s2, v7
	v_add_co_ci_u32_e64 v2, null, s3, 0, s0
	s_waitcnt lgkmcnt(1)
	v_add_co_u32 v3, s0, s8, v7
	s_waitcnt lgkmcnt(0)
	v_add_co_ci_u32_e64 v4, null, s9, 0, s0
	v_add_co_u32 v1, vcc_lo, 0x800, v1
	v_add_co_ci_u32_e64 v2, null, 0, v2, vcc_lo
	v_add_co_u32 v3, vcc_lo, 0x800, v3
	v_add_co_ci_u32_e64 v4, null, 0, v4, vcc_lo
	s_clause 0x1
	global_load_dwordx2 v[5:6], v7, s[2:3]
	global_load_dwordx2 v[7:8], v7, s[8:9]
	global_load_dwordx2 v[1:2], v[1:2], off
	global_load_dwordx2 v[3:4], v[3:4], off
	v_add_co_u32 v9, s0, s11, v0
	v_add_co_ci_u32_e64 v10, null, s23, 0, s0
	v_add_co_u32 v11, vcc_lo, 0x100, v9
	v_add_co_ci_u32_e64 v12, null, 0, v10, vcc_lo
	s_waitcnt vmcnt(2)
	v_cmp_ne_u64_e32 vcc_lo, v[5:6], v[7:8]
	v_mbcnt_lo_u32_b32 v8, -1, 0
	s_waitcnt vmcnt(0)
	v_cmp_ne_u64_e64 s0, v[1:2], v[3:4]
	v_cndmask_b32_e32 v5, v12, v10, vcc_lo
	v_cndmask_b32_e32 v4, v11, v9, vcc_lo
	s_or_b32 s0, vcc_lo, s0
	v_cndmask_b32_e64 v3, 0, 1, s0
	v_mov_b32_dpp v2, v5 quad_perm:[1,0,3,2] row_mask:0xf bank_mask:0xf
	v_mov_b32_dpp v1, v4 quad_perm:[1,0,3,2] row_mask:0xf bank_mask:0xf
	;; [unrolled: 1-line block ×3, first 2 shown]
	v_cmp_lt_i64_e32 vcc_lo, v[4:5], v[1:2]
	v_and_b32_e32 v6, 1, v6
	s_and_b32 vcc_lo, s0, vcc_lo
	v_cndmask_b32_e32 v1, v1, v4, vcc_lo
	v_cndmask_b32_e32 v2, v2, v5, vcc_lo
	v_cmp_eq_u32_e32 vcc_lo, 1, v6
	v_cndmask_b32_e32 v2, v5, v2, vcc_lo
	v_cndmask_b32_e32 v1, v4, v1, vcc_lo
	v_cndmask_b32_e64 v5, v3, 1, vcc_lo
	v_mov_b32_dpp v4, v2 quad_perm:[2,3,0,1] row_mask:0xf bank_mask:0xf
	v_mov_b32_dpp v3, v1 quad_perm:[2,3,0,1] row_mask:0xf bank_mask:0xf
	v_and_b32_e32 v7, 1, v5
	v_mov_b32_dpp v6, v5 quad_perm:[2,3,0,1] row_mask:0xf bank_mask:0xf
	v_cmp_lt_i64_e32 vcc_lo, v[1:2], v[3:4]
	v_cmp_eq_u32_e64 s0, 1, v7
	v_and_b32_e32 v6, 1, v6
	s_and_b32 vcc_lo, s0, vcc_lo
	v_cmp_eq_u32_e64 s1, 1, v6
	v_cndmask_b32_e32 v3, v3, v1, vcc_lo
	v_cndmask_b32_e32 v4, v4, v2, vcc_lo
	v_cndmask_b32_e64 v5, v5, 1, s1
	v_cndmask_b32_e64 v1, v1, v3, s1
	;; [unrolled: 1-line block ×3, first 2 shown]
	v_and_b32_e32 v7, 1, v5
	v_mov_b32_dpp v3, v1 row_ror:4 row_mask:0xf bank_mask:0xf
	v_mov_b32_dpp v4, v2 row_ror:4 row_mask:0xf bank_mask:0xf
	;; [unrolled: 1-line block ×3, first 2 shown]
	v_cmp_eq_u32_e64 s0, 1, v7
	v_cmp_lt_i64_e32 vcc_lo, v[1:2], v[3:4]
	v_and_b32_e32 v6, 1, v6
	s_and_b32 vcc_lo, s0, vcc_lo
	v_cmp_eq_u32_e64 s1, 1, v6
	v_cndmask_b32_e32 v3, v3, v1, vcc_lo
	v_cndmask_b32_e32 v4, v4, v2, vcc_lo
	v_cndmask_b32_e64 v5, v5, 1, s1
	v_cndmask_b32_e64 v1, v1, v3, s1
	v_cndmask_b32_e64 v2, v2, v4, s1
	v_and_b32_e32 v7, 1, v5
	v_mov_b32_dpp v3, v1 row_ror:8 row_mask:0xf bank_mask:0xf
	v_mov_b32_dpp v4, v2 row_ror:8 row_mask:0xf bank_mask:0xf
	;; [unrolled: 1-line block ×3, first 2 shown]
	v_cmp_eq_u32_e64 s0, 1, v7
	v_cmp_lt_i64_e32 vcc_lo, v[1:2], v[3:4]
	v_and_b32_e32 v6, 1, v6
	s_and_b32 vcc_lo, s0, vcc_lo
	v_cmp_eq_u32_e64 s1, 1, v6
	v_cndmask_b32_e32 v3, v3, v1, vcc_lo
	v_cndmask_b32_e32 v4, v4, v2, vcc_lo
	v_cndmask_b32_e64 v5, v5, 1, s1
	v_cndmask_b32_e64 v1, v1, v3, s1
	;; [unrolled: 1-line block ×3, first 2 shown]
	ds_swizzle_b32 v6, v5 offset:swizzle(BROADCAST,32,15)
	ds_swizzle_b32 v3, v1 offset:swizzle(BROADCAST,32,15)
	;; [unrolled: 1-line block ×3, first 2 shown]
	v_and_b32_e32 v7, 1, v5
	v_cmp_eq_u32_e64 s0, 1, v7
	s_waitcnt lgkmcnt(2)
	v_and_b32_e32 v6, 1, v6
	s_waitcnt lgkmcnt(0)
	v_cmp_lt_i64_e32 vcc_lo, v[1:2], v[3:4]
	v_cmp_eq_u32_e64 s1, 1, v6
	v_mov_b32_e32 v6, 0
	s_and_b32 vcc_lo, s0, vcc_lo
	s_mov_b32 s0, exec_lo
	v_cndmask_b32_e32 v3, v3, v1, vcc_lo
	v_cndmask_b32_e32 v4, v4, v2, vcc_lo
	v_cndmask_b32_e64 v5, v5, 1, s1
	v_cndmask_b32_e64 v1, v1, v3, s1
	;; [unrolled: 1-line block ×3, first 2 shown]
	ds_bpermute_b32 v7, v6, v5 offset:124
	ds_bpermute_b32 v1, v6, v1 offset:124
	;; [unrolled: 1-line block ×3, first 2 shown]
	v_cmpx_eq_u32_e32 0, v8
	s_cbranch_execz .LBB131_252
; %bb.251:
	v_lshrrev_b32_e32 v3, 1, v0
	v_and_b32_e32 v3, 0x70, v3
	s_waitcnt lgkmcnt(2)
	ds_write_b8 v3, v7 offset:128
	s_waitcnt lgkmcnt(1)
	ds_write_b64 v3, v[1:2] offset:136
.LBB131_252:
	s_or_b32 exec_lo, exec_lo, s0
	s_mov_b32 s0, exec_lo
	s_waitcnt lgkmcnt(0)
	s_barrier
	buffer_gl0_inv
	v_cmpx_gt_u32_e32 32, v0
	s_cbranch_execz .LBB131_266
; %bb.253:
	v_and_b32_e32 v7, 7, v8
	v_lshlrev_b32_e32 v1, 4, v7
	v_cmp_ne_u32_e32 vcc_lo, 7, v7
	ds_read_u8 v10, v1 offset:128
	ds_read_b64 v[3:4], v1 offset:136
	v_add_co_ci_u32_e64 v2, null, 0, v8, vcc_lo
	v_lshlrev_b32_e32 v2, 2, v2
	s_waitcnt lgkmcnt(1)
	v_and_b32_e32 v1, 0xff, v10
	s_waitcnt lgkmcnt(0)
	ds_bpermute_b32 v5, v2, v3
	ds_bpermute_b32 v6, v2, v4
	;; [unrolled: 1-line block ×3, first 2 shown]
	s_waitcnt lgkmcnt(0)
	v_and_b32_e32 v1, v10, v11
	v_and_b32_e32 v1, 1, v1
	v_cmp_eq_u32_e32 vcc_lo, 1, v1
                                        ; implicit-def: $vgpr1_vgpr2
	s_and_saveexec_b32 s1, vcc_lo
	s_xor_b32 s1, exec_lo, s1
; %bb.254:
	v_cmp_lt_i64_e32 vcc_lo, v[5:6], v[3:4]
                                        ; implicit-def: $vgpr10
                                        ; implicit-def: $vgpr11
	v_cndmask_b32_e32 v2, v4, v6, vcc_lo
	v_cndmask_b32_e32 v1, v3, v5, vcc_lo
                                        ; implicit-def: $vgpr5_vgpr6
                                        ; implicit-def: $vgpr3_vgpr4
; %bb.255:
	s_or_saveexec_b32 s1, s1
	v_mov_b32_e32 v9, 1
	s_xor_b32 exec_lo, exec_lo, s1
; %bb.256:
	v_and_b32_e32 v1, 1, v10
	v_and_b32_e32 v9, 0xff, v11
	v_cmp_eq_u32_e32 vcc_lo, 1, v1
	v_cndmask_b32_e32 v2, v6, v4, vcc_lo
	v_cndmask_b32_e32 v1, v5, v3, vcc_lo
	v_cndmask_b32_e64 v9, v9, 1, vcc_lo
; %bb.257:
	s_or_b32 exec_lo, exec_lo, s1
	v_cmp_gt_u32_e32 vcc_lo, 6, v7
	v_cndmask_b32_e64 v3, 0, 2, vcc_lo
	v_add_lshl_u32 v3, v3, v8, 2
	ds_bpermute_b32 v7, v3, v9
	ds_bpermute_b32 v5, v3, v1
	;; [unrolled: 1-line block ×3, first 2 shown]
	s_waitcnt lgkmcnt(2)
	v_and_b32_e32 v3, v9, v7
	v_and_b32_e32 v3, 1, v3
	v_cmp_eq_u32_e32 vcc_lo, 1, v3
                                        ; implicit-def: $vgpr3_vgpr4
	s_and_saveexec_b32 s1, vcc_lo
	s_xor_b32 s1, exec_lo, s1
	s_cbranch_execz .LBB131_259
; %bb.258:
	s_waitcnt lgkmcnt(0)
	v_cmp_lt_i64_e32 vcc_lo, v[5:6], v[1:2]
                                        ; implicit-def: $vgpr9
                                        ; implicit-def: $vgpr7
	v_cndmask_b32_e32 v4, v2, v6, vcc_lo
	v_cndmask_b32_e32 v3, v1, v5, vcc_lo
                                        ; implicit-def: $vgpr5_vgpr6
                                        ; implicit-def: $vgpr1_vgpr2
.LBB131_259:
	s_or_saveexec_b32 s1, s1
	v_lshlrev_b32_e32 v10, 2, v8
	v_mov_b32_e32 v8, 1
	s_xor_b32 exec_lo, exec_lo, s1
	s_cbranch_execz .LBB131_261
; %bb.260:
	v_and_b32_e32 v3, 1, v9
	v_and_b32_e32 v7, 0xff, v7
	v_cmp_eq_u32_e32 vcc_lo, 1, v3
	s_waitcnt lgkmcnt(0)
	v_cndmask_b32_e32 v4, v6, v2, vcc_lo
	v_cndmask_b32_e32 v3, v5, v1, vcc_lo
	v_cndmask_b32_e64 v8, v7, 1, vcc_lo
.LBB131_261:
	s_or_b32 exec_lo, exec_lo, s1
	v_or_b32_e32 v1, 16, v10
	ds_bpermute_b32 v9, v1, v8
	s_waitcnt lgkmcnt(2)
	ds_bpermute_b32 v5, v1, v3
	s_waitcnt lgkmcnt(2)
	;; [unrolled: 2-line block ×3, first 2 shown]
	v_and_b32_e32 v1, v8, v9
	v_and_b32_e32 v1, 1, v1
	v_cmp_eq_u32_e32 vcc_lo, 1, v1
                                        ; implicit-def: $vgpr1_vgpr2
	s_and_saveexec_b32 s1, vcc_lo
	s_xor_b32 s1, exec_lo, s1
	s_cbranch_execz .LBB131_263
; %bb.262:
	s_waitcnt lgkmcnt(0)
	v_cmp_lt_i64_e32 vcc_lo, v[5:6], v[3:4]
                                        ; implicit-def: $vgpr8
                                        ; implicit-def: $vgpr9
	v_cndmask_b32_e32 v2, v4, v6, vcc_lo
	v_cndmask_b32_e32 v1, v3, v5, vcc_lo
                                        ; implicit-def: $vgpr5_vgpr6
                                        ; implicit-def: $vgpr3_vgpr4
.LBB131_263:
	s_or_saveexec_b32 s1, s1
	v_mov_b32_e32 v7, 1
	s_xor_b32 exec_lo, exec_lo, s1
	s_cbranch_execz .LBB131_265
; %bb.264:
	v_and_b32_e32 v1, 1, v8
	v_cmp_eq_u32_e32 vcc_lo, 1, v1
	s_waitcnt lgkmcnt(0)
	v_cndmask_b32_e32 v2, v6, v4, vcc_lo
	v_cndmask_b32_e32 v1, v5, v3, vcc_lo
	v_cndmask_b32_e64 v7, v9, 1, vcc_lo
.LBB131_265:
	s_or_b32 exec_lo, exec_lo, s1
.LBB131_266:
	s_or_b32 exec_lo, exec_lo, s0
	s_branch .LBB131_327
.LBB131_267:
                                        ; implicit-def: $vgpr3_vgpr4
                                        ; implicit-def: $vgpr5
                                        ; implicit-def: $vgpr1_vgpr2
	s_cbranch_execnz .LBB131_332
	s_branch .LBB131_356
.LBB131_268:
                                        ; implicit-def: $vgpr3_vgpr4
                                        ; implicit-def: $vgpr5
                                        ; implicit-def: $vgpr1_vgpr2
	s_branch .LBB131_356
.LBB131_269:
                                        ; implicit-def: $vgpr1_vgpr2
                                        ; implicit-def: $vgpr7
	s_cbranch_execz .LBB131_327
; %bb.270:
	s_waitcnt lgkmcnt(0)
	v_mov_b32_e32 v3, 0
	v_mov_b32_e32 v1, 0
	;; [unrolled: 1-line block ×6, first 2 shown]
	s_sub_i32 s10, s14, s10
	s_mov_b32 s0, exec_lo
	v_cmpx_gt_u32_e64 s10, v0
	s_cbranch_execz .LBB131_272
; %bb.271:
	v_lshlrev_b32_e32 v1, 3, v0
	s_clause 0x1
	global_load_dwordx2 v[6:7], v1, s[2:3]
	global_load_dwordx2 v[8:9], v1, s[8:9]
	v_add_co_u32 v1, s1, s11, v0
	v_add_co_ci_u32_e64 v2, null, s23, 0, s1
	s_waitcnt vmcnt(0)
	v_cmp_ne_u64_e32 vcc_lo, v[6:7], v[8:9]
	v_cndmask_b32_e64 v6, 0, 1, vcc_lo
.LBB131_272:
	s_or_b32 exec_lo, exec_lo, s0
	v_or_b32_e32 v7, 0x100, v0
	v_cmp_gt_u32_e32 vcc_lo, s10, v7
	s_and_saveexec_b32 s1, vcc_lo
	s_cbranch_execz .LBB131_274
; %bb.273:
	v_lshlrev_b32_e32 v3, 3, v7
	s_clause 0x1
	global_load_dwordx2 v[8:9], v3, s[2:3]
	global_load_dwordx2 v[10:11], v3, s[8:9]
	v_add_co_u32 v3, s0, s11, v7
	v_add_co_ci_u32_e64 v4, null, s23, 0, s0
	s_waitcnt vmcnt(0)
	v_cmp_ne_u64_e64 s0, v[8:9], v[10:11]
	v_cndmask_b32_e64 v5, 0, 1, s0
.LBB131_274:
	s_or_b32 exec_lo, exec_lo, s1
	v_and_b32_e32 v7, 1, v5
	v_cmp_lt_i64_e64 s0, v[3:4], v[1:2]
	v_and_b32_e32 v8, 0xffff, v5
	v_mbcnt_lo_u32_b32 v5, -1, 0
	v_cmp_eq_u32_e64 s1, 1, v7
	v_and_b32_e32 v7, 0xffff, v6
	v_and_b32_e32 v6, 1, v6
	s_and_b32 s0, s1, s0
	v_cmp_ne_u32_e64 s1, 31, v5
	v_cndmask_b32_e64 v9, v2, v4, s0
	v_cndmask_b32_e64 v10, v1, v3, s0
	v_cmp_eq_u32_e64 s0, 1, v6
	v_cndmask_b32_e64 v6, v8, 1, s0
	v_add_co_ci_u32_e64 v8, null, 0, v5, s1
	v_cndmask_b32_e64 v3, v3, v10, s0
	v_cndmask_b32_e64 v4, v4, v9, s0
	v_cndmask_b32_e32 v7, v7, v6, vcc_lo
	v_lshlrev_b32_e32 v6, 2, v8
	s_min_u32 s0, s10, 0x100
	v_cndmask_b32_e32 v1, v1, v3, vcc_lo
	v_cndmask_b32_e32 v2, v2, v4, vcc_lo
	v_add_nc_u32_e32 v9, 1, v5
	ds_bpermute_b32 v8, v6, v7
	s_mov_b32 s1, exec_lo
	ds_bpermute_b32 v3, v6, v1
	ds_bpermute_b32 v4, v6, v2
	v_and_b32_e32 v6, 0xe0, v0
	v_sub_nc_u32_e64 v6, s0, v6 clamp
	v_cmpx_lt_u32_e64 v9, v6
	s_cbranch_execz .LBB131_280
; %bb.275:
	s_waitcnt lgkmcnt(2)
	v_and_b32_e32 v9, v7, v8
	s_mov_b32 s2, exec_lo
	v_cmpx_ne_u32_e32 0, v9
	s_xor_b32 s2, exec_lo, s2
	s_cbranch_execz .LBB131_277
; %bb.276:
	s_waitcnt lgkmcnt(0)
	v_cmp_lt_i64_e32 vcc_lo, v[3:4], v[1:2]
                                        ; implicit-def: $vgpr7
                                        ; implicit-def: $vgpr8
	v_cndmask_b32_e32 v2, v2, v4, vcc_lo
	v_cndmask_b32_e32 v1, v1, v3, vcc_lo
                                        ; implicit-def: $vgpr3_vgpr4
.LBB131_277:
	s_or_saveexec_b32 s2, s2
	v_mov_b32_e32 v9, 1
	s_xor_b32 exec_lo, exec_lo, s2
	s_cbranch_execz .LBB131_279
; %bb.278:
	v_and_b32_e32 v7, 1, v7
	v_cmp_eq_u32_e32 vcc_lo, 1, v7
	v_and_b32_e32 v7, 0xff, v8
	s_waitcnt lgkmcnt(0)
	v_cndmask_b32_e32 v2, v4, v2, vcc_lo
	v_cndmask_b32_e32 v1, v3, v1, vcc_lo
	v_cndmask_b32_e64 v9, v7, 1, vcc_lo
.LBB131_279:
	s_or_b32 exec_lo, exec_lo, s2
	v_mov_b32_e32 v7, v9
.LBB131_280:
	s_or_b32 exec_lo, exec_lo, s1
	v_cmp_gt_u32_e32 vcc_lo, 30, v5
	v_add_nc_u32_e32 v9, 2, v5
	s_mov_b32 s1, exec_lo
	s_waitcnt lgkmcnt(1)
	v_cndmask_b32_e64 v3, 0, 2, vcc_lo
	s_waitcnt lgkmcnt(0)
	v_add_lshl_u32 v4, v3, v5, 2
	ds_bpermute_b32 v8, v4, v7
	ds_bpermute_b32 v3, v4, v1
	ds_bpermute_b32 v4, v4, v2
	v_cmpx_lt_u32_e64 v9, v6
	s_cbranch_execz .LBB131_286
; %bb.281:
	s_waitcnt lgkmcnt(2)
	v_and_b32_e32 v9, v7, v8
	s_mov_b32 s2, exec_lo
	v_and_b32_e32 v9, 1, v9
	v_cmpx_eq_u32_e32 1, v9
	s_xor_b32 s2, exec_lo, s2
	s_cbranch_execz .LBB131_283
; %bb.282:
	s_waitcnt lgkmcnt(0)
	v_cmp_lt_i64_e32 vcc_lo, v[3:4], v[1:2]
                                        ; implicit-def: $vgpr7
                                        ; implicit-def: $vgpr8
	v_cndmask_b32_e32 v2, v2, v4, vcc_lo
	v_cndmask_b32_e32 v1, v1, v3, vcc_lo
                                        ; implicit-def: $vgpr3_vgpr4
.LBB131_283:
	s_or_saveexec_b32 s2, s2
	v_mov_b32_e32 v9, 1
	s_xor_b32 exec_lo, exec_lo, s2
	s_cbranch_execz .LBB131_285
; %bb.284:
	v_and_b32_e32 v7, 1, v7
	v_cmp_eq_u32_e32 vcc_lo, 1, v7
	v_and_b32_e32 v7, 0xff, v8
	s_waitcnt lgkmcnt(0)
	v_cndmask_b32_e32 v2, v4, v2, vcc_lo
	v_cndmask_b32_e32 v1, v3, v1, vcc_lo
	v_cndmask_b32_e64 v9, v7, 1, vcc_lo
.LBB131_285:
	s_or_b32 exec_lo, exec_lo, s2
	v_mov_b32_e32 v7, v9
.LBB131_286:
	s_or_b32 exec_lo, exec_lo, s1
	v_cmp_gt_u32_e32 vcc_lo, 28, v5
	v_add_nc_u32_e32 v9, 4, v5
	s_mov_b32 s1, exec_lo
	s_waitcnt lgkmcnt(1)
	v_cndmask_b32_e64 v3, 0, 4, vcc_lo
	s_waitcnt lgkmcnt(0)
	v_add_lshl_u32 v4, v3, v5, 2
	ds_bpermute_b32 v8, v4, v7
	ds_bpermute_b32 v3, v4, v1
	ds_bpermute_b32 v4, v4, v2
	v_cmpx_lt_u32_e64 v9, v6
	s_cbranch_execz .LBB131_292
; %bb.287:
	s_waitcnt lgkmcnt(2)
	v_and_b32_e32 v9, v7, v8
	s_mov_b32 s2, exec_lo
	v_and_b32_e32 v9, 1, v9
	v_cmpx_eq_u32_e32 1, v9
	s_xor_b32 s2, exec_lo, s2
	s_cbranch_execz .LBB131_289
; %bb.288:
	s_waitcnt lgkmcnt(0)
	v_cmp_lt_i64_e32 vcc_lo, v[3:4], v[1:2]
                                        ; implicit-def: $vgpr7
                                        ; implicit-def: $vgpr8
	v_cndmask_b32_e32 v2, v2, v4, vcc_lo
	v_cndmask_b32_e32 v1, v1, v3, vcc_lo
                                        ; implicit-def: $vgpr3_vgpr4
.LBB131_289:
	s_or_saveexec_b32 s2, s2
	v_mov_b32_e32 v9, 1
	s_xor_b32 exec_lo, exec_lo, s2
	s_cbranch_execz .LBB131_291
; %bb.290:
	v_and_b32_e32 v7, 1, v7
	v_cmp_eq_u32_e32 vcc_lo, 1, v7
	v_and_b32_e32 v7, 0xff, v8
	s_waitcnt lgkmcnt(0)
	v_cndmask_b32_e32 v2, v4, v2, vcc_lo
	v_cndmask_b32_e32 v1, v3, v1, vcc_lo
	v_cndmask_b32_e64 v9, v7, 1, vcc_lo
.LBB131_291:
	s_or_b32 exec_lo, exec_lo, s2
	v_mov_b32_e32 v7, v9
.LBB131_292:
	;; [unrolled: 46-line block ×3, first 2 shown]
	s_or_b32 exec_lo, exec_lo, s1
	s_waitcnt lgkmcnt(2)
	v_lshlrev_b32_e32 v8, 2, v5
	v_add_nc_u32_e32 v10, 16, v5
	s_waitcnt lgkmcnt(0)
	v_or_b32_e32 v4, 64, v8
	v_cmp_lt_u32_e32 vcc_lo, v10, v6
	v_mov_b32_e32 v6, v7
	ds_bpermute_b32 v9, v4, v7
	ds_bpermute_b32 v3, v4, v1
	;; [unrolled: 1-line block ×3, first 2 shown]
	s_and_saveexec_b32 s1, vcc_lo
	s_cbranch_execz .LBB131_304
; %bb.299:
	s_waitcnt lgkmcnt(2)
	v_and_b32_e32 v6, v7, v9
	s_mov_b32 s2, exec_lo
	v_and_b32_e32 v6, 1, v6
	v_cmpx_eq_u32_e32 1, v6
	s_xor_b32 s2, exec_lo, s2
	s_cbranch_execz .LBB131_301
; %bb.300:
	s_waitcnt lgkmcnt(0)
	v_cmp_lt_i64_e32 vcc_lo, v[3:4], v[1:2]
                                        ; implicit-def: $vgpr7
                                        ; implicit-def: $vgpr9
	v_cndmask_b32_e32 v2, v2, v4, vcc_lo
	v_cndmask_b32_e32 v1, v1, v3, vcc_lo
                                        ; implicit-def: $vgpr3_vgpr4
.LBB131_301:
	s_or_saveexec_b32 s2, s2
	v_mov_b32_e32 v6, 1
	s_xor_b32 exec_lo, exec_lo, s2
	s_cbranch_execz .LBB131_303
; %bb.302:
	v_and_b32_e32 v6, 1, v7
	v_cmp_eq_u32_e32 vcc_lo, 1, v6
	v_cndmask_b32_e64 v6, v9, 1, vcc_lo
	s_waitcnt lgkmcnt(0)
	v_cndmask_b32_e32 v2, v4, v2, vcc_lo
	v_cndmask_b32_e32 v1, v3, v1, vcc_lo
.LBB131_303:
	s_or_b32 exec_lo, exec_lo, s2
	v_and_b32_e32 v7, 0xff, v6
.LBB131_304:
	s_or_b32 exec_lo, exec_lo, s1
	s_mov_b32 s1, exec_lo
	v_cmpx_eq_u32_e32 0, v5
	s_cbranch_execz .LBB131_306
; %bb.305:
	s_waitcnt lgkmcnt(1)
	v_lshrrev_b32_e32 v3, 1, v0
	v_and_b32_e32 v3, 0x70, v3
	ds_write_b8 v3, v6 offset:512
	ds_write_b64 v3, v[1:2] offset:520
.LBB131_306:
	s_or_b32 exec_lo, exec_lo, s1
	s_mov_b32 s1, exec_lo
	s_waitcnt lgkmcnt(0)
	s_barrier
	buffer_gl0_inv
	v_cmpx_gt_u32_e32 8, v0
	s_cbranch_execz .LBB131_326
; %bb.307:
	v_lshlrev_b32_e32 v1, 4, v5
	v_and_b32_e32 v6, 7, v5
	s_add_i32 s0, s0, 31
	s_mov_b32 s2, exec_lo
	s_lshr_b32 s0, s0, 5
	ds_read_u8 v9, v1 offset:512
	ds_read_b64 v[1:2], v1 offset:520
	v_cmp_ne_u32_e32 vcc_lo, 7, v6
	v_add_nc_u32_e32 v11, 1, v6
	v_add_co_ci_u32_e64 v3, null, 0, v5, vcc_lo
	v_lshlrev_b32_e32 v4, 2, v3
	s_waitcnt lgkmcnt(1)
	v_and_b32_e32 v7, 0xff, v9
	s_waitcnt lgkmcnt(0)
	ds_bpermute_b32 v3, v4, v1
	ds_bpermute_b32 v10, v4, v7
	;; [unrolled: 1-line block ×3, first 2 shown]
	v_cmpx_gt_u32_e64 s0, v11
	s_cbranch_execz .LBB131_313
; %bb.308:
	s_waitcnt lgkmcnt(1)
	v_and_b32_e32 v7, v7, v10
	s_mov_b32 s3, exec_lo
	v_and_b32_e32 v7, 1, v7
	v_cmpx_eq_u32_e32 1, v7
	s_xor_b32 s3, exec_lo, s3
	s_cbranch_execz .LBB131_310
; %bb.309:
	s_waitcnt lgkmcnt(0)
	v_cmp_lt_i64_e32 vcc_lo, v[3:4], v[1:2]
                                        ; implicit-def: $vgpr9
                                        ; implicit-def: $vgpr10
	v_cndmask_b32_e32 v2, v2, v4, vcc_lo
	v_cndmask_b32_e32 v1, v1, v3, vcc_lo
                                        ; implicit-def: $vgpr3_vgpr4
.LBB131_310:
	s_or_saveexec_b32 s3, s3
	v_mov_b32_e32 v7, 1
	s_xor_b32 exec_lo, exec_lo, s3
	s_cbranch_execz .LBB131_312
; %bb.311:
	v_and_b32_e32 v7, 1, v9
	v_cmp_eq_u32_e32 vcc_lo, 1, v7
	v_and_b32_e32 v7, 0xff, v10
	s_waitcnt lgkmcnt(0)
	v_cndmask_b32_e32 v2, v4, v2, vcc_lo
	v_cndmask_b32_e32 v1, v3, v1, vcc_lo
	v_cndmask_b32_e64 v7, v7, 1, vcc_lo
.LBB131_312:
	s_or_b32 exec_lo, exec_lo, s3
.LBB131_313:
	s_or_b32 exec_lo, exec_lo, s2
	v_cmp_gt_u32_e32 vcc_lo, 6, v6
	v_add_nc_u32_e32 v9, 2, v6
	s_mov_b32 s2, exec_lo
	s_waitcnt lgkmcnt(2)
	v_cndmask_b32_e64 v3, 0, 2, vcc_lo
	s_waitcnt lgkmcnt(0)
	v_add_lshl_u32 v4, v3, v5, 2
	ds_bpermute_b32 v5, v4, v7
	ds_bpermute_b32 v3, v4, v1
	;; [unrolled: 1-line block ×3, first 2 shown]
	v_cmpx_gt_u32_e64 s0, v9
	s_cbranch_execz .LBB131_319
; %bb.314:
	s_waitcnt lgkmcnt(2)
	v_and_b32_e32 v9, v7, v5
	s_mov_b32 s3, exec_lo
	v_and_b32_e32 v9, 1, v9
	v_cmpx_eq_u32_e32 1, v9
	s_xor_b32 s3, exec_lo, s3
	s_cbranch_execz .LBB131_316
; %bb.315:
	s_waitcnt lgkmcnt(0)
	v_cmp_lt_i64_e32 vcc_lo, v[3:4], v[1:2]
                                        ; implicit-def: $vgpr7
                                        ; implicit-def: $vgpr5
	v_cndmask_b32_e32 v2, v2, v4, vcc_lo
	v_cndmask_b32_e32 v1, v1, v3, vcc_lo
                                        ; implicit-def: $vgpr3_vgpr4
.LBB131_316:
	s_or_saveexec_b32 s3, s3
	v_mov_b32_e32 v9, 1
	s_xor_b32 exec_lo, exec_lo, s3
	s_cbranch_execz .LBB131_318
; %bb.317:
	v_and_b32_e32 v7, 1, v7
	v_and_b32_e32 v5, 0xff, v5
	v_cmp_eq_u32_e32 vcc_lo, 1, v7
	s_waitcnt lgkmcnt(0)
	v_cndmask_b32_e32 v2, v4, v2, vcc_lo
	v_cndmask_b32_e32 v1, v3, v1, vcc_lo
	v_cndmask_b32_e64 v9, v5, 1, vcc_lo
.LBB131_318:
	s_or_b32 exec_lo, exec_lo, s3
	v_mov_b32_e32 v7, v9
.LBB131_319:
	s_or_b32 exec_lo, exec_lo, s2
	s_waitcnt lgkmcnt(0)
	v_or_b32_e32 v4, 16, v8
	v_add_nc_u32_e32 v6, 4, v6
	ds_bpermute_b32 v5, v4, v7
	ds_bpermute_b32 v3, v4, v1
	;; [unrolled: 1-line block ×3, first 2 shown]
	v_cmp_gt_u32_e32 vcc_lo, s0, v6
	s_and_saveexec_b32 s0, vcc_lo
	s_cbranch_execz .LBB131_325
; %bb.320:
	s_waitcnt lgkmcnt(2)
	v_and_b32_e32 v6, v7, v5
	s_mov_b32 s2, exec_lo
	v_and_b32_e32 v6, 1, v6
	v_cmpx_eq_u32_e32 1, v6
	s_xor_b32 s2, exec_lo, s2
	s_cbranch_execz .LBB131_322
; %bb.321:
	s_waitcnt lgkmcnt(0)
	v_cmp_lt_i64_e32 vcc_lo, v[3:4], v[1:2]
                                        ; implicit-def: $vgpr7
                                        ; implicit-def: $vgpr5
	v_cndmask_b32_e32 v2, v2, v4, vcc_lo
	v_cndmask_b32_e32 v1, v1, v3, vcc_lo
                                        ; implicit-def: $vgpr3_vgpr4
.LBB131_322:
	s_or_saveexec_b32 s2, s2
	v_mov_b32_e32 v6, 1
	s_xor_b32 exec_lo, exec_lo, s2
	s_cbranch_execz .LBB131_324
; %bb.323:
	v_and_b32_e32 v6, 1, v7
	v_cmp_eq_u32_e32 vcc_lo, 1, v6
	s_waitcnt lgkmcnt(0)
	v_cndmask_b32_e32 v2, v4, v2, vcc_lo
	v_cndmask_b32_e32 v1, v3, v1, vcc_lo
	v_cndmask_b32_e64 v6, v5, 1, vcc_lo
.LBB131_324:
	s_or_b32 exec_lo, exec_lo, s2
	v_mov_b32_e32 v7, v6
.LBB131_325:
	s_or_b32 exec_lo, exec_lo, s0
.LBB131_326:
	s_or_b32 exec_lo, exec_lo, s1
.LBB131_327:
                                        ; implicit-def: $vgpr3_vgpr4
                                        ; implicit-def: $vgpr5
	s_mov_b32 s0, exec_lo
	v_cmpx_eq_u32_e32 0, v0
	s_xor_b32 s2, exec_lo, s0
	s_cbranch_execz .LBB131_331
; %bb.328:
	s_waitcnt lgkmcnt(0)
	v_mov_b32_e32 v3, s20
	v_mov_b32_e32 v4, s21
	;; [unrolled: 1-line block ×3, first 2 shown]
	s_cmp_eq_u64 s[14:15], 0
	s_cbranch_scc1 .LBB131_330
; %bb.329:
	v_and_b32_e32 v3, 1, v7
	v_cmp_gt_i64_e32 vcc_lo, s[20:21], v[1:2]
	s_bitcmp1_b32 s24, 0
	s_cselect_b32 s1, -1, 0
	v_cmp_eq_u32_e64 s0, 1, v3
	v_cndmask_b32_e64 v5, v7, 1, s1
	s_and_b32 vcc_lo, s0, vcc_lo
	v_cndmask_b32_e32 v3, s20, v1, vcc_lo
	v_cndmask_b32_e32 v4, s21, v2, vcc_lo
	v_cndmask_b32_e64 v3, v1, v3, s1
	v_cndmask_b32_e64 v4, v2, v4, s1
.LBB131_330:
	s_or_b32 s22, s22, exec_lo
.LBB131_331:
	s_or_b32 exec_lo, exec_lo, s2
	v_mov_b32_e32 v1, s6
	v_mov_b32_e32 v2, s7
	s_branch .LBB131_356
.LBB131_332:
	s_cmp_eq_u32 s25, 1
	s_cbranch_scc0 .LBB131_355
; %bb.333:
	s_mov_b32 s3, 0
	s_lshr_b64 s[0:1], s[14:15], 8
	s_mov_b32 s7, s3
	s_lshl_b32 s2, s6, 8
	s_cmp_lg_u64 s[0:1], s[6:7]
	s_cbranch_scc0 .LBB131_359
; %bb.334:
	s_lshl_b64 s[0:1], s[2:3], 3
	s_waitcnt lgkmcnt(1)
	v_lshlrev_b32_e32 v3, 3, v0
	s_add_u32 s8, s16, s0
	s_addc_u32 s9, s17, s1
	s_add_u32 s0, s18, s0
	s_addc_u32 s1, s19, s1
	global_load_dwordx2 v[1:2], v3, s[8:9]
	s_waitcnt lgkmcnt(0)
	global_load_dwordx2 v[3:4], v3, s[0:1]
	s_add_u32 s0, s12, s2
	s_addc_u32 s1, s13, 0
	v_add_co_u32 v5, s0, s0, v0
	v_add_co_ci_u32_e64 v6, null, s1, 0, s0
	v_mov_b32_dpp v7, v5 quad_perm:[1,0,3,2] row_mask:0xf bank_mask:0xf
	v_mov_b32_dpp v8, v6 quad_perm:[1,0,3,2] row_mask:0xf bank_mask:0xf
	v_cmp_lt_i64_e64 s0, v[5:6], v[7:8]
	s_waitcnt vmcnt(0)
	v_cmp_ne_u64_e32 vcc_lo, v[1:2], v[3:4]
	v_cndmask_b32_e64 v1, 0, 1, vcc_lo
	s_and_b32 s0, vcc_lo, s0
	v_cndmask_b32_e64 v2, v7, v5, s0
	v_cndmask_b32_e64 v3, v8, v6, s0
	v_mov_b32_dpp v1, v1 quad_perm:[1,0,3,2] row_mask:0xf bank_mask:0xf
                                        ; implicit-def: $vgpr7
	v_and_b32_e32 v1, 1, v1
	v_cmp_eq_u32_e64 s0, 1, v1
	s_or_b32 s1, s0, vcc_lo
	v_cndmask_b32_e64 v4, v6, v3, s0
	v_cndmask_b32_e64 v1, 0, 1, s1
	;; [unrolled: 1-line block ×3, first 2 shown]
	v_mov_b32_dpp v6, v4 quad_perm:[2,3,0,1] row_mask:0xf bank_mask:0xf
	v_mov_b32_dpp v1, v1 quad_perm:[2,3,0,1] row_mask:0xf bank_mask:0xf
	;; [unrolled: 1-line block ×3, first 2 shown]
	v_and_b32_e32 v1, 1, v1
	v_cmp_eq_u32_e32 vcc_lo, 1, v1
                                        ; implicit-def: $vgpr1_vgpr2
	s_and_b32 s0, vcc_lo, s1
	s_xor_b32 s0, s0, -1
	s_and_saveexec_b32 s8, s0
	s_xor_b32 s0, exec_lo, s8
; %bb.335:
	s_or_b32 s1, vcc_lo, s1
	v_cndmask_b32_e32 v2, v4, v6, vcc_lo
	v_cndmask_b32_e32 v1, v3, v5, vcc_lo
	v_cndmask_b32_e64 v7, 0, 1, s1
                                        ; implicit-def: $vgpr3_vgpr4
                                        ; implicit-def: $vgpr5_vgpr6
; %bb.336:
	s_andn2_saveexec_b32 s0, s0
; %bb.337:
	v_cmp_lt_i64_e32 vcc_lo, v[3:4], v[5:6]
	v_mov_b32_e32 v7, 1
	v_cndmask_b32_e32 v2, v6, v4, vcc_lo
	v_cndmask_b32_e32 v1, v5, v3, vcc_lo
; %bb.338:
	s_or_b32 exec_lo, exec_lo, s0
	v_mov_b32_dpp v3, v1 row_ror:4 row_mask:0xf bank_mask:0xf
	v_mov_b32_dpp v4, v2 row_ror:4 row_mask:0xf bank_mask:0xf
	v_and_b32_e32 v6, 1, v7
	v_mov_b32_dpp v5, v7 row_ror:4 row_mask:0xf bank_mask:0xf
	v_mbcnt_lo_u32_b32 v8, -1, 0
	v_cmp_lt_i64_e32 vcc_lo, v[1:2], v[3:4]
	v_cmp_eq_u32_e64 s0, 1, v6
	v_and_b32_e32 v5, 1, v5
	s_and_b32 vcc_lo, s0, vcc_lo
	v_cmp_eq_u32_e64 s1, 1, v5
	v_cndmask_b32_e32 v3, v3, v1, vcc_lo
	v_cndmask_b32_e32 v4, v4, v2, vcc_lo
	v_cndmask_b32_e64 v5, v7, 1, s1
	v_cndmask_b32_e64 v1, v1, v3, s1
	;; [unrolled: 1-line block ×3, first 2 shown]
	v_and_b32_e32 v7, 1, v5
	v_mov_b32_dpp v3, v1 row_ror:8 row_mask:0xf bank_mask:0xf
	v_mov_b32_dpp v4, v2 row_ror:8 row_mask:0xf bank_mask:0xf
	;; [unrolled: 1-line block ×3, first 2 shown]
	v_cmp_eq_u32_e64 s0, 1, v7
	v_cmp_lt_i64_e32 vcc_lo, v[1:2], v[3:4]
	v_and_b32_e32 v6, 1, v6
	v_cmp_eq_u32_e64 s1, 1, v6
	s_and_b32 vcc_lo, s0, vcc_lo
	v_cndmask_b32_e32 v3, v3, v1, vcc_lo
	v_cndmask_b32_e32 v4, v4, v2, vcc_lo
	v_cndmask_b32_e64 v5, v5, 1, s1
	v_cndmask_b32_e64 v1, v1, v3, s1
	;; [unrolled: 1-line block ×3, first 2 shown]
	ds_swizzle_b32 v6, v5 offset:swizzle(BROADCAST,32,15)
	v_and_b32_e32 v7, 1, v5
	ds_swizzle_b32 v3, v1 offset:swizzle(BROADCAST,32,15)
	ds_swizzle_b32 v4, v2 offset:swizzle(BROADCAST,32,15)
	v_cmp_eq_u32_e64 s0, 1, v7
	s_waitcnt lgkmcnt(2)
	v_and_b32_e32 v6, 1, v6
	s_waitcnt lgkmcnt(0)
	v_cmp_lt_i64_e32 vcc_lo, v[1:2], v[3:4]
	v_cmp_eq_u32_e64 s1, 1, v6
	v_mov_b32_e32 v6, 0
	s_and_b32 vcc_lo, s0, vcc_lo
	v_cndmask_b32_e64 v5, v5, 1, s1
	v_cndmask_b32_e32 v3, v3, v1, vcc_lo
	v_cndmask_b32_e32 v4, v4, v2, vcc_lo
	s_mov_b32 s0, exec_lo
	ds_bpermute_b32 v7, v6, v5 offset:124
	v_cndmask_b32_e64 v1, v1, v3, s1
	v_cndmask_b32_e64 v2, v2, v4, s1
	ds_bpermute_b32 v1, v6, v1 offset:124
	ds_bpermute_b32 v2, v6, v2 offset:124
	v_cmpx_eq_u32_e32 0, v8
	s_cbranch_execz .LBB131_340
; %bb.339:
	v_lshrrev_b32_e32 v3, 1, v0
	v_and_b32_e32 v3, 0x70, v3
	s_waitcnt lgkmcnt(2)
	ds_write_b8 v3, v7
	s_waitcnt lgkmcnt(1)
	ds_write_b64 v3, v[1:2] offset:8
.LBB131_340:
	s_or_b32 exec_lo, exec_lo, s0
	s_mov_b32 s0, exec_lo
	s_waitcnt lgkmcnt(0)
	s_barrier
	buffer_gl0_inv
	v_cmpx_gt_u32_e32 32, v0
	s_cbranch_execz .LBB131_354
; %bb.341:
	v_and_b32_e32 v7, 7, v8
	v_lshlrev_b32_e32 v1, 4, v7
	v_cmp_ne_u32_e32 vcc_lo, 7, v7
	ds_read_u8 v10, v1
	ds_read_b64 v[3:4], v1 offset:8
	v_add_co_ci_u32_e64 v2, null, 0, v8, vcc_lo
	v_lshlrev_b32_e32 v2, 2, v2
	s_waitcnt lgkmcnt(1)
	v_and_b32_e32 v1, 0xff, v10
	s_waitcnt lgkmcnt(0)
	ds_bpermute_b32 v5, v2, v3
	ds_bpermute_b32 v6, v2, v4
	;; [unrolled: 1-line block ×3, first 2 shown]
	s_waitcnt lgkmcnt(0)
	v_and_b32_e32 v1, v10, v11
	v_and_b32_e32 v1, 1, v1
	v_cmp_eq_u32_e32 vcc_lo, 1, v1
                                        ; implicit-def: $vgpr1_vgpr2
	s_and_saveexec_b32 s1, vcc_lo
	s_xor_b32 s1, exec_lo, s1
; %bb.342:
	v_cmp_lt_i64_e32 vcc_lo, v[5:6], v[3:4]
                                        ; implicit-def: $vgpr10
                                        ; implicit-def: $vgpr11
	v_cndmask_b32_e32 v2, v4, v6, vcc_lo
	v_cndmask_b32_e32 v1, v3, v5, vcc_lo
                                        ; implicit-def: $vgpr5_vgpr6
                                        ; implicit-def: $vgpr3_vgpr4
; %bb.343:
	s_or_saveexec_b32 s1, s1
	v_mov_b32_e32 v9, 1
	s_xor_b32 exec_lo, exec_lo, s1
; %bb.344:
	v_and_b32_e32 v1, 1, v10
	v_and_b32_e32 v9, 0xff, v11
	v_cmp_eq_u32_e32 vcc_lo, 1, v1
	v_cndmask_b32_e32 v2, v6, v4, vcc_lo
	v_cndmask_b32_e32 v1, v5, v3, vcc_lo
	v_cndmask_b32_e64 v9, v9, 1, vcc_lo
; %bb.345:
	s_or_b32 exec_lo, exec_lo, s1
	v_cmp_gt_u32_e32 vcc_lo, 6, v7
	v_cndmask_b32_e64 v3, 0, 2, vcc_lo
	v_add_lshl_u32 v3, v3, v8, 2
	ds_bpermute_b32 v7, v3, v9
	ds_bpermute_b32 v5, v3, v1
	;; [unrolled: 1-line block ×3, first 2 shown]
	s_waitcnt lgkmcnt(2)
	v_and_b32_e32 v3, v9, v7
	v_and_b32_e32 v3, 1, v3
	v_cmp_eq_u32_e32 vcc_lo, 1, v3
                                        ; implicit-def: $vgpr3_vgpr4
	s_and_saveexec_b32 s1, vcc_lo
	s_xor_b32 s1, exec_lo, s1
	s_cbranch_execz .LBB131_347
; %bb.346:
	s_waitcnt lgkmcnt(0)
	v_cmp_lt_i64_e32 vcc_lo, v[5:6], v[1:2]
                                        ; implicit-def: $vgpr9
                                        ; implicit-def: $vgpr7
	v_cndmask_b32_e32 v4, v2, v6, vcc_lo
	v_cndmask_b32_e32 v3, v1, v5, vcc_lo
                                        ; implicit-def: $vgpr5_vgpr6
                                        ; implicit-def: $vgpr1_vgpr2
.LBB131_347:
	s_or_saveexec_b32 s1, s1
	v_lshlrev_b32_e32 v10, 2, v8
	v_mov_b32_e32 v8, 1
	s_xor_b32 exec_lo, exec_lo, s1
	s_cbranch_execz .LBB131_349
; %bb.348:
	v_and_b32_e32 v3, 1, v9
	v_and_b32_e32 v7, 0xff, v7
	v_cmp_eq_u32_e32 vcc_lo, 1, v3
	s_waitcnt lgkmcnt(0)
	v_cndmask_b32_e32 v4, v6, v2, vcc_lo
	v_cndmask_b32_e32 v3, v5, v1, vcc_lo
	v_cndmask_b32_e64 v8, v7, 1, vcc_lo
.LBB131_349:
	s_or_b32 exec_lo, exec_lo, s1
	v_or_b32_e32 v1, 16, v10
	ds_bpermute_b32 v9, v1, v8
	s_waitcnt lgkmcnt(2)
	ds_bpermute_b32 v5, v1, v3
	s_waitcnt lgkmcnt(2)
	ds_bpermute_b32 v6, v1, v4
	s_waitcnt lgkmcnt(2)
	v_and_b32_e32 v1, v8, v9
	v_and_b32_e32 v1, 1, v1
	v_cmp_eq_u32_e32 vcc_lo, 1, v1
                                        ; implicit-def: $vgpr1_vgpr2
	s_and_saveexec_b32 s1, vcc_lo
	s_xor_b32 s1, exec_lo, s1
	s_cbranch_execz .LBB131_351
; %bb.350:
	s_waitcnt lgkmcnt(0)
	v_cmp_lt_i64_e32 vcc_lo, v[5:6], v[3:4]
                                        ; implicit-def: $vgpr8
                                        ; implicit-def: $vgpr9
	v_cndmask_b32_e32 v2, v4, v6, vcc_lo
	v_cndmask_b32_e32 v1, v3, v5, vcc_lo
                                        ; implicit-def: $vgpr5_vgpr6
                                        ; implicit-def: $vgpr3_vgpr4
.LBB131_351:
	s_or_saveexec_b32 s1, s1
	v_mov_b32_e32 v7, 1
	s_xor_b32 exec_lo, exec_lo, s1
	s_cbranch_execz .LBB131_353
; %bb.352:
	v_and_b32_e32 v1, 1, v8
	v_cmp_eq_u32_e32 vcc_lo, 1, v1
	s_waitcnt lgkmcnt(0)
	v_cndmask_b32_e32 v2, v6, v4, vcc_lo
	v_cndmask_b32_e32 v1, v5, v3, vcc_lo
	v_cndmask_b32_e64 v7, v9, 1, vcc_lo
.LBB131_353:
	s_or_b32 exec_lo, exec_lo, s1
.LBB131_354:
	s_or_b32 exec_lo, exec_lo, s0
	s_branch .LBB131_415
.LBB131_355:
                                        ; implicit-def: $vgpr3_vgpr4
                                        ; implicit-def: $vgpr5
                                        ; implicit-def: $vgpr1_vgpr2
.LBB131_356:
	s_and_saveexec_b32 s0, s22
	s_cbranch_execz .LBB131_358
.LBB131_357:
	s_load_dwordx2 s[0:1], s[4:5], 0x38
	v_lshlrev_b64 v[0:1], 4, v[1:2]
	s_waitcnt lgkmcnt(0)
	v_add_co_u32 v0, vcc_lo, s0, v0
	v_add_co_ci_u32_e64 v1, null, s1, v1, vcc_lo
	global_store_byte v[0:1], v5, off
	global_store_dwordx2 v[0:1], v[3:4], off offset:8
.LBB131_358:
	s_endpgm
.LBB131_359:
                                        ; implicit-def: $vgpr1_vgpr2
                                        ; implicit-def: $vgpr7
	s_cbranch_execz .LBB131_415
; %bb.360:
	v_mov_b32_e32 v1, 0
	v_mov_b32_e32 v2, 0
	;; [unrolled: 1-line block ×3, first 2 shown]
	s_sub_i32 s0, s14, s2
	s_mov_b32 s1, exec_lo
	v_cmpx_gt_u32_e64 s0, v0
	s_cbranch_execz .LBB131_362
; %bb.361:
	s_lshl_b64 s[8:9], s[2:3], 3
	v_lshlrev_b32_e32 v1, 3, v0
	s_add_u32 s10, s18, s8
	s_addc_u32 s11, s19, s9
	s_add_u32 s8, s16, s8
	s_addc_u32 s9, s17, s9
	s_add_u32 s2, s12, s2
	s_waitcnt lgkmcnt(0)
	s_clause 0x1
	global_load_dwordx2 v[3:4], v1, s[8:9]
	global_load_dwordx2 v[5:6], v1, s[10:11]
	s_addc_u32 s3, s13, 0
	v_add_co_u32 v1, s2, s2, v0
	v_add_co_ci_u32_e64 v2, null, s3, 0, s2
	s_waitcnt vmcnt(0)
	v_cmp_ne_u64_e32 vcc_lo, v[3:4], v[5:6]
	v_cndmask_b32_e64 v8, 0, 1, vcc_lo
.LBB131_362:
	s_or_b32 exec_lo, exec_lo, s1
	s_waitcnt lgkmcnt(1)
	v_mbcnt_lo_u32_b32 v5, -1, 0
	v_and_b32_e32 v7, 0xffff, v8
	s_waitcnt lgkmcnt(0)
	v_and_b32_e32 v6, 0xe0, v0
	s_min_u32 s0, s0, 0x100
	s_mov_b32 s1, exec_lo
	v_cmp_ne_u32_e32 vcc_lo, 31, v5
	v_add_nc_u32_e32 v10, 1, v5
	v_sub_nc_u32_e64 v6, s0, v6 clamp
	v_add_co_ci_u32_e64 v3, null, 0, v5, vcc_lo
	v_lshlrev_b32_e32 v4, 2, v3
	ds_bpermute_b32 v9, v4, v7
	ds_bpermute_b32 v3, v4, v1
	;; [unrolled: 1-line block ×3, first 2 shown]
	v_cmpx_lt_u32_e64 v10, v6
	s_cbranch_execz .LBB131_368
; %bb.363:
	s_waitcnt lgkmcnt(2)
	v_and_b32_e32 v7, v9, v7
	s_mov_b32 s2, exec_lo
	v_and_b32_e32 v7, 1, v7
	v_cmpx_eq_u32_e32 1, v7
	s_xor_b32 s2, exec_lo, s2
	s_cbranch_execz .LBB131_365
; %bb.364:
	s_waitcnt lgkmcnt(0)
	v_cmp_lt_i64_e32 vcc_lo, v[3:4], v[1:2]
                                        ; implicit-def: $vgpr8
                                        ; implicit-def: $vgpr9
	v_cndmask_b32_e32 v2, v2, v4, vcc_lo
	v_cndmask_b32_e32 v1, v1, v3, vcc_lo
                                        ; implicit-def: $vgpr3_vgpr4
.LBB131_365:
	s_or_saveexec_b32 s2, s2
	v_mov_b32_e32 v7, 1
	s_xor_b32 exec_lo, exec_lo, s2
	s_cbranch_execz .LBB131_367
; %bb.366:
	v_and_b32_e32 v7, 1, v8
	v_cmp_eq_u32_e32 vcc_lo, 1, v7
	v_and_b32_e32 v7, 0xff, v9
	s_waitcnt lgkmcnt(0)
	v_cndmask_b32_e32 v2, v4, v2, vcc_lo
	v_cndmask_b32_e32 v1, v3, v1, vcc_lo
	v_cndmask_b32_e64 v7, v7, 1, vcc_lo
.LBB131_367:
	s_or_b32 exec_lo, exec_lo, s2
.LBB131_368:
	s_or_b32 exec_lo, exec_lo, s1
	v_cmp_gt_u32_e32 vcc_lo, 30, v5
	s_waitcnt lgkmcnt(2)
	v_add_nc_u32_e32 v9, 2, v5
	s_mov_b32 s1, exec_lo
	s_waitcnt lgkmcnt(1)
	v_cndmask_b32_e64 v3, 0, 2, vcc_lo
	s_waitcnt lgkmcnt(0)
	v_add_lshl_u32 v4, v3, v5, 2
	ds_bpermute_b32 v8, v4, v7
	ds_bpermute_b32 v3, v4, v1
	;; [unrolled: 1-line block ×3, first 2 shown]
	v_cmpx_lt_u32_e64 v9, v6
	s_cbranch_execz .LBB131_374
; %bb.369:
	s_waitcnt lgkmcnt(2)
	v_and_b32_e32 v9, v7, v8
	s_mov_b32 s2, exec_lo
	v_and_b32_e32 v9, 1, v9
	v_cmpx_eq_u32_e32 1, v9
	s_xor_b32 s2, exec_lo, s2
	s_cbranch_execz .LBB131_371
; %bb.370:
	s_waitcnt lgkmcnt(0)
	v_cmp_lt_i64_e32 vcc_lo, v[3:4], v[1:2]
                                        ; implicit-def: $vgpr7
                                        ; implicit-def: $vgpr8
	v_cndmask_b32_e32 v2, v2, v4, vcc_lo
	v_cndmask_b32_e32 v1, v1, v3, vcc_lo
                                        ; implicit-def: $vgpr3_vgpr4
.LBB131_371:
	s_or_saveexec_b32 s2, s2
	v_mov_b32_e32 v9, 1
	s_xor_b32 exec_lo, exec_lo, s2
	s_cbranch_execz .LBB131_373
; %bb.372:
	v_and_b32_e32 v7, 1, v7
	v_cmp_eq_u32_e32 vcc_lo, 1, v7
	v_and_b32_e32 v7, 0xff, v8
	s_waitcnt lgkmcnt(0)
	v_cndmask_b32_e32 v2, v4, v2, vcc_lo
	v_cndmask_b32_e32 v1, v3, v1, vcc_lo
	v_cndmask_b32_e64 v9, v7, 1, vcc_lo
.LBB131_373:
	s_or_b32 exec_lo, exec_lo, s2
	v_mov_b32_e32 v7, v9
.LBB131_374:
	s_or_b32 exec_lo, exec_lo, s1
	v_cmp_gt_u32_e32 vcc_lo, 28, v5
	v_add_nc_u32_e32 v9, 4, v5
	s_mov_b32 s1, exec_lo
	s_waitcnt lgkmcnt(1)
	v_cndmask_b32_e64 v3, 0, 4, vcc_lo
	s_waitcnt lgkmcnt(0)
	v_add_lshl_u32 v4, v3, v5, 2
	ds_bpermute_b32 v8, v4, v7
	ds_bpermute_b32 v3, v4, v1
	;; [unrolled: 1-line block ×3, first 2 shown]
	v_cmpx_lt_u32_e64 v9, v6
	s_cbranch_execz .LBB131_380
; %bb.375:
	s_waitcnt lgkmcnt(2)
	v_and_b32_e32 v9, v7, v8
	s_mov_b32 s2, exec_lo
	v_and_b32_e32 v9, 1, v9
	v_cmpx_eq_u32_e32 1, v9
	s_xor_b32 s2, exec_lo, s2
	s_cbranch_execz .LBB131_377
; %bb.376:
	s_waitcnt lgkmcnt(0)
	v_cmp_lt_i64_e32 vcc_lo, v[3:4], v[1:2]
                                        ; implicit-def: $vgpr7
                                        ; implicit-def: $vgpr8
	v_cndmask_b32_e32 v2, v2, v4, vcc_lo
	v_cndmask_b32_e32 v1, v1, v3, vcc_lo
                                        ; implicit-def: $vgpr3_vgpr4
.LBB131_377:
	s_or_saveexec_b32 s2, s2
	v_mov_b32_e32 v9, 1
	s_xor_b32 exec_lo, exec_lo, s2
	s_cbranch_execz .LBB131_379
; %bb.378:
	v_and_b32_e32 v7, 1, v7
	v_cmp_eq_u32_e32 vcc_lo, 1, v7
	v_and_b32_e32 v7, 0xff, v8
	s_waitcnt lgkmcnt(0)
	v_cndmask_b32_e32 v2, v4, v2, vcc_lo
	v_cndmask_b32_e32 v1, v3, v1, vcc_lo
	v_cndmask_b32_e64 v9, v7, 1, vcc_lo
.LBB131_379:
	s_or_b32 exec_lo, exec_lo, s2
	v_mov_b32_e32 v7, v9
.LBB131_380:
	s_or_b32 exec_lo, exec_lo, s1
	v_cmp_gt_u32_e32 vcc_lo, 24, v5
	v_add_nc_u32_e32 v9, 8, v5
	s_mov_b32 s1, exec_lo
	s_waitcnt lgkmcnt(1)
	v_cndmask_b32_e64 v3, 0, 8, vcc_lo
	s_waitcnt lgkmcnt(0)
	v_add_lshl_u32 v4, v3, v5, 2
	ds_bpermute_b32 v8, v4, v7
	ds_bpermute_b32 v3, v4, v1
	ds_bpermute_b32 v4, v4, v2
	v_cmpx_lt_u32_e64 v9, v6
	s_cbranch_execz .LBB131_386
; %bb.381:
	s_waitcnt lgkmcnt(2)
	v_and_b32_e32 v9, v7, v8
	s_mov_b32 s2, exec_lo
	v_and_b32_e32 v9, 1, v9
	v_cmpx_eq_u32_e32 1, v9
	s_xor_b32 s2, exec_lo, s2
	s_cbranch_execz .LBB131_383
; %bb.382:
	s_waitcnt lgkmcnt(0)
	v_cmp_lt_i64_e32 vcc_lo, v[3:4], v[1:2]
                                        ; implicit-def: $vgpr7
                                        ; implicit-def: $vgpr8
	v_cndmask_b32_e32 v2, v2, v4, vcc_lo
	v_cndmask_b32_e32 v1, v1, v3, vcc_lo
                                        ; implicit-def: $vgpr3_vgpr4
.LBB131_383:
	s_or_saveexec_b32 s2, s2
	v_mov_b32_e32 v9, 1
	s_xor_b32 exec_lo, exec_lo, s2
	s_cbranch_execz .LBB131_385
; %bb.384:
	v_and_b32_e32 v7, 1, v7
	v_cmp_eq_u32_e32 vcc_lo, 1, v7
	v_and_b32_e32 v7, 0xff, v8
	s_waitcnt lgkmcnt(0)
	v_cndmask_b32_e32 v2, v4, v2, vcc_lo
	v_cndmask_b32_e32 v1, v3, v1, vcc_lo
	v_cndmask_b32_e64 v9, v7, 1, vcc_lo
.LBB131_385:
	s_or_b32 exec_lo, exec_lo, s2
	v_mov_b32_e32 v7, v9
.LBB131_386:
	s_or_b32 exec_lo, exec_lo, s1
	s_waitcnt lgkmcnt(2)
	v_lshlrev_b32_e32 v8, 2, v5
	v_add_nc_u32_e32 v10, 16, v5
	s_waitcnt lgkmcnt(0)
	v_or_b32_e32 v4, 64, v8
	v_cmp_lt_u32_e32 vcc_lo, v10, v6
	v_mov_b32_e32 v6, v7
	ds_bpermute_b32 v9, v4, v7
	ds_bpermute_b32 v3, v4, v1
	;; [unrolled: 1-line block ×3, first 2 shown]
	s_and_saveexec_b32 s1, vcc_lo
	s_cbranch_execz .LBB131_392
; %bb.387:
	s_waitcnt lgkmcnt(2)
	v_and_b32_e32 v6, v7, v9
	s_mov_b32 s2, exec_lo
	v_and_b32_e32 v6, 1, v6
	v_cmpx_eq_u32_e32 1, v6
	s_xor_b32 s2, exec_lo, s2
	s_cbranch_execz .LBB131_389
; %bb.388:
	s_waitcnt lgkmcnt(0)
	v_cmp_lt_i64_e32 vcc_lo, v[3:4], v[1:2]
                                        ; implicit-def: $vgpr7
                                        ; implicit-def: $vgpr9
	v_cndmask_b32_e32 v2, v2, v4, vcc_lo
	v_cndmask_b32_e32 v1, v1, v3, vcc_lo
                                        ; implicit-def: $vgpr3_vgpr4
.LBB131_389:
	s_or_saveexec_b32 s2, s2
	v_mov_b32_e32 v6, 1
	s_xor_b32 exec_lo, exec_lo, s2
	s_cbranch_execz .LBB131_391
; %bb.390:
	v_and_b32_e32 v6, 1, v7
	v_cmp_eq_u32_e32 vcc_lo, 1, v6
	v_cndmask_b32_e64 v6, v9, 1, vcc_lo
	s_waitcnt lgkmcnt(0)
	v_cndmask_b32_e32 v2, v4, v2, vcc_lo
	v_cndmask_b32_e32 v1, v3, v1, vcc_lo
.LBB131_391:
	s_or_b32 exec_lo, exec_lo, s2
	v_and_b32_e32 v7, 0xff, v6
.LBB131_392:
	s_or_b32 exec_lo, exec_lo, s1
	s_mov_b32 s1, exec_lo
	v_cmpx_eq_u32_e32 0, v5
	s_cbranch_execz .LBB131_394
; %bb.393:
	s_waitcnt lgkmcnt(1)
	v_lshrrev_b32_e32 v3, 1, v0
	v_and_b32_e32 v3, 0x70, v3
	ds_write_b8 v3, v6 offset:512
	ds_write_b64 v3, v[1:2] offset:520
.LBB131_394:
	s_or_b32 exec_lo, exec_lo, s1
	s_mov_b32 s1, exec_lo
	s_waitcnt lgkmcnt(0)
	s_barrier
	buffer_gl0_inv
	v_cmpx_gt_u32_e32 8, v0
	s_cbranch_execz .LBB131_414
; %bb.395:
	v_lshlrev_b32_e32 v1, 4, v5
	v_and_b32_e32 v6, 7, v5
	s_add_i32 s0, s0, 31
	s_mov_b32 s2, exec_lo
	s_lshr_b32 s0, s0, 5
	ds_read_u8 v9, v1 offset:512
	ds_read_b64 v[1:2], v1 offset:520
	v_cmp_ne_u32_e32 vcc_lo, 7, v6
	v_add_nc_u32_e32 v11, 1, v6
	v_add_co_ci_u32_e64 v3, null, 0, v5, vcc_lo
	v_lshlrev_b32_e32 v4, 2, v3
	s_waitcnt lgkmcnt(1)
	v_and_b32_e32 v7, 0xff, v9
	s_waitcnt lgkmcnt(0)
	ds_bpermute_b32 v3, v4, v1
	ds_bpermute_b32 v10, v4, v7
	;; [unrolled: 1-line block ×3, first 2 shown]
	v_cmpx_gt_u32_e64 s0, v11
	s_cbranch_execz .LBB131_401
; %bb.396:
	s_waitcnt lgkmcnt(1)
	v_and_b32_e32 v7, v7, v10
	s_mov_b32 s3, exec_lo
	v_and_b32_e32 v7, 1, v7
	v_cmpx_eq_u32_e32 1, v7
	s_xor_b32 s3, exec_lo, s3
	s_cbranch_execz .LBB131_398
; %bb.397:
	s_waitcnt lgkmcnt(0)
	v_cmp_lt_i64_e32 vcc_lo, v[3:4], v[1:2]
                                        ; implicit-def: $vgpr9
                                        ; implicit-def: $vgpr10
	v_cndmask_b32_e32 v2, v2, v4, vcc_lo
	v_cndmask_b32_e32 v1, v1, v3, vcc_lo
                                        ; implicit-def: $vgpr3_vgpr4
.LBB131_398:
	s_or_saveexec_b32 s3, s3
	v_mov_b32_e32 v7, 1
	s_xor_b32 exec_lo, exec_lo, s3
	s_cbranch_execz .LBB131_400
; %bb.399:
	v_and_b32_e32 v7, 1, v9
	v_cmp_eq_u32_e32 vcc_lo, 1, v7
	v_and_b32_e32 v7, 0xff, v10
	s_waitcnt lgkmcnt(0)
	v_cndmask_b32_e32 v2, v4, v2, vcc_lo
	v_cndmask_b32_e32 v1, v3, v1, vcc_lo
	v_cndmask_b32_e64 v7, v7, 1, vcc_lo
.LBB131_400:
	s_or_b32 exec_lo, exec_lo, s3
.LBB131_401:
	s_or_b32 exec_lo, exec_lo, s2
	v_cmp_gt_u32_e32 vcc_lo, 6, v6
	v_add_nc_u32_e32 v9, 2, v6
	s_mov_b32 s2, exec_lo
	s_waitcnt lgkmcnt(2)
	v_cndmask_b32_e64 v3, 0, 2, vcc_lo
	s_waitcnt lgkmcnt(0)
	v_add_lshl_u32 v4, v3, v5, 2
	ds_bpermute_b32 v5, v4, v7
	ds_bpermute_b32 v3, v4, v1
	;; [unrolled: 1-line block ×3, first 2 shown]
	v_cmpx_gt_u32_e64 s0, v9
	s_cbranch_execz .LBB131_407
; %bb.402:
	s_waitcnt lgkmcnt(2)
	v_and_b32_e32 v9, v7, v5
	s_mov_b32 s3, exec_lo
	v_and_b32_e32 v9, 1, v9
	v_cmpx_eq_u32_e32 1, v9
	s_xor_b32 s3, exec_lo, s3
	s_cbranch_execz .LBB131_404
; %bb.403:
	s_waitcnt lgkmcnt(0)
	v_cmp_lt_i64_e32 vcc_lo, v[3:4], v[1:2]
                                        ; implicit-def: $vgpr7
                                        ; implicit-def: $vgpr5
	v_cndmask_b32_e32 v2, v2, v4, vcc_lo
	v_cndmask_b32_e32 v1, v1, v3, vcc_lo
                                        ; implicit-def: $vgpr3_vgpr4
.LBB131_404:
	s_or_saveexec_b32 s3, s3
	v_mov_b32_e32 v9, 1
	s_xor_b32 exec_lo, exec_lo, s3
	s_cbranch_execz .LBB131_406
; %bb.405:
	v_and_b32_e32 v7, 1, v7
	v_and_b32_e32 v5, 0xff, v5
	v_cmp_eq_u32_e32 vcc_lo, 1, v7
	s_waitcnt lgkmcnt(0)
	v_cndmask_b32_e32 v2, v4, v2, vcc_lo
	v_cndmask_b32_e32 v1, v3, v1, vcc_lo
	v_cndmask_b32_e64 v9, v5, 1, vcc_lo
.LBB131_406:
	s_or_b32 exec_lo, exec_lo, s3
	v_mov_b32_e32 v7, v9
.LBB131_407:
	s_or_b32 exec_lo, exec_lo, s2
	s_waitcnt lgkmcnt(0)
	v_or_b32_e32 v4, 16, v8
	v_add_nc_u32_e32 v6, 4, v6
	ds_bpermute_b32 v5, v4, v7
	ds_bpermute_b32 v3, v4, v1
	;; [unrolled: 1-line block ×3, first 2 shown]
	v_cmp_gt_u32_e32 vcc_lo, s0, v6
	s_and_saveexec_b32 s0, vcc_lo
	s_cbranch_execz .LBB131_413
; %bb.408:
	s_waitcnt lgkmcnt(2)
	v_and_b32_e32 v6, v7, v5
	s_mov_b32 s2, exec_lo
	v_and_b32_e32 v6, 1, v6
	v_cmpx_eq_u32_e32 1, v6
	s_xor_b32 s2, exec_lo, s2
	s_cbranch_execz .LBB131_410
; %bb.409:
	s_waitcnt lgkmcnt(0)
	v_cmp_lt_i64_e32 vcc_lo, v[3:4], v[1:2]
                                        ; implicit-def: $vgpr7
                                        ; implicit-def: $vgpr5
	v_cndmask_b32_e32 v2, v2, v4, vcc_lo
	v_cndmask_b32_e32 v1, v1, v3, vcc_lo
                                        ; implicit-def: $vgpr3_vgpr4
.LBB131_410:
	s_or_saveexec_b32 s2, s2
	v_mov_b32_e32 v6, 1
	s_xor_b32 exec_lo, exec_lo, s2
	s_cbranch_execz .LBB131_412
; %bb.411:
	v_and_b32_e32 v6, 1, v7
	v_cmp_eq_u32_e32 vcc_lo, 1, v6
	s_waitcnt lgkmcnt(0)
	v_cndmask_b32_e32 v2, v4, v2, vcc_lo
	v_cndmask_b32_e32 v1, v3, v1, vcc_lo
	v_cndmask_b32_e64 v6, v5, 1, vcc_lo
.LBB131_412:
	s_or_b32 exec_lo, exec_lo, s2
	v_mov_b32_e32 v7, v6
.LBB131_413:
	s_or_b32 exec_lo, exec_lo, s0
.LBB131_414:
	s_or_b32 exec_lo, exec_lo, s1
.LBB131_415:
	s_mov_b32 s2, exec_lo
                                        ; implicit-def: $vgpr3_vgpr4
                                        ; implicit-def: $vgpr5
	v_cmpx_eq_u32_e32 0, v0
	s_cbranch_execz .LBB131_419
; %bb.416:
	s_waitcnt lgkmcnt(0)
	v_mov_b32_e32 v3, s20
	v_mov_b32_e32 v4, s21
	;; [unrolled: 1-line block ×3, first 2 shown]
	s_cmp_eq_u64 s[14:15], 0
	s_cbranch_scc1 .LBB131_418
; %bb.417:
	v_and_b32_e32 v0, 1, v7
	v_cmp_gt_i64_e32 vcc_lo, s[20:21], v[1:2]
	s_bitcmp1_b32 s24, 0
	s_cselect_b32 s1, -1, 0
	v_cmp_eq_u32_e64 s0, 1, v0
	v_cndmask_b32_e64 v5, v7, 1, s1
	s_and_b32 vcc_lo, s0, vcc_lo
	v_cndmask_b32_e32 v0, s20, v1, vcc_lo
	v_cndmask_b32_e32 v3, s21, v2, vcc_lo
	v_cndmask_b32_e64 v4, v2, v3, s1
	v_cndmask_b32_e64 v3, v1, v0, s1
.LBB131_418:
	s_or_b32 s22, s22, exec_lo
.LBB131_419:
	s_or_b32 exec_lo, exec_lo, s2
	v_mov_b32_e32 v1, s6
	v_mov_b32_e32 v2, s7
	s_and_saveexec_b32 s0, s22
	s_cbranch_execnz .LBB131_357
	s_branch .LBB131_358
	.section	.rodata,"a",@progbits
	.p2align	6, 0x0
	.amdhsa_kernel _ZN7rocprim17ROCPRIM_400000_NS6detail17trampoline_kernelINS0_14default_configENS1_22reduce_config_selectorIN6thrust23THRUST_200600_302600_NS5tupleIblNS6_9null_typeES8_S8_S8_S8_S8_S8_S8_EEEEZNS1_11reduce_implILb1ES3_NS6_12zip_iteratorINS7_INS6_11hip_rocprim26transform_input_iterator_tIbNSD_35transform_pair_of_input_iterators_tIbNS6_6detail15normal_iteratorINS6_10device_ptrIKyEEEESL_NS6_8equal_toIyEEEENSG_9not_fun_tINSD_8identityEEEEENSD_19counting_iterator_tIlEES8_S8_S8_S8_S8_S8_S8_S8_EEEEPS9_S9_NSD_9__find_if7functorIS9_EEEE10hipError_tPvRmT1_T2_T3_mT4_P12ihipStream_tbEUlT_E1_NS1_11comp_targetILNS1_3genE8ELNS1_11target_archE1030ELNS1_3gpuE2ELNS1_3repE0EEENS1_30default_config_static_selectorELNS0_4arch9wavefront6targetE0EEEvS14_
		.amdhsa_group_segment_fixed_size 640
		.amdhsa_private_segment_fixed_size 0
		.amdhsa_kernarg_size 88
		.amdhsa_user_sgpr_count 6
		.amdhsa_user_sgpr_private_segment_buffer 1
		.amdhsa_user_sgpr_dispatch_ptr 0
		.amdhsa_user_sgpr_queue_ptr 0
		.amdhsa_user_sgpr_kernarg_segment_ptr 1
		.amdhsa_user_sgpr_dispatch_id 0
		.amdhsa_user_sgpr_flat_scratch_init 0
		.amdhsa_user_sgpr_private_segment_size 0
		.amdhsa_wavefront_size32 1
		.amdhsa_uses_dynamic_stack 0
		.amdhsa_system_sgpr_private_segment_wavefront_offset 0
		.amdhsa_system_sgpr_workgroup_id_x 1
		.amdhsa_system_sgpr_workgroup_id_y 0
		.amdhsa_system_sgpr_workgroup_id_z 0
		.amdhsa_system_sgpr_workgroup_info 0
		.amdhsa_system_vgpr_workitem_id 0
		.amdhsa_next_free_vgpr 36
		.amdhsa_next_free_sgpr 32
		.amdhsa_reserve_vcc 1
		.amdhsa_reserve_flat_scratch 0
		.amdhsa_float_round_mode_32 0
		.amdhsa_float_round_mode_16_64 0
		.amdhsa_float_denorm_mode_32 3
		.amdhsa_float_denorm_mode_16_64 3
		.amdhsa_dx10_clamp 1
		.amdhsa_ieee_mode 1
		.amdhsa_fp16_overflow 0
		.amdhsa_workgroup_processor_mode 1
		.amdhsa_memory_ordered 1
		.amdhsa_forward_progress 1
		.amdhsa_shared_vgpr_count 0
		.amdhsa_exception_fp_ieee_invalid_op 0
		.amdhsa_exception_fp_denorm_src 0
		.amdhsa_exception_fp_ieee_div_zero 0
		.amdhsa_exception_fp_ieee_overflow 0
		.amdhsa_exception_fp_ieee_underflow 0
		.amdhsa_exception_fp_ieee_inexact 0
		.amdhsa_exception_int_div_zero 0
	.end_amdhsa_kernel
	.section	.text._ZN7rocprim17ROCPRIM_400000_NS6detail17trampoline_kernelINS0_14default_configENS1_22reduce_config_selectorIN6thrust23THRUST_200600_302600_NS5tupleIblNS6_9null_typeES8_S8_S8_S8_S8_S8_S8_EEEEZNS1_11reduce_implILb1ES3_NS6_12zip_iteratorINS7_INS6_11hip_rocprim26transform_input_iterator_tIbNSD_35transform_pair_of_input_iterators_tIbNS6_6detail15normal_iteratorINS6_10device_ptrIKyEEEESL_NS6_8equal_toIyEEEENSG_9not_fun_tINSD_8identityEEEEENSD_19counting_iterator_tIlEES8_S8_S8_S8_S8_S8_S8_S8_EEEEPS9_S9_NSD_9__find_if7functorIS9_EEEE10hipError_tPvRmT1_T2_T3_mT4_P12ihipStream_tbEUlT_E1_NS1_11comp_targetILNS1_3genE8ELNS1_11target_archE1030ELNS1_3gpuE2ELNS1_3repE0EEENS1_30default_config_static_selectorELNS0_4arch9wavefront6targetE0EEEvS14_,"axG",@progbits,_ZN7rocprim17ROCPRIM_400000_NS6detail17trampoline_kernelINS0_14default_configENS1_22reduce_config_selectorIN6thrust23THRUST_200600_302600_NS5tupleIblNS6_9null_typeES8_S8_S8_S8_S8_S8_S8_EEEEZNS1_11reduce_implILb1ES3_NS6_12zip_iteratorINS7_INS6_11hip_rocprim26transform_input_iterator_tIbNSD_35transform_pair_of_input_iterators_tIbNS6_6detail15normal_iteratorINS6_10device_ptrIKyEEEESL_NS6_8equal_toIyEEEENSG_9not_fun_tINSD_8identityEEEEENSD_19counting_iterator_tIlEES8_S8_S8_S8_S8_S8_S8_S8_EEEEPS9_S9_NSD_9__find_if7functorIS9_EEEE10hipError_tPvRmT1_T2_T3_mT4_P12ihipStream_tbEUlT_E1_NS1_11comp_targetILNS1_3genE8ELNS1_11target_archE1030ELNS1_3gpuE2ELNS1_3repE0EEENS1_30default_config_static_selectorELNS0_4arch9wavefront6targetE0EEEvS14_,comdat
.Lfunc_end131:
	.size	_ZN7rocprim17ROCPRIM_400000_NS6detail17trampoline_kernelINS0_14default_configENS1_22reduce_config_selectorIN6thrust23THRUST_200600_302600_NS5tupleIblNS6_9null_typeES8_S8_S8_S8_S8_S8_S8_EEEEZNS1_11reduce_implILb1ES3_NS6_12zip_iteratorINS7_INS6_11hip_rocprim26transform_input_iterator_tIbNSD_35transform_pair_of_input_iterators_tIbNS6_6detail15normal_iteratorINS6_10device_ptrIKyEEEESL_NS6_8equal_toIyEEEENSG_9not_fun_tINSD_8identityEEEEENSD_19counting_iterator_tIlEES8_S8_S8_S8_S8_S8_S8_S8_EEEEPS9_S9_NSD_9__find_if7functorIS9_EEEE10hipError_tPvRmT1_T2_T3_mT4_P12ihipStream_tbEUlT_E1_NS1_11comp_targetILNS1_3genE8ELNS1_11target_archE1030ELNS1_3gpuE2ELNS1_3repE0EEENS1_30default_config_static_selectorELNS0_4arch9wavefront6targetE0EEEvS14_, .Lfunc_end131-_ZN7rocprim17ROCPRIM_400000_NS6detail17trampoline_kernelINS0_14default_configENS1_22reduce_config_selectorIN6thrust23THRUST_200600_302600_NS5tupleIblNS6_9null_typeES8_S8_S8_S8_S8_S8_S8_EEEEZNS1_11reduce_implILb1ES3_NS6_12zip_iteratorINS7_INS6_11hip_rocprim26transform_input_iterator_tIbNSD_35transform_pair_of_input_iterators_tIbNS6_6detail15normal_iteratorINS6_10device_ptrIKyEEEESL_NS6_8equal_toIyEEEENSG_9not_fun_tINSD_8identityEEEEENSD_19counting_iterator_tIlEES8_S8_S8_S8_S8_S8_S8_S8_EEEEPS9_S9_NSD_9__find_if7functorIS9_EEEE10hipError_tPvRmT1_T2_T3_mT4_P12ihipStream_tbEUlT_E1_NS1_11comp_targetILNS1_3genE8ELNS1_11target_archE1030ELNS1_3gpuE2ELNS1_3repE0EEENS1_30default_config_static_selectorELNS0_4arch9wavefront6targetE0EEEvS14_
                                        ; -- End function
	.set _ZN7rocprim17ROCPRIM_400000_NS6detail17trampoline_kernelINS0_14default_configENS1_22reduce_config_selectorIN6thrust23THRUST_200600_302600_NS5tupleIblNS6_9null_typeES8_S8_S8_S8_S8_S8_S8_EEEEZNS1_11reduce_implILb1ES3_NS6_12zip_iteratorINS7_INS6_11hip_rocprim26transform_input_iterator_tIbNSD_35transform_pair_of_input_iterators_tIbNS6_6detail15normal_iteratorINS6_10device_ptrIKyEEEESL_NS6_8equal_toIyEEEENSG_9not_fun_tINSD_8identityEEEEENSD_19counting_iterator_tIlEES8_S8_S8_S8_S8_S8_S8_S8_EEEEPS9_S9_NSD_9__find_if7functorIS9_EEEE10hipError_tPvRmT1_T2_T3_mT4_P12ihipStream_tbEUlT_E1_NS1_11comp_targetILNS1_3genE8ELNS1_11target_archE1030ELNS1_3gpuE2ELNS1_3repE0EEENS1_30default_config_static_selectorELNS0_4arch9wavefront6targetE0EEEvS14_.num_vgpr, 36
	.set _ZN7rocprim17ROCPRIM_400000_NS6detail17trampoline_kernelINS0_14default_configENS1_22reduce_config_selectorIN6thrust23THRUST_200600_302600_NS5tupleIblNS6_9null_typeES8_S8_S8_S8_S8_S8_S8_EEEEZNS1_11reduce_implILb1ES3_NS6_12zip_iteratorINS7_INS6_11hip_rocprim26transform_input_iterator_tIbNSD_35transform_pair_of_input_iterators_tIbNS6_6detail15normal_iteratorINS6_10device_ptrIKyEEEESL_NS6_8equal_toIyEEEENSG_9not_fun_tINSD_8identityEEEEENSD_19counting_iterator_tIlEES8_S8_S8_S8_S8_S8_S8_S8_EEEEPS9_S9_NSD_9__find_if7functorIS9_EEEE10hipError_tPvRmT1_T2_T3_mT4_P12ihipStream_tbEUlT_E1_NS1_11comp_targetILNS1_3genE8ELNS1_11target_archE1030ELNS1_3gpuE2ELNS1_3repE0EEENS1_30default_config_static_selectorELNS0_4arch9wavefront6targetE0EEEvS14_.num_agpr, 0
	.set _ZN7rocprim17ROCPRIM_400000_NS6detail17trampoline_kernelINS0_14default_configENS1_22reduce_config_selectorIN6thrust23THRUST_200600_302600_NS5tupleIblNS6_9null_typeES8_S8_S8_S8_S8_S8_S8_EEEEZNS1_11reduce_implILb1ES3_NS6_12zip_iteratorINS7_INS6_11hip_rocprim26transform_input_iterator_tIbNSD_35transform_pair_of_input_iterators_tIbNS6_6detail15normal_iteratorINS6_10device_ptrIKyEEEESL_NS6_8equal_toIyEEEENSG_9not_fun_tINSD_8identityEEEEENSD_19counting_iterator_tIlEES8_S8_S8_S8_S8_S8_S8_S8_EEEEPS9_S9_NSD_9__find_if7functorIS9_EEEE10hipError_tPvRmT1_T2_T3_mT4_P12ihipStream_tbEUlT_E1_NS1_11comp_targetILNS1_3genE8ELNS1_11target_archE1030ELNS1_3gpuE2ELNS1_3repE0EEENS1_30default_config_static_selectorELNS0_4arch9wavefront6targetE0EEEvS14_.numbered_sgpr, 32
	.set _ZN7rocprim17ROCPRIM_400000_NS6detail17trampoline_kernelINS0_14default_configENS1_22reduce_config_selectorIN6thrust23THRUST_200600_302600_NS5tupleIblNS6_9null_typeES8_S8_S8_S8_S8_S8_S8_EEEEZNS1_11reduce_implILb1ES3_NS6_12zip_iteratorINS7_INS6_11hip_rocprim26transform_input_iterator_tIbNSD_35transform_pair_of_input_iterators_tIbNS6_6detail15normal_iteratorINS6_10device_ptrIKyEEEESL_NS6_8equal_toIyEEEENSG_9not_fun_tINSD_8identityEEEEENSD_19counting_iterator_tIlEES8_S8_S8_S8_S8_S8_S8_S8_EEEEPS9_S9_NSD_9__find_if7functorIS9_EEEE10hipError_tPvRmT1_T2_T3_mT4_P12ihipStream_tbEUlT_E1_NS1_11comp_targetILNS1_3genE8ELNS1_11target_archE1030ELNS1_3gpuE2ELNS1_3repE0EEENS1_30default_config_static_selectorELNS0_4arch9wavefront6targetE0EEEvS14_.num_named_barrier, 0
	.set _ZN7rocprim17ROCPRIM_400000_NS6detail17trampoline_kernelINS0_14default_configENS1_22reduce_config_selectorIN6thrust23THRUST_200600_302600_NS5tupleIblNS6_9null_typeES8_S8_S8_S8_S8_S8_S8_EEEEZNS1_11reduce_implILb1ES3_NS6_12zip_iteratorINS7_INS6_11hip_rocprim26transform_input_iterator_tIbNSD_35transform_pair_of_input_iterators_tIbNS6_6detail15normal_iteratorINS6_10device_ptrIKyEEEESL_NS6_8equal_toIyEEEENSG_9not_fun_tINSD_8identityEEEEENSD_19counting_iterator_tIlEES8_S8_S8_S8_S8_S8_S8_S8_EEEEPS9_S9_NSD_9__find_if7functorIS9_EEEE10hipError_tPvRmT1_T2_T3_mT4_P12ihipStream_tbEUlT_E1_NS1_11comp_targetILNS1_3genE8ELNS1_11target_archE1030ELNS1_3gpuE2ELNS1_3repE0EEENS1_30default_config_static_selectorELNS0_4arch9wavefront6targetE0EEEvS14_.private_seg_size, 0
	.set _ZN7rocprim17ROCPRIM_400000_NS6detail17trampoline_kernelINS0_14default_configENS1_22reduce_config_selectorIN6thrust23THRUST_200600_302600_NS5tupleIblNS6_9null_typeES8_S8_S8_S8_S8_S8_S8_EEEEZNS1_11reduce_implILb1ES3_NS6_12zip_iteratorINS7_INS6_11hip_rocprim26transform_input_iterator_tIbNSD_35transform_pair_of_input_iterators_tIbNS6_6detail15normal_iteratorINS6_10device_ptrIKyEEEESL_NS6_8equal_toIyEEEENSG_9not_fun_tINSD_8identityEEEEENSD_19counting_iterator_tIlEES8_S8_S8_S8_S8_S8_S8_S8_EEEEPS9_S9_NSD_9__find_if7functorIS9_EEEE10hipError_tPvRmT1_T2_T3_mT4_P12ihipStream_tbEUlT_E1_NS1_11comp_targetILNS1_3genE8ELNS1_11target_archE1030ELNS1_3gpuE2ELNS1_3repE0EEENS1_30default_config_static_selectorELNS0_4arch9wavefront6targetE0EEEvS14_.uses_vcc, 1
	.set _ZN7rocprim17ROCPRIM_400000_NS6detail17trampoline_kernelINS0_14default_configENS1_22reduce_config_selectorIN6thrust23THRUST_200600_302600_NS5tupleIblNS6_9null_typeES8_S8_S8_S8_S8_S8_S8_EEEEZNS1_11reduce_implILb1ES3_NS6_12zip_iteratorINS7_INS6_11hip_rocprim26transform_input_iterator_tIbNSD_35transform_pair_of_input_iterators_tIbNS6_6detail15normal_iteratorINS6_10device_ptrIKyEEEESL_NS6_8equal_toIyEEEENSG_9not_fun_tINSD_8identityEEEEENSD_19counting_iterator_tIlEES8_S8_S8_S8_S8_S8_S8_S8_EEEEPS9_S9_NSD_9__find_if7functorIS9_EEEE10hipError_tPvRmT1_T2_T3_mT4_P12ihipStream_tbEUlT_E1_NS1_11comp_targetILNS1_3genE8ELNS1_11target_archE1030ELNS1_3gpuE2ELNS1_3repE0EEENS1_30default_config_static_selectorELNS0_4arch9wavefront6targetE0EEEvS14_.uses_flat_scratch, 0
	.set _ZN7rocprim17ROCPRIM_400000_NS6detail17trampoline_kernelINS0_14default_configENS1_22reduce_config_selectorIN6thrust23THRUST_200600_302600_NS5tupleIblNS6_9null_typeES8_S8_S8_S8_S8_S8_S8_EEEEZNS1_11reduce_implILb1ES3_NS6_12zip_iteratorINS7_INS6_11hip_rocprim26transform_input_iterator_tIbNSD_35transform_pair_of_input_iterators_tIbNS6_6detail15normal_iteratorINS6_10device_ptrIKyEEEESL_NS6_8equal_toIyEEEENSG_9not_fun_tINSD_8identityEEEEENSD_19counting_iterator_tIlEES8_S8_S8_S8_S8_S8_S8_S8_EEEEPS9_S9_NSD_9__find_if7functorIS9_EEEE10hipError_tPvRmT1_T2_T3_mT4_P12ihipStream_tbEUlT_E1_NS1_11comp_targetILNS1_3genE8ELNS1_11target_archE1030ELNS1_3gpuE2ELNS1_3repE0EEENS1_30default_config_static_selectorELNS0_4arch9wavefront6targetE0EEEvS14_.has_dyn_sized_stack, 0
	.set _ZN7rocprim17ROCPRIM_400000_NS6detail17trampoline_kernelINS0_14default_configENS1_22reduce_config_selectorIN6thrust23THRUST_200600_302600_NS5tupleIblNS6_9null_typeES8_S8_S8_S8_S8_S8_S8_EEEEZNS1_11reduce_implILb1ES3_NS6_12zip_iteratorINS7_INS6_11hip_rocprim26transform_input_iterator_tIbNSD_35transform_pair_of_input_iterators_tIbNS6_6detail15normal_iteratorINS6_10device_ptrIKyEEEESL_NS6_8equal_toIyEEEENSG_9not_fun_tINSD_8identityEEEEENSD_19counting_iterator_tIlEES8_S8_S8_S8_S8_S8_S8_S8_EEEEPS9_S9_NSD_9__find_if7functorIS9_EEEE10hipError_tPvRmT1_T2_T3_mT4_P12ihipStream_tbEUlT_E1_NS1_11comp_targetILNS1_3genE8ELNS1_11target_archE1030ELNS1_3gpuE2ELNS1_3repE0EEENS1_30default_config_static_selectorELNS0_4arch9wavefront6targetE0EEEvS14_.has_recursion, 0
	.set _ZN7rocprim17ROCPRIM_400000_NS6detail17trampoline_kernelINS0_14default_configENS1_22reduce_config_selectorIN6thrust23THRUST_200600_302600_NS5tupleIblNS6_9null_typeES8_S8_S8_S8_S8_S8_S8_EEEEZNS1_11reduce_implILb1ES3_NS6_12zip_iteratorINS7_INS6_11hip_rocprim26transform_input_iterator_tIbNSD_35transform_pair_of_input_iterators_tIbNS6_6detail15normal_iteratorINS6_10device_ptrIKyEEEESL_NS6_8equal_toIyEEEENSG_9not_fun_tINSD_8identityEEEEENSD_19counting_iterator_tIlEES8_S8_S8_S8_S8_S8_S8_S8_EEEEPS9_S9_NSD_9__find_if7functorIS9_EEEE10hipError_tPvRmT1_T2_T3_mT4_P12ihipStream_tbEUlT_E1_NS1_11comp_targetILNS1_3genE8ELNS1_11target_archE1030ELNS1_3gpuE2ELNS1_3repE0EEENS1_30default_config_static_selectorELNS0_4arch9wavefront6targetE0EEEvS14_.has_indirect_call, 0
	.section	.AMDGPU.csdata,"",@progbits
; Kernel info:
; codeLenInByte = 15076
; TotalNumSgprs: 34
; NumVgprs: 36
; ScratchSize: 0
; MemoryBound: 0
; FloatMode: 240
; IeeeMode: 1
; LDSByteSize: 640 bytes/workgroup (compile time only)
; SGPRBlocks: 0
; VGPRBlocks: 4
; NumSGPRsForWavesPerEU: 34
; NumVGPRsForWavesPerEU: 36
; Occupancy: 16
; WaveLimiterHint : 0
; COMPUTE_PGM_RSRC2:SCRATCH_EN: 0
; COMPUTE_PGM_RSRC2:USER_SGPR: 6
; COMPUTE_PGM_RSRC2:TRAP_HANDLER: 0
; COMPUTE_PGM_RSRC2:TGID_X_EN: 1
; COMPUTE_PGM_RSRC2:TGID_Y_EN: 0
; COMPUTE_PGM_RSRC2:TGID_Z_EN: 0
; COMPUTE_PGM_RSRC2:TIDIG_COMP_CNT: 0
	.section	.text._ZN6thrust23THRUST_200600_302600_NS11hip_rocprim14__parallel_for6kernelILj256ENS1_20__uninitialized_fill7functorINS0_10device_ptrIjEEjEEmLj1EEEvT0_T1_SA_,"axG",@progbits,_ZN6thrust23THRUST_200600_302600_NS11hip_rocprim14__parallel_for6kernelILj256ENS1_20__uninitialized_fill7functorINS0_10device_ptrIjEEjEEmLj1EEEvT0_T1_SA_,comdat
	.protected	_ZN6thrust23THRUST_200600_302600_NS11hip_rocprim14__parallel_for6kernelILj256ENS1_20__uninitialized_fill7functorINS0_10device_ptrIjEEjEEmLj1EEEvT0_T1_SA_ ; -- Begin function _ZN6thrust23THRUST_200600_302600_NS11hip_rocprim14__parallel_for6kernelILj256ENS1_20__uninitialized_fill7functorINS0_10device_ptrIjEEjEEmLj1EEEvT0_T1_SA_
	.globl	_ZN6thrust23THRUST_200600_302600_NS11hip_rocprim14__parallel_for6kernelILj256ENS1_20__uninitialized_fill7functorINS0_10device_ptrIjEEjEEmLj1EEEvT0_T1_SA_
	.p2align	8
	.type	_ZN6thrust23THRUST_200600_302600_NS11hip_rocprim14__parallel_for6kernelILj256ENS1_20__uninitialized_fill7functorINS0_10device_ptrIjEEjEEmLj1EEEvT0_T1_SA_,@function
_ZN6thrust23THRUST_200600_302600_NS11hip_rocprim14__parallel_for6kernelILj256ENS1_20__uninitialized_fill7functorINS0_10device_ptrIjEEjEEmLj1EEEvT0_T1_SA_: ; @_ZN6thrust23THRUST_200600_302600_NS11hip_rocprim14__parallel_for6kernelILj256ENS1_20__uninitialized_fill7functorINS0_10device_ptrIjEEjEEmLj1EEEvT0_T1_SA_
; %bb.0:
	s_clause 0x2
	s_load_dwordx4 s[8:11], s[4:5], 0x10
	s_load_dwordx2 s[0:1], s[4:5], 0x0
	s_load_dword s7, s[4:5], 0x8
	s_lshl_b32 s2, s6, 8
	s_waitcnt lgkmcnt(0)
	s_add_u32 s2, s10, s2
	s_addc_u32 s3, s11, 0
	s_sub_u32 s4, s8, s2
	s_subb_u32 s5, s9, s3
	v_cmp_lt_u64_e64 s5, 0xff, s[4:5]
	s_and_b32 vcc_lo, exec_lo, s5
	s_mov_b32 s5, -1
	s_cbranch_vccz .LBB132_3
; %bb.1:
	s_andn2_b32 vcc_lo, exec_lo, s5
	s_cbranch_vccz .LBB132_6
.LBB132_2:
	s_endpgm
.LBB132_3:
	v_cmp_gt_u32_e32 vcc_lo, s4, v0
	s_and_saveexec_b32 s4, vcc_lo
	s_cbranch_execz .LBB132_5
; %bb.4:
	v_lshlrev_b32_e32 v1, 2, v0
	s_lshl_b64 s[8:9], s[2:3], 2
	v_mov_b32_e32 v3, s7
	s_add_u32 s5, s0, s8
	s_addc_u32 s6, s1, s9
	v_add_co_u32 v1, s5, s5, v1
	v_add_co_ci_u32_e64 v2, null, s6, 0, s5
	flat_store_dword v[1:2], v3
.LBB132_5:
	s_or_b32 exec_lo, exec_lo, s4
	s_cbranch_execnz .LBB132_2
.LBB132_6:
	v_lshlrev_b32_e32 v0, 2, v0
	s_lshl_b64 s[2:3], s[2:3], 2
	v_mov_b32_e32 v2, s7
	s_add_u32 s0, s0, s2
	s_addc_u32 s1, s1, s3
	v_add_co_u32 v0, s0, s0, v0
	v_add_co_ci_u32_e64 v1, null, s1, 0, s0
	flat_store_dword v[0:1], v2
	s_endpgm
	.section	.rodata,"a",@progbits
	.p2align	6, 0x0
	.amdhsa_kernel _ZN6thrust23THRUST_200600_302600_NS11hip_rocprim14__parallel_for6kernelILj256ENS1_20__uninitialized_fill7functorINS0_10device_ptrIjEEjEEmLj1EEEvT0_T1_SA_
		.amdhsa_group_segment_fixed_size 0
		.amdhsa_private_segment_fixed_size 0
		.amdhsa_kernarg_size 32
		.amdhsa_user_sgpr_count 6
		.amdhsa_user_sgpr_private_segment_buffer 1
		.amdhsa_user_sgpr_dispatch_ptr 0
		.amdhsa_user_sgpr_queue_ptr 0
		.amdhsa_user_sgpr_kernarg_segment_ptr 1
		.amdhsa_user_sgpr_dispatch_id 0
		.amdhsa_user_sgpr_flat_scratch_init 0
		.amdhsa_user_sgpr_private_segment_size 0
		.amdhsa_wavefront_size32 1
		.amdhsa_uses_dynamic_stack 0
		.amdhsa_system_sgpr_private_segment_wavefront_offset 0
		.amdhsa_system_sgpr_workgroup_id_x 1
		.amdhsa_system_sgpr_workgroup_id_y 0
		.amdhsa_system_sgpr_workgroup_id_z 0
		.amdhsa_system_sgpr_workgroup_info 0
		.amdhsa_system_vgpr_workitem_id 0
		.amdhsa_next_free_vgpr 4
		.amdhsa_next_free_sgpr 12
		.amdhsa_reserve_vcc 1
		.amdhsa_reserve_flat_scratch 0
		.amdhsa_float_round_mode_32 0
		.amdhsa_float_round_mode_16_64 0
		.amdhsa_float_denorm_mode_32 3
		.amdhsa_float_denorm_mode_16_64 3
		.amdhsa_dx10_clamp 1
		.amdhsa_ieee_mode 1
		.amdhsa_fp16_overflow 0
		.amdhsa_workgroup_processor_mode 1
		.amdhsa_memory_ordered 1
		.amdhsa_forward_progress 1
		.amdhsa_shared_vgpr_count 0
		.amdhsa_exception_fp_ieee_invalid_op 0
		.amdhsa_exception_fp_denorm_src 0
		.amdhsa_exception_fp_ieee_div_zero 0
		.amdhsa_exception_fp_ieee_overflow 0
		.amdhsa_exception_fp_ieee_underflow 0
		.amdhsa_exception_fp_ieee_inexact 0
		.amdhsa_exception_int_div_zero 0
	.end_amdhsa_kernel
	.section	.text._ZN6thrust23THRUST_200600_302600_NS11hip_rocprim14__parallel_for6kernelILj256ENS1_20__uninitialized_fill7functorINS0_10device_ptrIjEEjEEmLj1EEEvT0_T1_SA_,"axG",@progbits,_ZN6thrust23THRUST_200600_302600_NS11hip_rocprim14__parallel_for6kernelILj256ENS1_20__uninitialized_fill7functorINS0_10device_ptrIjEEjEEmLj1EEEvT0_T1_SA_,comdat
.Lfunc_end132:
	.size	_ZN6thrust23THRUST_200600_302600_NS11hip_rocprim14__parallel_for6kernelILj256ENS1_20__uninitialized_fill7functorINS0_10device_ptrIjEEjEEmLj1EEEvT0_T1_SA_, .Lfunc_end132-_ZN6thrust23THRUST_200600_302600_NS11hip_rocprim14__parallel_for6kernelILj256ENS1_20__uninitialized_fill7functorINS0_10device_ptrIjEEjEEmLj1EEEvT0_T1_SA_
                                        ; -- End function
	.set _ZN6thrust23THRUST_200600_302600_NS11hip_rocprim14__parallel_for6kernelILj256ENS1_20__uninitialized_fill7functorINS0_10device_ptrIjEEjEEmLj1EEEvT0_T1_SA_.num_vgpr, 4
	.set _ZN6thrust23THRUST_200600_302600_NS11hip_rocprim14__parallel_for6kernelILj256ENS1_20__uninitialized_fill7functorINS0_10device_ptrIjEEjEEmLj1EEEvT0_T1_SA_.num_agpr, 0
	.set _ZN6thrust23THRUST_200600_302600_NS11hip_rocprim14__parallel_for6kernelILj256ENS1_20__uninitialized_fill7functorINS0_10device_ptrIjEEjEEmLj1EEEvT0_T1_SA_.numbered_sgpr, 12
	.set _ZN6thrust23THRUST_200600_302600_NS11hip_rocprim14__parallel_for6kernelILj256ENS1_20__uninitialized_fill7functorINS0_10device_ptrIjEEjEEmLj1EEEvT0_T1_SA_.num_named_barrier, 0
	.set _ZN6thrust23THRUST_200600_302600_NS11hip_rocprim14__parallel_for6kernelILj256ENS1_20__uninitialized_fill7functorINS0_10device_ptrIjEEjEEmLj1EEEvT0_T1_SA_.private_seg_size, 0
	.set _ZN6thrust23THRUST_200600_302600_NS11hip_rocprim14__parallel_for6kernelILj256ENS1_20__uninitialized_fill7functorINS0_10device_ptrIjEEjEEmLj1EEEvT0_T1_SA_.uses_vcc, 1
	.set _ZN6thrust23THRUST_200600_302600_NS11hip_rocprim14__parallel_for6kernelILj256ENS1_20__uninitialized_fill7functorINS0_10device_ptrIjEEjEEmLj1EEEvT0_T1_SA_.uses_flat_scratch, 0
	.set _ZN6thrust23THRUST_200600_302600_NS11hip_rocprim14__parallel_for6kernelILj256ENS1_20__uninitialized_fill7functorINS0_10device_ptrIjEEjEEmLj1EEEvT0_T1_SA_.has_dyn_sized_stack, 0
	.set _ZN6thrust23THRUST_200600_302600_NS11hip_rocprim14__parallel_for6kernelILj256ENS1_20__uninitialized_fill7functorINS0_10device_ptrIjEEjEEmLj1EEEvT0_T1_SA_.has_recursion, 0
	.set _ZN6thrust23THRUST_200600_302600_NS11hip_rocprim14__parallel_for6kernelILj256ENS1_20__uninitialized_fill7functorINS0_10device_ptrIjEEjEEmLj1EEEvT0_T1_SA_.has_indirect_call, 0
	.section	.AMDGPU.csdata,"",@progbits
; Kernel info:
; codeLenInByte = 200
; TotalNumSgprs: 14
; NumVgprs: 4
; ScratchSize: 0
; MemoryBound: 0
; FloatMode: 240
; IeeeMode: 1
; LDSByteSize: 0 bytes/workgroup (compile time only)
; SGPRBlocks: 0
; VGPRBlocks: 0
; NumSGPRsForWavesPerEU: 14
; NumVGPRsForWavesPerEU: 4
; Occupancy: 16
; WaveLimiterHint : 0
; COMPUTE_PGM_RSRC2:SCRATCH_EN: 0
; COMPUTE_PGM_RSRC2:USER_SGPR: 6
; COMPUTE_PGM_RSRC2:TRAP_HANDLER: 0
; COMPUTE_PGM_RSRC2:TGID_X_EN: 1
; COMPUTE_PGM_RSRC2:TGID_Y_EN: 0
; COMPUTE_PGM_RSRC2:TGID_Z_EN: 0
; COMPUTE_PGM_RSRC2:TIDIG_COMP_CNT: 0
	.section	.text._ZN7rocprim17ROCPRIM_400000_NS6detail17trampoline_kernelINS0_14default_configENS1_21merge_config_selectorINS0_5tupleIJjjEEENS0_10empty_typeEEEZNS1_10merge_implIS3_NS0_12zip_iteratorINS5_IJN6thrust23THRUST_200600_302600_NS6detail15normal_iteratorINSC_10device_ptrIKjEEEESI_EEEEESK_NSA_INS5_IJNSE_INSF_IjEEEESM_EEEEEPS7_SP_SP_NSC_11hip_rocprim7__merge17predicate_wrapperIjjNSC_4lessIjEEEEEE10hipError_tPvRmT0_T1_T2_T3_T4_T5_mmT6_P12ihipStream_tbEUlT_E_NS1_11comp_targetILNS1_3genE0ELNS1_11target_archE4294967295ELNS1_3gpuE0ELNS1_3repE0EEENS1_30default_config_static_selectorELNS0_4arch9wavefront6targetE0EEEvS10_,"axG",@progbits,_ZN7rocprim17ROCPRIM_400000_NS6detail17trampoline_kernelINS0_14default_configENS1_21merge_config_selectorINS0_5tupleIJjjEEENS0_10empty_typeEEEZNS1_10merge_implIS3_NS0_12zip_iteratorINS5_IJN6thrust23THRUST_200600_302600_NS6detail15normal_iteratorINSC_10device_ptrIKjEEEESI_EEEEESK_NSA_INS5_IJNSE_INSF_IjEEEESM_EEEEEPS7_SP_SP_NSC_11hip_rocprim7__merge17predicate_wrapperIjjNSC_4lessIjEEEEEE10hipError_tPvRmT0_T1_T2_T3_T4_T5_mmT6_P12ihipStream_tbEUlT_E_NS1_11comp_targetILNS1_3genE0ELNS1_11target_archE4294967295ELNS1_3gpuE0ELNS1_3repE0EEENS1_30default_config_static_selectorELNS0_4arch9wavefront6targetE0EEEvS10_,comdat
	.protected	_ZN7rocprim17ROCPRIM_400000_NS6detail17trampoline_kernelINS0_14default_configENS1_21merge_config_selectorINS0_5tupleIJjjEEENS0_10empty_typeEEEZNS1_10merge_implIS3_NS0_12zip_iteratorINS5_IJN6thrust23THRUST_200600_302600_NS6detail15normal_iteratorINSC_10device_ptrIKjEEEESI_EEEEESK_NSA_INS5_IJNSE_INSF_IjEEEESM_EEEEEPS7_SP_SP_NSC_11hip_rocprim7__merge17predicate_wrapperIjjNSC_4lessIjEEEEEE10hipError_tPvRmT0_T1_T2_T3_T4_T5_mmT6_P12ihipStream_tbEUlT_E_NS1_11comp_targetILNS1_3genE0ELNS1_11target_archE4294967295ELNS1_3gpuE0ELNS1_3repE0EEENS1_30default_config_static_selectorELNS0_4arch9wavefront6targetE0EEEvS10_ ; -- Begin function _ZN7rocprim17ROCPRIM_400000_NS6detail17trampoline_kernelINS0_14default_configENS1_21merge_config_selectorINS0_5tupleIJjjEEENS0_10empty_typeEEEZNS1_10merge_implIS3_NS0_12zip_iteratorINS5_IJN6thrust23THRUST_200600_302600_NS6detail15normal_iteratorINSC_10device_ptrIKjEEEESI_EEEEESK_NSA_INS5_IJNSE_INSF_IjEEEESM_EEEEEPS7_SP_SP_NSC_11hip_rocprim7__merge17predicate_wrapperIjjNSC_4lessIjEEEEEE10hipError_tPvRmT0_T1_T2_T3_T4_T5_mmT6_P12ihipStream_tbEUlT_E_NS1_11comp_targetILNS1_3genE0ELNS1_11target_archE4294967295ELNS1_3gpuE0ELNS1_3repE0EEENS1_30default_config_static_selectorELNS0_4arch9wavefront6targetE0EEEvS10_
	.globl	_ZN7rocprim17ROCPRIM_400000_NS6detail17trampoline_kernelINS0_14default_configENS1_21merge_config_selectorINS0_5tupleIJjjEEENS0_10empty_typeEEEZNS1_10merge_implIS3_NS0_12zip_iteratorINS5_IJN6thrust23THRUST_200600_302600_NS6detail15normal_iteratorINSC_10device_ptrIKjEEEESI_EEEEESK_NSA_INS5_IJNSE_INSF_IjEEEESM_EEEEEPS7_SP_SP_NSC_11hip_rocprim7__merge17predicate_wrapperIjjNSC_4lessIjEEEEEE10hipError_tPvRmT0_T1_T2_T3_T4_T5_mmT6_P12ihipStream_tbEUlT_E_NS1_11comp_targetILNS1_3genE0ELNS1_11target_archE4294967295ELNS1_3gpuE0ELNS1_3repE0EEENS1_30default_config_static_selectorELNS0_4arch9wavefront6targetE0EEEvS10_
	.p2align	8
	.type	_ZN7rocprim17ROCPRIM_400000_NS6detail17trampoline_kernelINS0_14default_configENS1_21merge_config_selectorINS0_5tupleIJjjEEENS0_10empty_typeEEEZNS1_10merge_implIS3_NS0_12zip_iteratorINS5_IJN6thrust23THRUST_200600_302600_NS6detail15normal_iteratorINSC_10device_ptrIKjEEEESI_EEEEESK_NSA_INS5_IJNSE_INSF_IjEEEESM_EEEEEPS7_SP_SP_NSC_11hip_rocprim7__merge17predicate_wrapperIjjNSC_4lessIjEEEEEE10hipError_tPvRmT0_T1_T2_T3_T4_T5_mmT6_P12ihipStream_tbEUlT_E_NS1_11comp_targetILNS1_3genE0ELNS1_11target_archE4294967295ELNS1_3gpuE0ELNS1_3repE0EEENS1_30default_config_static_selectorELNS0_4arch9wavefront6targetE0EEEvS10_,@function
_ZN7rocprim17ROCPRIM_400000_NS6detail17trampoline_kernelINS0_14default_configENS1_21merge_config_selectorINS0_5tupleIJjjEEENS0_10empty_typeEEEZNS1_10merge_implIS3_NS0_12zip_iteratorINS5_IJN6thrust23THRUST_200600_302600_NS6detail15normal_iteratorINSC_10device_ptrIKjEEEESI_EEEEESK_NSA_INS5_IJNSE_INSF_IjEEEESM_EEEEEPS7_SP_SP_NSC_11hip_rocprim7__merge17predicate_wrapperIjjNSC_4lessIjEEEEEE10hipError_tPvRmT0_T1_T2_T3_T4_T5_mmT6_P12ihipStream_tbEUlT_E_NS1_11comp_targetILNS1_3genE0ELNS1_11target_archE4294967295ELNS1_3gpuE0ELNS1_3repE0EEENS1_30default_config_static_selectorELNS0_4arch9wavefront6targetE0EEEvS10_: ; @_ZN7rocprim17ROCPRIM_400000_NS6detail17trampoline_kernelINS0_14default_configENS1_21merge_config_selectorINS0_5tupleIJjjEEENS0_10empty_typeEEEZNS1_10merge_implIS3_NS0_12zip_iteratorINS5_IJN6thrust23THRUST_200600_302600_NS6detail15normal_iteratorINSC_10device_ptrIKjEEEESI_EEEEESK_NSA_INS5_IJNSE_INSF_IjEEEESM_EEEEEPS7_SP_SP_NSC_11hip_rocprim7__merge17predicate_wrapperIjjNSC_4lessIjEEEEEE10hipError_tPvRmT0_T1_T2_T3_T4_T5_mmT6_P12ihipStream_tbEUlT_E_NS1_11comp_targetILNS1_3genE0ELNS1_11target_archE4294967295ELNS1_3gpuE0ELNS1_3repE0EEENS1_30default_config_static_selectorELNS0_4arch9wavefront6targetE0EEEvS10_
; %bb.0:
	.section	.rodata,"a",@progbits
	.p2align	6, 0x0
	.amdhsa_kernel _ZN7rocprim17ROCPRIM_400000_NS6detail17trampoline_kernelINS0_14default_configENS1_21merge_config_selectorINS0_5tupleIJjjEEENS0_10empty_typeEEEZNS1_10merge_implIS3_NS0_12zip_iteratorINS5_IJN6thrust23THRUST_200600_302600_NS6detail15normal_iteratorINSC_10device_ptrIKjEEEESI_EEEEESK_NSA_INS5_IJNSE_INSF_IjEEEESM_EEEEEPS7_SP_SP_NSC_11hip_rocprim7__merge17predicate_wrapperIjjNSC_4lessIjEEEEEE10hipError_tPvRmT0_T1_T2_T3_T4_T5_mmT6_P12ihipStream_tbEUlT_E_NS1_11comp_targetILNS1_3genE0ELNS1_11target_archE4294967295ELNS1_3gpuE0ELNS1_3repE0EEENS1_30default_config_static_selectorELNS0_4arch9wavefront6targetE0EEEvS10_
		.amdhsa_group_segment_fixed_size 0
		.amdhsa_private_segment_fixed_size 0
		.amdhsa_kernarg_size 64
		.amdhsa_user_sgpr_count 6
		.amdhsa_user_sgpr_private_segment_buffer 1
		.amdhsa_user_sgpr_dispatch_ptr 0
		.amdhsa_user_sgpr_queue_ptr 0
		.amdhsa_user_sgpr_kernarg_segment_ptr 1
		.amdhsa_user_sgpr_dispatch_id 0
		.amdhsa_user_sgpr_flat_scratch_init 0
		.amdhsa_user_sgpr_private_segment_size 0
		.amdhsa_wavefront_size32 1
		.amdhsa_uses_dynamic_stack 0
		.amdhsa_system_sgpr_private_segment_wavefront_offset 0
		.amdhsa_system_sgpr_workgroup_id_x 1
		.amdhsa_system_sgpr_workgroup_id_y 0
		.amdhsa_system_sgpr_workgroup_id_z 0
		.amdhsa_system_sgpr_workgroup_info 0
		.amdhsa_system_vgpr_workitem_id 0
		.amdhsa_next_free_vgpr 1
		.amdhsa_next_free_sgpr 1
		.amdhsa_reserve_vcc 0
		.amdhsa_reserve_flat_scratch 0
		.amdhsa_float_round_mode_32 0
		.amdhsa_float_round_mode_16_64 0
		.amdhsa_float_denorm_mode_32 3
		.amdhsa_float_denorm_mode_16_64 3
		.amdhsa_dx10_clamp 1
		.amdhsa_ieee_mode 1
		.amdhsa_fp16_overflow 0
		.amdhsa_workgroup_processor_mode 1
		.amdhsa_memory_ordered 1
		.amdhsa_forward_progress 1
		.amdhsa_shared_vgpr_count 0
		.amdhsa_exception_fp_ieee_invalid_op 0
		.amdhsa_exception_fp_denorm_src 0
		.amdhsa_exception_fp_ieee_div_zero 0
		.amdhsa_exception_fp_ieee_overflow 0
		.amdhsa_exception_fp_ieee_underflow 0
		.amdhsa_exception_fp_ieee_inexact 0
		.amdhsa_exception_int_div_zero 0
	.end_amdhsa_kernel
	.section	.text._ZN7rocprim17ROCPRIM_400000_NS6detail17trampoline_kernelINS0_14default_configENS1_21merge_config_selectorINS0_5tupleIJjjEEENS0_10empty_typeEEEZNS1_10merge_implIS3_NS0_12zip_iteratorINS5_IJN6thrust23THRUST_200600_302600_NS6detail15normal_iteratorINSC_10device_ptrIKjEEEESI_EEEEESK_NSA_INS5_IJNSE_INSF_IjEEEESM_EEEEEPS7_SP_SP_NSC_11hip_rocprim7__merge17predicate_wrapperIjjNSC_4lessIjEEEEEE10hipError_tPvRmT0_T1_T2_T3_T4_T5_mmT6_P12ihipStream_tbEUlT_E_NS1_11comp_targetILNS1_3genE0ELNS1_11target_archE4294967295ELNS1_3gpuE0ELNS1_3repE0EEENS1_30default_config_static_selectorELNS0_4arch9wavefront6targetE0EEEvS10_,"axG",@progbits,_ZN7rocprim17ROCPRIM_400000_NS6detail17trampoline_kernelINS0_14default_configENS1_21merge_config_selectorINS0_5tupleIJjjEEENS0_10empty_typeEEEZNS1_10merge_implIS3_NS0_12zip_iteratorINS5_IJN6thrust23THRUST_200600_302600_NS6detail15normal_iteratorINSC_10device_ptrIKjEEEESI_EEEEESK_NSA_INS5_IJNSE_INSF_IjEEEESM_EEEEEPS7_SP_SP_NSC_11hip_rocprim7__merge17predicate_wrapperIjjNSC_4lessIjEEEEEE10hipError_tPvRmT0_T1_T2_T3_T4_T5_mmT6_P12ihipStream_tbEUlT_E_NS1_11comp_targetILNS1_3genE0ELNS1_11target_archE4294967295ELNS1_3gpuE0ELNS1_3repE0EEENS1_30default_config_static_selectorELNS0_4arch9wavefront6targetE0EEEvS10_,comdat
.Lfunc_end133:
	.size	_ZN7rocprim17ROCPRIM_400000_NS6detail17trampoline_kernelINS0_14default_configENS1_21merge_config_selectorINS0_5tupleIJjjEEENS0_10empty_typeEEEZNS1_10merge_implIS3_NS0_12zip_iteratorINS5_IJN6thrust23THRUST_200600_302600_NS6detail15normal_iteratorINSC_10device_ptrIKjEEEESI_EEEEESK_NSA_INS5_IJNSE_INSF_IjEEEESM_EEEEEPS7_SP_SP_NSC_11hip_rocprim7__merge17predicate_wrapperIjjNSC_4lessIjEEEEEE10hipError_tPvRmT0_T1_T2_T3_T4_T5_mmT6_P12ihipStream_tbEUlT_E_NS1_11comp_targetILNS1_3genE0ELNS1_11target_archE4294967295ELNS1_3gpuE0ELNS1_3repE0EEENS1_30default_config_static_selectorELNS0_4arch9wavefront6targetE0EEEvS10_, .Lfunc_end133-_ZN7rocprim17ROCPRIM_400000_NS6detail17trampoline_kernelINS0_14default_configENS1_21merge_config_selectorINS0_5tupleIJjjEEENS0_10empty_typeEEEZNS1_10merge_implIS3_NS0_12zip_iteratorINS5_IJN6thrust23THRUST_200600_302600_NS6detail15normal_iteratorINSC_10device_ptrIKjEEEESI_EEEEESK_NSA_INS5_IJNSE_INSF_IjEEEESM_EEEEEPS7_SP_SP_NSC_11hip_rocprim7__merge17predicate_wrapperIjjNSC_4lessIjEEEEEE10hipError_tPvRmT0_T1_T2_T3_T4_T5_mmT6_P12ihipStream_tbEUlT_E_NS1_11comp_targetILNS1_3genE0ELNS1_11target_archE4294967295ELNS1_3gpuE0ELNS1_3repE0EEENS1_30default_config_static_selectorELNS0_4arch9wavefront6targetE0EEEvS10_
                                        ; -- End function
	.set _ZN7rocprim17ROCPRIM_400000_NS6detail17trampoline_kernelINS0_14default_configENS1_21merge_config_selectorINS0_5tupleIJjjEEENS0_10empty_typeEEEZNS1_10merge_implIS3_NS0_12zip_iteratorINS5_IJN6thrust23THRUST_200600_302600_NS6detail15normal_iteratorINSC_10device_ptrIKjEEEESI_EEEEESK_NSA_INS5_IJNSE_INSF_IjEEEESM_EEEEEPS7_SP_SP_NSC_11hip_rocprim7__merge17predicate_wrapperIjjNSC_4lessIjEEEEEE10hipError_tPvRmT0_T1_T2_T3_T4_T5_mmT6_P12ihipStream_tbEUlT_E_NS1_11comp_targetILNS1_3genE0ELNS1_11target_archE4294967295ELNS1_3gpuE0ELNS1_3repE0EEENS1_30default_config_static_selectorELNS0_4arch9wavefront6targetE0EEEvS10_.num_vgpr, 0
	.set _ZN7rocprim17ROCPRIM_400000_NS6detail17trampoline_kernelINS0_14default_configENS1_21merge_config_selectorINS0_5tupleIJjjEEENS0_10empty_typeEEEZNS1_10merge_implIS3_NS0_12zip_iteratorINS5_IJN6thrust23THRUST_200600_302600_NS6detail15normal_iteratorINSC_10device_ptrIKjEEEESI_EEEEESK_NSA_INS5_IJNSE_INSF_IjEEEESM_EEEEEPS7_SP_SP_NSC_11hip_rocprim7__merge17predicate_wrapperIjjNSC_4lessIjEEEEEE10hipError_tPvRmT0_T1_T2_T3_T4_T5_mmT6_P12ihipStream_tbEUlT_E_NS1_11comp_targetILNS1_3genE0ELNS1_11target_archE4294967295ELNS1_3gpuE0ELNS1_3repE0EEENS1_30default_config_static_selectorELNS0_4arch9wavefront6targetE0EEEvS10_.num_agpr, 0
	.set _ZN7rocprim17ROCPRIM_400000_NS6detail17trampoline_kernelINS0_14default_configENS1_21merge_config_selectorINS0_5tupleIJjjEEENS0_10empty_typeEEEZNS1_10merge_implIS3_NS0_12zip_iteratorINS5_IJN6thrust23THRUST_200600_302600_NS6detail15normal_iteratorINSC_10device_ptrIKjEEEESI_EEEEESK_NSA_INS5_IJNSE_INSF_IjEEEESM_EEEEEPS7_SP_SP_NSC_11hip_rocprim7__merge17predicate_wrapperIjjNSC_4lessIjEEEEEE10hipError_tPvRmT0_T1_T2_T3_T4_T5_mmT6_P12ihipStream_tbEUlT_E_NS1_11comp_targetILNS1_3genE0ELNS1_11target_archE4294967295ELNS1_3gpuE0ELNS1_3repE0EEENS1_30default_config_static_selectorELNS0_4arch9wavefront6targetE0EEEvS10_.numbered_sgpr, 0
	.set _ZN7rocprim17ROCPRIM_400000_NS6detail17trampoline_kernelINS0_14default_configENS1_21merge_config_selectorINS0_5tupleIJjjEEENS0_10empty_typeEEEZNS1_10merge_implIS3_NS0_12zip_iteratorINS5_IJN6thrust23THRUST_200600_302600_NS6detail15normal_iteratorINSC_10device_ptrIKjEEEESI_EEEEESK_NSA_INS5_IJNSE_INSF_IjEEEESM_EEEEEPS7_SP_SP_NSC_11hip_rocprim7__merge17predicate_wrapperIjjNSC_4lessIjEEEEEE10hipError_tPvRmT0_T1_T2_T3_T4_T5_mmT6_P12ihipStream_tbEUlT_E_NS1_11comp_targetILNS1_3genE0ELNS1_11target_archE4294967295ELNS1_3gpuE0ELNS1_3repE0EEENS1_30default_config_static_selectorELNS0_4arch9wavefront6targetE0EEEvS10_.num_named_barrier, 0
	.set _ZN7rocprim17ROCPRIM_400000_NS6detail17trampoline_kernelINS0_14default_configENS1_21merge_config_selectorINS0_5tupleIJjjEEENS0_10empty_typeEEEZNS1_10merge_implIS3_NS0_12zip_iteratorINS5_IJN6thrust23THRUST_200600_302600_NS6detail15normal_iteratorINSC_10device_ptrIKjEEEESI_EEEEESK_NSA_INS5_IJNSE_INSF_IjEEEESM_EEEEEPS7_SP_SP_NSC_11hip_rocprim7__merge17predicate_wrapperIjjNSC_4lessIjEEEEEE10hipError_tPvRmT0_T1_T2_T3_T4_T5_mmT6_P12ihipStream_tbEUlT_E_NS1_11comp_targetILNS1_3genE0ELNS1_11target_archE4294967295ELNS1_3gpuE0ELNS1_3repE0EEENS1_30default_config_static_selectorELNS0_4arch9wavefront6targetE0EEEvS10_.private_seg_size, 0
	.set _ZN7rocprim17ROCPRIM_400000_NS6detail17trampoline_kernelINS0_14default_configENS1_21merge_config_selectorINS0_5tupleIJjjEEENS0_10empty_typeEEEZNS1_10merge_implIS3_NS0_12zip_iteratorINS5_IJN6thrust23THRUST_200600_302600_NS6detail15normal_iteratorINSC_10device_ptrIKjEEEESI_EEEEESK_NSA_INS5_IJNSE_INSF_IjEEEESM_EEEEEPS7_SP_SP_NSC_11hip_rocprim7__merge17predicate_wrapperIjjNSC_4lessIjEEEEEE10hipError_tPvRmT0_T1_T2_T3_T4_T5_mmT6_P12ihipStream_tbEUlT_E_NS1_11comp_targetILNS1_3genE0ELNS1_11target_archE4294967295ELNS1_3gpuE0ELNS1_3repE0EEENS1_30default_config_static_selectorELNS0_4arch9wavefront6targetE0EEEvS10_.uses_vcc, 0
	.set _ZN7rocprim17ROCPRIM_400000_NS6detail17trampoline_kernelINS0_14default_configENS1_21merge_config_selectorINS0_5tupleIJjjEEENS0_10empty_typeEEEZNS1_10merge_implIS3_NS0_12zip_iteratorINS5_IJN6thrust23THRUST_200600_302600_NS6detail15normal_iteratorINSC_10device_ptrIKjEEEESI_EEEEESK_NSA_INS5_IJNSE_INSF_IjEEEESM_EEEEEPS7_SP_SP_NSC_11hip_rocprim7__merge17predicate_wrapperIjjNSC_4lessIjEEEEEE10hipError_tPvRmT0_T1_T2_T3_T4_T5_mmT6_P12ihipStream_tbEUlT_E_NS1_11comp_targetILNS1_3genE0ELNS1_11target_archE4294967295ELNS1_3gpuE0ELNS1_3repE0EEENS1_30default_config_static_selectorELNS0_4arch9wavefront6targetE0EEEvS10_.uses_flat_scratch, 0
	.set _ZN7rocprim17ROCPRIM_400000_NS6detail17trampoline_kernelINS0_14default_configENS1_21merge_config_selectorINS0_5tupleIJjjEEENS0_10empty_typeEEEZNS1_10merge_implIS3_NS0_12zip_iteratorINS5_IJN6thrust23THRUST_200600_302600_NS6detail15normal_iteratorINSC_10device_ptrIKjEEEESI_EEEEESK_NSA_INS5_IJNSE_INSF_IjEEEESM_EEEEEPS7_SP_SP_NSC_11hip_rocprim7__merge17predicate_wrapperIjjNSC_4lessIjEEEEEE10hipError_tPvRmT0_T1_T2_T3_T4_T5_mmT6_P12ihipStream_tbEUlT_E_NS1_11comp_targetILNS1_3genE0ELNS1_11target_archE4294967295ELNS1_3gpuE0ELNS1_3repE0EEENS1_30default_config_static_selectorELNS0_4arch9wavefront6targetE0EEEvS10_.has_dyn_sized_stack, 0
	.set _ZN7rocprim17ROCPRIM_400000_NS6detail17trampoline_kernelINS0_14default_configENS1_21merge_config_selectorINS0_5tupleIJjjEEENS0_10empty_typeEEEZNS1_10merge_implIS3_NS0_12zip_iteratorINS5_IJN6thrust23THRUST_200600_302600_NS6detail15normal_iteratorINSC_10device_ptrIKjEEEESI_EEEEESK_NSA_INS5_IJNSE_INSF_IjEEEESM_EEEEEPS7_SP_SP_NSC_11hip_rocprim7__merge17predicate_wrapperIjjNSC_4lessIjEEEEEE10hipError_tPvRmT0_T1_T2_T3_T4_T5_mmT6_P12ihipStream_tbEUlT_E_NS1_11comp_targetILNS1_3genE0ELNS1_11target_archE4294967295ELNS1_3gpuE0ELNS1_3repE0EEENS1_30default_config_static_selectorELNS0_4arch9wavefront6targetE0EEEvS10_.has_recursion, 0
	.set _ZN7rocprim17ROCPRIM_400000_NS6detail17trampoline_kernelINS0_14default_configENS1_21merge_config_selectorINS0_5tupleIJjjEEENS0_10empty_typeEEEZNS1_10merge_implIS3_NS0_12zip_iteratorINS5_IJN6thrust23THRUST_200600_302600_NS6detail15normal_iteratorINSC_10device_ptrIKjEEEESI_EEEEESK_NSA_INS5_IJNSE_INSF_IjEEEESM_EEEEEPS7_SP_SP_NSC_11hip_rocprim7__merge17predicate_wrapperIjjNSC_4lessIjEEEEEE10hipError_tPvRmT0_T1_T2_T3_T4_T5_mmT6_P12ihipStream_tbEUlT_E_NS1_11comp_targetILNS1_3genE0ELNS1_11target_archE4294967295ELNS1_3gpuE0ELNS1_3repE0EEENS1_30default_config_static_selectorELNS0_4arch9wavefront6targetE0EEEvS10_.has_indirect_call, 0
	.section	.AMDGPU.csdata,"",@progbits
; Kernel info:
; codeLenInByte = 0
; TotalNumSgprs: 0
; NumVgprs: 0
; ScratchSize: 0
; MemoryBound: 0
; FloatMode: 240
; IeeeMode: 1
; LDSByteSize: 0 bytes/workgroup (compile time only)
; SGPRBlocks: 0
; VGPRBlocks: 0
; NumSGPRsForWavesPerEU: 1
; NumVGPRsForWavesPerEU: 1
; Occupancy: 16
; WaveLimiterHint : 0
; COMPUTE_PGM_RSRC2:SCRATCH_EN: 0
; COMPUTE_PGM_RSRC2:USER_SGPR: 6
; COMPUTE_PGM_RSRC2:TRAP_HANDLER: 0
; COMPUTE_PGM_RSRC2:TGID_X_EN: 1
; COMPUTE_PGM_RSRC2:TGID_Y_EN: 0
; COMPUTE_PGM_RSRC2:TGID_Z_EN: 0
; COMPUTE_PGM_RSRC2:TIDIG_COMP_CNT: 0
	.section	.text._ZN7rocprim17ROCPRIM_400000_NS6detail17trampoline_kernelINS0_14default_configENS1_21merge_config_selectorINS0_5tupleIJjjEEENS0_10empty_typeEEEZNS1_10merge_implIS3_NS0_12zip_iteratorINS5_IJN6thrust23THRUST_200600_302600_NS6detail15normal_iteratorINSC_10device_ptrIKjEEEESI_EEEEESK_NSA_INS5_IJNSE_INSF_IjEEEESM_EEEEEPS7_SP_SP_NSC_11hip_rocprim7__merge17predicate_wrapperIjjNSC_4lessIjEEEEEE10hipError_tPvRmT0_T1_T2_T3_T4_T5_mmT6_P12ihipStream_tbEUlT_E_NS1_11comp_targetILNS1_3genE5ELNS1_11target_archE942ELNS1_3gpuE9ELNS1_3repE0EEENS1_30default_config_static_selectorELNS0_4arch9wavefront6targetE0EEEvS10_,"axG",@progbits,_ZN7rocprim17ROCPRIM_400000_NS6detail17trampoline_kernelINS0_14default_configENS1_21merge_config_selectorINS0_5tupleIJjjEEENS0_10empty_typeEEEZNS1_10merge_implIS3_NS0_12zip_iteratorINS5_IJN6thrust23THRUST_200600_302600_NS6detail15normal_iteratorINSC_10device_ptrIKjEEEESI_EEEEESK_NSA_INS5_IJNSE_INSF_IjEEEESM_EEEEEPS7_SP_SP_NSC_11hip_rocprim7__merge17predicate_wrapperIjjNSC_4lessIjEEEEEE10hipError_tPvRmT0_T1_T2_T3_T4_T5_mmT6_P12ihipStream_tbEUlT_E_NS1_11comp_targetILNS1_3genE5ELNS1_11target_archE942ELNS1_3gpuE9ELNS1_3repE0EEENS1_30default_config_static_selectorELNS0_4arch9wavefront6targetE0EEEvS10_,comdat
	.protected	_ZN7rocprim17ROCPRIM_400000_NS6detail17trampoline_kernelINS0_14default_configENS1_21merge_config_selectorINS0_5tupleIJjjEEENS0_10empty_typeEEEZNS1_10merge_implIS3_NS0_12zip_iteratorINS5_IJN6thrust23THRUST_200600_302600_NS6detail15normal_iteratorINSC_10device_ptrIKjEEEESI_EEEEESK_NSA_INS5_IJNSE_INSF_IjEEEESM_EEEEEPS7_SP_SP_NSC_11hip_rocprim7__merge17predicate_wrapperIjjNSC_4lessIjEEEEEE10hipError_tPvRmT0_T1_T2_T3_T4_T5_mmT6_P12ihipStream_tbEUlT_E_NS1_11comp_targetILNS1_3genE5ELNS1_11target_archE942ELNS1_3gpuE9ELNS1_3repE0EEENS1_30default_config_static_selectorELNS0_4arch9wavefront6targetE0EEEvS10_ ; -- Begin function _ZN7rocprim17ROCPRIM_400000_NS6detail17trampoline_kernelINS0_14default_configENS1_21merge_config_selectorINS0_5tupleIJjjEEENS0_10empty_typeEEEZNS1_10merge_implIS3_NS0_12zip_iteratorINS5_IJN6thrust23THRUST_200600_302600_NS6detail15normal_iteratorINSC_10device_ptrIKjEEEESI_EEEEESK_NSA_INS5_IJNSE_INSF_IjEEEESM_EEEEEPS7_SP_SP_NSC_11hip_rocprim7__merge17predicate_wrapperIjjNSC_4lessIjEEEEEE10hipError_tPvRmT0_T1_T2_T3_T4_T5_mmT6_P12ihipStream_tbEUlT_E_NS1_11comp_targetILNS1_3genE5ELNS1_11target_archE942ELNS1_3gpuE9ELNS1_3repE0EEENS1_30default_config_static_selectorELNS0_4arch9wavefront6targetE0EEEvS10_
	.globl	_ZN7rocprim17ROCPRIM_400000_NS6detail17trampoline_kernelINS0_14default_configENS1_21merge_config_selectorINS0_5tupleIJjjEEENS0_10empty_typeEEEZNS1_10merge_implIS3_NS0_12zip_iteratorINS5_IJN6thrust23THRUST_200600_302600_NS6detail15normal_iteratorINSC_10device_ptrIKjEEEESI_EEEEESK_NSA_INS5_IJNSE_INSF_IjEEEESM_EEEEEPS7_SP_SP_NSC_11hip_rocprim7__merge17predicate_wrapperIjjNSC_4lessIjEEEEEE10hipError_tPvRmT0_T1_T2_T3_T4_T5_mmT6_P12ihipStream_tbEUlT_E_NS1_11comp_targetILNS1_3genE5ELNS1_11target_archE942ELNS1_3gpuE9ELNS1_3repE0EEENS1_30default_config_static_selectorELNS0_4arch9wavefront6targetE0EEEvS10_
	.p2align	8
	.type	_ZN7rocprim17ROCPRIM_400000_NS6detail17trampoline_kernelINS0_14default_configENS1_21merge_config_selectorINS0_5tupleIJjjEEENS0_10empty_typeEEEZNS1_10merge_implIS3_NS0_12zip_iteratorINS5_IJN6thrust23THRUST_200600_302600_NS6detail15normal_iteratorINSC_10device_ptrIKjEEEESI_EEEEESK_NSA_INS5_IJNSE_INSF_IjEEEESM_EEEEEPS7_SP_SP_NSC_11hip_rocprim7__merge17predicate_wrapperIjjNSC_4lessIjEEEEEE10hipError_tPvRmT0_T1_T2_T3_T4_T5_mmT6_P12ihipStream_tbEUlT_E_NS1_11comp_targetILNS1_3genE5ELNS1_11target_archE942ELNS1_3gpuE9ELNS1_3repE0EEENS1_30default_config_static_selectorELNS0_4arch9wavefront6targetE0EEEvS10_,@function
_ZN7rocprim17ROCPRIM_400000_NS6detail17trampoline_kernelINS0_14default_configENS1_21merge_config_selectorINS0_5tupleIJjjEEENS0_10empty_typeEEEZNS1_10merge_implIS3_NS0_12zip_iteratorINS5_IJN6thrust23THRUST_200600_302600_NS6detail15normal_iteratorINSC_10device_ptrIKjEEEESI_EEEEESK_NSA_INS5_IJNSE_INSF_IjEEEESM_EEEEEPS7_SP_SP_NSC_11hip_rocprim7__merge17predicate_wrapperIjjNSC_4lessIjEEEEEE10hipError_tPvRmT0_T1_T2_T3_T4_T5_mmT6_P12ihipStream_tbEUlT_E_NS1_11comp_targetILNS1_3genE5ELNS1_11target_archE942ELNS1_3gpuE9ELNS1_3repE0EEENS1_30default_config_static_selectorELNS0_4arch9wavefront6targetE0EEEvS10_: ; @_ZN7rocprim17ROCPRIM_400000_NS6detail17trampoline_kernelINS0_14default_configENS1_21merge_config_selectorINS0_5tupleIJjjEEENS0_10empty_typeEEEZNS1_10merge_implIS3_NS0_12zip_iteratorINS5_IJN6thrust23THRUST_200600_302600_NS6detail15normal_iteratorINSC_10device_ptrIKjEEEESI_EEEEESK_NSA_INS5_IJNSE_INSF_IjEEEESM_EEEEEPS7_SP_SP_NSC_11hip_rocprim7__merge17predicate_wrapperIjjNSC_4lessIjEEEEEE10hipError_tPvRmT0_T1_T2_T3_T4_T5_mmT6_P12ihipStream_tbEUlT_E_NS1_11comp_targetILNS1_3genE5ELNS1_11target_archE942ELNS1_3gpuE9ELNS1_3repE0EEENS1_30default_config_static_selectorELNS0_4arch9wavefront6targetE0EEEvS10_
; %bb.0:
	.section	.rodata,"a",@progbits
	.p2align	6, 0x0
	.amdhsa_kernel _ZN7rocprim17ROCPRIM_400000_NS6detail17trampoline_kernelINS0_14default_configENS1_21merge_config_selectorINS0_5tupleIJjjEEENS0_10empty_typeEEEZNS1_10merge_implIS3_NS0_12zip_iteratorINS5_IJN6thrust23THRUST_200600_302600_NS6detail15normal_iteratorINSC_10device_ptrIKjEEEESI_EEEEESK_NSA_INS5_IJNSE_INSF_IjEEEESM_EEEEEPS7_SP_SP_NSC_11hip_rocprim7__merge17predicate_wrapperIjjNSC_4lessIjEEEEEE10hipError_tPvRmT0_T1_T2_T3_T4_T5_mmT6_P12ihipStream_tbEUlT_E_NS1_11comp_targetILNS1_3genE5ELNS1_11target_archE942ELNS1_3gpuE9ELNS1_3repE0EEENS1_30default_config_static_selectorELNS0_4arch9wavefront6targetE0EEEvS10_
		.amdhsa_group_segment_fixed_size 0
		.amdhsa_private_segment_fixed_size 0
		.amdhsa_kernarg_size 64
		.amdhsa_user_sgpr_count 6
		.amdhsa_user_sgpr_private_segment_buffer 1
		.amdhsa_user_sgpr_dispatch_ptr 0
		.amdhsa_user_sgpr_queue_ptr 0
		.amdhsa_user_sgpr_kernarg_segment_ptr 1
		.amdhsa_user_sgpr_dispatch_id 0
		.amdhsa_user_sgpr_flat_scratch_init 0
		.amdhsa_user_sgpr_private_segment_size 0
		.amdhsa_wavefront_size32 1
		.amdhsa_uses_dynamic_stack 0
		.amdhsa_system_sgpr_private_segment_wavefront_offset 0
		.amdhsa_system_sgpr_workgroup_id_x 1
		.amdhsa_system_sgpr_workgroup_id_y 0
		.amdhsa_system_sgpr_workgroup_id_z 0
		.amdhsa_system_sgpr_workgroup_info 0
		.amdhsa_system_vgpr_workitem_id 0
		.amdhsa_next_free_vgpr 1
		.amdhsa_next_free_sgpr 1
		.amdhsa_reserve_vcc 0
		.amdhsa_reserve_flat_scratch 0
		.amdhsa_float_round_mode_32 0
		.amdhsa_float_round_mode_16_64 0
		.amdhsa_float_denorm_mode_32 3
		.amdhsa_float_denorm_mode_16_64 3
		.amdhsa_dx10_clamp 1
		.amdhsa_ieee_mode 1
		.amdhsa_fp16_overflow 0
		.amdhsa_workgroup_processor_mode 1
		.amdhsa_memory_ordered 1
		.amdhsa_forward_progress 1
		.amdhsa_shared_vgpr_count 0
		.amdhsa_exception_fp_ieee_invalid_op 0
		.amdhsa_exception_fp_denorm_src 0
		.amdhsa_exception_fp_ieee_div_zero 0
		.amdhsa_exception_fp_ieee_overflow 0
		.amdhsa_exception_fp_ieee_underflow 0
		.amdhsa_exception_fp_ieee_inexact 0
		.amdhsa_exception_int_div_zero 0
	.end_amdhsa_kernel
	.section	.text._ZN7rocprim17ROCPRIM_400000_NS6detail17trampoline_kernelINS0_14default_configENS1_21merge_config_selectorINS0_5tupleIJjjEEENS0_10empty_typeEEEZNS1_10merge_implIS3_NS0_12zip_iteratorINS5_IJN6thrust23THRUST_200600_302600_NS6detail15normal_iteratorINSC_10device_ptrIKjEEEESI_EEEEESK_NSA_INS5_IJNSE_INSF_IjEEEESM_EEEEEPS7_SP_SP_NSC_11hip_rocprim7__merge17predicate_wrapperIjjNSC_4lessIjEEEEEE10hipError_tPvRmT0_T1_T2_T3_T4_T5_mmT6_P12ihipStream_tbEUlT_E_NS1_11comp_targetILNS1_3genE5ELNS1_11target_archE942ELNS1_3gpuE9ELNS1_3repE0EEENS1_30default_config_static_selectorELNS0_4arch9wavefront6targetE0EEEvS10_,"axG",@progbits,_ZN7rocprim17ROCPRIM_400000_NS6detail17trampoline_kernelINS0_14default_configENS1_21merge_config_selectorINS0_5tupleIJjjEEENS0_10empty_typeEEEZNS1_10merge_implIS3_NS0_12zip_iteratorINS5_IJN6thrust23THRUST_200600_302600_NS6detail15normal_iteratorINSC_10device_ptrIKjEEEESI_EEEEESK_NSA_INS5_IJNSE_INSF_IjEEEESM_EEEEEPS7_SP_SP_NSC_11hip_rocprim7__merge17predicate_wrapperIjjNSC_4lessIjEEEEEE10hipError_tPvRmT0_T1_T2_T3_T4_T5_mmT6_P12ihipStream_tbEUlT_E_NS1_11comp_targetILNS1_3genE5ELNS1_11target_archE942ELNS1_3gpuE9ELNS1_3repE0EEENS1_30default_config_static_selectorELNS0_4arch9wavefront6targetE0EEEvS10_,comdat
.Lfunc_end134:
	.size	_ZN7rocprim17ROCPRIM_400000_NS6detail17trampoline_kernelINS0_14default_configENS1_21merge_config_selectorINS0_5tupleIJjjEEENS0_10empty_typeEEEZNS1_10merge_implIS3_NS0_12zip_iteratorINS5_IJN6thrust23THRUST_200600_302600_NS6detail15normal_iteratorINSC_10device_ptrIKjEEEESI_EEEEESK_NSA_INS5_IJNSE_INSF_IjEEEESM_EEEEEPS7_SP_SP_NSC_11hip_rocprim7__merge17predicate_wrapperIjjNSC_4lessIjEEEEEE10hipError_tPvRmT0_T1_T2_T3_T4_T5_mmT6_P12ihipStream_tbEUlT_E_NS1_11comp_targetILNS1_3genE5ELNS1_11target_archE942ELNS1_3gpuE9ELNS1_3repE0EEENS1_30default_config_static_selectorELNS0_4arch9wavefront6targetE0EEEvS10_, .Lfunc_end134-_ZN7rocprim17ROCPRIM_400000_NS6detail17trampoline_kernelINS0_14default_configENS1_21merge_config_selectorINS0_5tupleIJjjEEENS0_10empty_typeEEEZNS1_10merge_implIS3_NS0_12zip_iteratorINS5_IJN6thrust23THRUST_200600_302600_NS6detail15normal_iteratorINSC_10device_ptrIKjEEEESI_EEEEESK_NSA_INS5_IJNSE_INSF_IjEEEESM_EEEEEPS7_SP_SP_NSC_11hip_rocprim7__merge17predicate_wrapperIjjNSC_4lessIjEEEEEE10hipError_tPvRmT0_T1_T2_T3_T4_T5_mmT6_P12ihipStream_tbEUlT_E_NS1_11comp_targetILNS1_3genE5ELNS1_11target_archE942ELNS1_3gpuE9ELNS1_3repE0EEENS1_30default_config_static_selectorELNS0_4arch9wavefront6targetE0EEEvS10_
                                        ; -- End function
	.set _ZN7rocprim17ROCPRIM_400000_NS6detail17trampoline_kernelINS0_14default_configENS1_21merge_config_selectorINS0_5tupleIJjjEEENS0_10empty_typeEEEZNS1_10merge_implIS3_NS0_12zip_iteratorINS5_IJN6thrust23THRUST_200600_302600_NS6detail15normal_iteratorINSC_10device_ptrIKjEEEESI_EEEEESK_NSA_INS5_IJNSE_INSF_IjEEEESM_EEEEEPS7_SP_SP_NSC_11hip_rocprim7__merge17predicate_wrapperIjjNSC_4lessIjEEEEEE10hipError_tPvRmT0_T1_T2_T3_T4_T5_mmT6_P12ihipStream_tbEUlT_E_NS1_11comp_targetILNS1_3genE5ELNS1_11target_archE942ELNS1_3gpuE9ELNS1_3repE0EEENS1_30default_config_static_selectorELNS0_4arch9wavefront6targetE0EEEvS10_.num_vgpr, 0
	.set _ZN7rocprim17ROCPRIM_400000_NS6detail17trampoline_kernelINS0_14default_configENS1_21merge_config_selectorINS0_5tupleIJjjEEENS0_10empty_typeEEEZNS1_10merge_implIS3_NS0_12zip_iteratorINS5_IJN6thrust23THRUST_200600_302600_NS6detail15normal_iteratorINSC_10device_ptrIKjEEEESI_EEEEESK_NSA_INS5_IJNSE_INSF_IjEEEESM_EEEEEPS7_SP_SP_NSC_11hip_rocprim7__merge17predicate_wrapperIjjNSC_4lessIjEEEEEE10hipError_tPvRmT0_T1_T2_T3_T4_T5_mmT6_P12ihipStream_tbEUlT_E_NS1_11comp_targetILNS1_3genE5ELNS1_11target_archE942ELNS1_3gpuE9ELNS1_3repE0EEENS1_30default_config_static_selectorELNS0_4arch9wavefront6targetE0EEEvS10_.num_agpr, 0
	.set _ZN7rocprim17ROCPRIM_400000_NS6detail17trampoline_kernelINS0_14default_configENS1_21merge_config_selectorINS0_5tupleIJjjEEENS0_10empty_typeEEEZNS1_10merge_implIS3_NS0_12zip_iteratorINS5_IJN6thrust23THRUST_200600_302600_NS6detail15normal_iteratorINSC_10device_ptrIKjEEEESI_EEEEESK_NSA_INS5_IJNSE_INSF_IjEEEESM_EEEEEPS7_SP_SP_NSC_11hip_rocprim7__merge17predicate_wrapperIjjNSC_4lessIjEEEEEE10hipError_tPvRmT0_T1_T2_T3_T4_T5_mmT6_P12ihipStream_tbEUlT_E_NS1_11comp_targetILNS1_3genE5ELNS1_11target_archE942ELNS1_3gpuE9ELNS1_3repE0EEENS1_30default_config_static_selectorELNS0_4arch9wavefront6targetE0EEEvS10_.numbered_sgpr, 0
	.set _ZN7rocprim17ROCPRIM_400000_NS6detail17trampoline_kernelINS0_14default_configENS1_21merge_config_selectorINS0_5tupleIJjjEEENS0_10empty_typeEEEZNS1_10merge_implIS3_NS0_12zip_iteratorINS5_IJN6thrust23THRUST_200600_302600_NS6detail15normal_iteratorINSC_10device_ptrIKjEEEESI_EEEEESK_NSA_INS5_IJNSE_INSF_IjEEEESM_EEEEEPS7_SP_SP_NSC_11hip_rocprim7__merge17predicate_wrapperIjjNSC_4lessIjEEEEEE10hipError_tPvRmT0_T1_T2_T3_T4_T5_mmT6_P12ihipStream_tbEUlT_E_NS1_11comp_targetILNS1_3genE5ELNS1_11target_archE942ELNS1_3gpuE9ELNS1_3repE0EEENS1_30default_config_static_selectorELNS0_4arch9wavefront6targetE0EEEvS10_.num_named_barrier, 0
	.set _ZN7rocprim17ROCPRIM_400000_NS6detail17trampoline_kernelINS0_14default_configENS1_21merge_config_selectorINS0_5tupleIJjjEEENS0_10empty_typeEEEZNS1_10merge_implIS3_NS0_12zip_iteratorINS5_IJN6thrust23THRUST_200600_302600_NS6detail15normal_iteratorINSC_10device_ptrIKjEEEESI_EEEEESK_NSA_INS5_IJNSE_INSF_IjEEEESM_EEEEEPS7_SP_SP_NSC_11hip_rocprim7__merge17predicate_wrapperIjjNSC_4lessIjEEEEEE10hipError_tPvRmT0_T1_T2_T3_T4_T5_mmT6_P12ihipStream_tbEUlT_E_NS1_11comp_targetILNS1_3genE5ELNS1_11target_archE942ELNS1_3gpuE9ELNS1_3repE0EEENS1_30default_config_static_selectorELNS0_4arch9wavefront6targetE0EEEvS10_.private_seg_size, 0
	.set _ZN7rocprim17ROCPRIM_400000_NS6detail17trampoline_kernelINS0_14default_configENS1_21merge_config_selectorINS0_5tupleIJjjEEENS0_10empty_typeEEEZNS1_10merge_implIS3_NS0_12zip_iteratorINS5_IJN6thrust23THRUST_200600_302600_NS6detail15normal_iteratorINSC_10device_ptrIKjEEEESI_EEEEESK_NSA_INS5_IJNSE_INSF_IjEEEESM_EEEEEPS7_SP_SP_NSC_11hip_rocprim7__merge17predicate_wrapperIjjNSC_4lessIjEEEEEE10hipError_tPvRmT0_T1_T2_T3_T4_T5_mmT6_P12ihipStream_tbEUlT_E_NS1_11comp_targetILNS1_3genE5ELNS1_11target_archE942ELNS1_3gpuE9ELNS1_3repE0EEENS1_30default_config_static_selectorELNS0_4arch9wavefront6targetE0EEEvS10_.uses_vcc, 0
	.set _ZN7rocprim17ROCPRIM_400000_NS6detail17trampoline_kernelINS0_14default_configENS1_21merge_config_selectorINS0_5tupleIJjjEEENS0_10empty_typeEEEZNS1_10merge_implIS3_NS0_12zip_iteratorINS5_IJN6thrust23THRUST_200600_302600_NS6detail15normal_iteratorINSC_10device_ptrIKjEEEESI_EEEEESK_NSA_INS5_IJNSE_INSF_IjEEEESM_EEEEEPS7_SP_SP_NSC_11hip_rocprim7__merge17predicate_wrapperIjjNSC_4lessIjEEEEEE10hipError_tPvRmT0_T1_T2_T3_T4_T5_mmT6_P12ihipStream_tbEUlT_E_NS1_11comp_targetILNS1_3genE5ELNS1_11target_archE942ELNS1_3gpuE9ELNS1_3repE0EEENS1_30default_config_static_selectorELNS0_4arch9wavefront6targetE0EEEvS10_.uses_flat_scratch, 0
	.set _ZN7rocprim17ROCPRIM_400000_NS6detail17trampoline_kernelINS0_14default_configENS1_21merge_config_selectorINS0_5tupleIJjjEEENS0_10empty_typeEEEZNS1_10merge_implIS3_NS0_12zip_iteratorINS5_IJN6thrust23THRUST_200600_302600_NS6detail15normal_iteratorINSC_10device_ptrIKjEEEESI_EEEEESK_NSA_INS5_IJNSE_INSF_IjEEEESM_EEEEEPS7_SP_SP_NSC_11hip_rocprim7__merge17predicate_wrapperIjjNSC_4lessIjEEEEEE10hipError_tPvRmT0_T1_T2_T3_T4_T5_mmT6_P12ihipStream_tbEUlT_E_NS1_11comp_targetILNS1_3genE5ELNS1_11target_archE942ELNS1_3gpuE9ELNS1_3repE0EEENS1_30default_config_static_selectorELNS0_4arch9wavefront6targetE0EEEvS10_.has_dyn_sized_stack, 0
	.set _ZN7rocprim17ROCPRIM_400000_NS6detail17trampoline_kernelINS0_14default_configENS1_21merge_config_selectorINS0_5tupleIJjjEEENS0_10empty_typeEEEZNS1_10merge_implIS3_NS0_12zip_iteratorINS5_IJN6thrust23THRUST_200600_302600_NS6detail15normal_iteratorINSC_10device_ptrIKjEEEESI_EEEEESK_NSA_INS5_IJNSE_INSF_IjEEEESM_EEEEEPS7_SP_SP_NSC_11hip_rocprim7__merge17predicate_wrapperIjjNSC_4lessIjEEEEEE10hipError_tPvRmT0_T1_T2_T3_T4_T5_mmT6_P12ihipStream_tbEUlT_E_NS1_11comp_targetILNS1_3genE5ELNS1_11target_archE942ELNS1_3gpuE9ELNS1_3repE0EEENS1_30default_config_static_selectorELNS0_4arch9wavefront6targetE0EEEvS10_.has_recursion, 0
	.set _ZN7rocprim17ROCPRIM_400000_NS6detail17trampoline_kernelINS0_14default_configENS1_21merge_config_selectorINS0_5tupleIJjjEEENS0_10empty_typeEEEZNS1_10merge_implIS3_NS0_12zip_iteratorINS5_IJN6thrust23THRUST_200600_302600_NS6detail15normal_iteratorINSC_10device_ptrIKjEEEESI_EEEEESK_NSA_INS5_IJNSE_INSF_IjEEEESM_EEEEEPS7_SP_SP_NSC_11hip_rocprim7__merge17predicate_wrapperIjjNSC_4lessIjEEEEEE10hipError_tPvRmT0_T1_T2_T3_T4_T5_mmT6_P12ihipStream_tbEUlT_E_NS1_11comp_targetILNS1_3genE5ELNS1_11target_archE942ELNS1_3gpuE9ELNS1_3repE0EEENS1_30default_config_static_selectorELNS0_4arch9wavefront6targetE0EEEvS10_.has_indirect_call, 0
	.section	.AMDGPU.csdata,"",@progbits
; Kernel info:
; codeLenInByte = 0
; TotalNumSgprs: 0
; NumVgprs: 0
; ScratchSize: 0
; MemoryBound: 0
; FloatMode: 240
; IeeeMode: 1
; LDSByteSize: 0 bytes/workgroup (compile time only)
; SGPRBlocks: 0
; VGPRBlocks: 0
; NumSGPRsForWavesPerEU: 1
; NumVGPRsForWavesPerEU: 1
; Occupancy: 16
; WaveLimiterHint : 0
; COMPUTE_PGM_RSRC2:SCRATCH_EN: 0
; COMPUTE_PGM_RSRC2:USER_SGPR: 6
; COMPUTE_PGM_RSRC2:TRAP_HANDLER: 0
; COMPUTE_PGM_RSRC2:TGID_X_EN: 1
; COMPUTE_PGM_RSRC2:TGID_Y_EN: 0
; COMPUTE_PGM_RSRC2:TGID_Z_EN: 0
; COMPUTE_PGM_RSRC2:TIDIG_COMP_CNT: 0
	.section	.text._ZN7rocprim17ROCPRIM_400000_NS6detail17trampoline_kernelINS0_14default_configENS1_21merge_config_selectorINS0_5tupleIJjjEEENS0_10empty_typeEEEZNS1_10merge_implIS3_NS0_12zip_iteratorINS5_IJN6thrust23THRUST_200600_302600_NS6detail15normal_iteratorINSC_10device_ptrIKjEEEESI_EEEEESK_NSA_INS5_IJNSE_INSF_IjEEEESM_EEEEEPS7_SP_SP_NSC_11hip_rocprim7__merge17predicate_wrapperIjjNSC_4lessIjEEEEEE10hipError_tPvRmT0_T1_T2_T3_T4_T5_mmT6_P12ihipStream_tbEUlT_E_NS1_11comp_targetILNS1_3genE4ELNS1_11target_archE910ELNS1_3gpuE8ELNS1_3repE0EEENS1_30default_config_static_selectorELNS0_4arch9wavefront6targetE0EEEvS10_,"axG",@progbits,_ZN7rocprim17ROCPRIM_400000_NS6detail17trampoline_kernelINS0_14default_configENS1_21merge_config_selectorINS0_5tupleIJjjEEENS0_10empty_typeEEEZNS1_10merge_implIS3_NS0_12zip_iteratorINS5_IJN6thrust23THRUST_200600_302600_NS6detail15normal_iteratorINSC_10device_ptrIKjEEEESI_EEEEESK_NSA_INS5_IJNSE_INSF_IjEEEESM_EEEEEPS7_SP_SP_NSC_11hip_rocprim7__merge17predicate_wrapperIjjNSC_4lessIjEEEEEE10hipError_tPvRmT0_T1_T2_T3_T4_T5_mmT6_P12ihipStream_tbEUlT_E_NS1_11comp_targetILNS1_3genE4ELNS1_11target_archE910ELNS1_3gpuE8ELNS1_3repE0EEENS1_30default_config_static_selectorELNS0_4arch9wavefront6targetE0EEEvS10_,comdat
	.protected	_ZN7rocprim17ROCPRIM_400000_NS6detail17trampoline_kernelINS0_14default_configENS1_21merge_config_selectorINS0_5tupleIJjjEEENS0_10empty_typeEEEZNS1_10merge_implIS3_NS0_12zip_iteratorINS5_IJN6thrust23THRUST_200600_302600_NS6detail15normal_iteratorINSC_10device_ptrIKjEEEESI_EEEEESK_NSA_INS5_IJNSE_INSF_IjEEEESM_EEEEEPS7_SP_SP_NSC_11hip_rocprim7__merge17predicate_wrapperIjjNSC_4lessIjEEEEEE10hipError_tPvRmT0_T1_T2_T3_T4_T5_mmT6_P12ihipStream_tbEUlT_E_NS1_11comp_targetILNS1_3genE4ELNS1_11target_archE910ELNS1_3gpuE8ELNS1_3repE0EEENS1_30default_config_static_selectorELNS0_4arch9wavefront6targetE0EEEvS10_ ; -- Begin function _ZN7rocprim17ROCPRIM_400000_NS6detail17trampoline_kernelINS0_14default_configENS1_21merge_config_selectorINS0_5tupleIJjjEEENS0_10empty_typeEEEZNS1_10merge_implIS3_NS0_12zip_iteratorINS5_IJN6thrust23THRUST_200600_302600_NS6detail15normal_iteratorINSC_10device_ptrIKjEEEESI_EEEEESK_NSA_INS5_IJNSE_INSF_IjEEEESM_EEEEEPS7_SP_SP_NSC_11hip_rocprim7__merge17predicate_wrapperIjjNSC_4lessIjEEEEEE10hipError_tPvRmT0_T1_T2_T3_T4_T5_mmT6_P12ihipStream_tbEUlT_E_NS1_11comp_targetILNS1_3genE4ELNS1_11target_archE910ELNS1_3gpuE8ELNS1_3repE0EEENS1_30default_config_static_selectorELNS0_4arch9wavefront6targetE0EEEvS10_
	.globl	_ZN7rocprim17ROCPRIM_400000_NS6detail17trampoline_kernelINS0_14default_configENS1_21merge_config_selectorINS0_5tupleIJjjEEENS0_10empty_typeEEEZNS1_10merge_implIS3_NS0_12zip_iteratorINS5_IJN6thrust23THRUST_200600_302600_NS6detail15normal_iteratorINSC_10device_ptrIKjEEEESI_EEEEESK_NSA_INS5_IJNSE_INSF_IjEEEESM_EEEEEPS7_SP_SP_NSC_11hip_rocprim7__merge17predicate_wrapperIjjNSC_4lessIjEEEEEE10hipError_tPvRmT0_T1_T2_T3_T4_T5_mmT6_P12ihipStream_tbEUlT_E_NS1_11comp_targetILNS1_3genE4ELNS1_11target_archE910ELNS1_3gpuE8ELNS1_3repE0EEENS1_30default_config_static_selectorELNS0_4arch9wavefront6targetE0EEEvS10_
	.p2align	8
	.type	_ZN7rocprim17ROCPRIM_400000_NS6detail17trampoline_kernelINS0_14default_configENS1_21merge_config_selectorINS0_5tupleIJjjEEENS0_10empty_typeEEEZNS1_10merge_implIS3_NS0_12zip_iteratorINS5_IJN6thrust23THRUST_200600_302600_NS6detail15normal_iteratorINSC_10device_ptrIKjEEEESI_EEEEESK_NSA_INS5_IJNSE_INSF_IjEEEESM_EEEEEPS7_SP_SP_NSC_11hip_rocprim7__merge17predicate_wrapperIjjNSC_4lessIjEEEEEE10hipError_tPvRmT0_T1_T2_T3_T4_T5_mmT6_P12ihipStream_tbEUlT_E_NS1_11comp_targetILNS1_3genE4ELNS1_11target_archE910ELNS1_3gpuE8ELNS1_3repE0EEENS1_30default_config_static_selectorELNS0_4arch9wavefront6targetE0EEEvS10_,@function
_ZN7rocprim17ROCPRIM_400000_NS6detail17trampoline_kernelINS0_14default_configENS1_21merge_config_selectorINS0_5tupleIJjjEEENS0_10empty_typeEEEZNS1_10merge_implIS3_NS0_12zip_iteratorINS5_IJN6thrust23THRUST_200600_302600_NS6detail15normal_iteratorINSC_10device_ptrIKjEEEESI_EEEEESK_NSA_INS5_IJNSE_INSF_IjEEEESM_EEEEEPS7_SP_SP_NSC_11hip_rocprim7__merge17predicate_wrapperIjjNSC_4lessIjEEEEEE10hipError_tPvRmT0_T1_T2_T3_T4_T5_mmT6_P12ihipStream_tbEUlT_E_NS1_11comp_targetILNS1_3genE4ELNS1_11target_archE910ELNS1_3gpuE8ELNS1_3repE0EEENS1_30default_config_static_selectorELNS0_4arch9wavefront6targetE0EEEvS10_: ; @_ZN7rocprim17ROCPRIM_400000_NS6detail17trampoline_kernelINS0_14default_configENS1_21merge_config_selectorINS0_5tupleIJjjEEENS0_10empty_typeEEEZNS1_10merge_implIS3_NS0_12zip_iteratorINS5_IJN6thrust23THRUST_200600_302600_NS6detail15normal_iteratorINSC_10device_ptrIKjEEEESI_EEEEESK_NSA_INS5_IJNSE_INSF_IjEEEESM_EEEEEPS7_SP_SP_NSC_11hip_rocprim7__merge17predicate_wrapperIjjNSC_4lessIjEEEEEE10hipError_tPvRmT0_T1_T2_T3_T4_T5_mmT6_P12ihipStream_tbEUlT_E_NS1_11comp_targetILNS1_3genE4ELNS1_11target_archE910ELNS1_3gpuE8ELNS1_3repE0EEENS1_30default_config_static_selectorELNS0_4arch9wavefront6targetE0EEEvS10_
; %bb.0:
	.section	.rodata,"a",@progbits
	.p2align	6, 0x0
	.amdhsa_kernel _ZN7rocprim17ROCPRIM_400000_NS6detail17trampoline_kernelINS0_14default_configENS1_21merge_config_selectorINS0_5tupleIJjjEEENS0_10empty_typeEEEZNS1_10merge_implIS3_NS0_12zip_iteratorINS5_IJN6thrust23THRUST_200600_302600_NS6detail15normal_iteratorINSC_10device_ptrIKjEEEESI_EEEEESK_NSA_INS5_IJNSE_INSF_IjEEEESM_EEEEEPS7_SP_SP_NSC_11hip_rocprim7__merge17predicate_wrapperIjjNSC_4lessIjEEEEEE10hipError_tPvRmT0_T1_T2_T3_T4_T5_mmT6_P12ihipStream_tbEUlT_E_NS1_11comp_targetILNS1_3genE4ELNS1_11target_archE910ELNS1_3gpuE8ELNS1_3repE0EEENS1_30default_config_static_selectorELNS0_4arch9wavefront6targetE0EEEvS10_
		.amdhsa_group_segment_fixed_size 0
		.amdhsa_private_segment_fixed_size 0
		.amdhsa_kernarg_size 64
		.amdhsa_user_sgpr_count 6
		.amdhsa_user_sgpr_private_segment_buffer 1
		.amdhsa_user_sgpr_dispatch_ptr 0
		.amdhsa_user_sgpr_queue_ptr 0
		.amdhsa_user_sgpr_kernarg_segment_ptr 1
		.amdhsa_user_sgpr_dispatch_id 0
		.amdhsa_user_sgpr_flat_scratch_init 0
		.amdhsa_user_sgpr_private_segment_size 0
		.amdhsa_wavefront_size32 1
		.amdhsa_uses_dynamic_stack 0
		.amdhsa_system_sgpr_private_segment_wavefront_offset 0
		.amdhsa_system_sgpr_workgroup_id_x 1
		.amdhsa_system_sgpr_workgroup_id_y 0
		.amdhsa_system_sgpr_workgroup_id_z 0
		.amdhsa_system_sgpr_workgroup_info 0
		.amdhsa_system_vgpr_workitem_id 0
		.amdhsa_next_free_vgpr 1
		.amdhsa_next_free_sgpr 1
		.amdhsa_reserve_vcc 0
		.amdhsa_reserve_flat_scratch 0
		.amdhsa_float_round_mode_32 0
		.amdhsa_float_round_mode_16_64 0
		.amdhsa_float_denorm_mode_32 3
		.amdhsa_float_denorm_mode_16_64 3
		.amdhsa_dx10_clamp 1
		.amdhsa_ieee_mode 1
		.amdhsa_fp16_overflow 0
		.amdhsa_workgroup_processor_mode 1
		.amdhsa_memory_ordered 1
		.amdhsa_forward_progress 1
		.amdhsa_shared_vgpr_count 0
		.amdhsa_exception_fp_ieee_invalid_op 0
		.amdhsa_exception_fp_denorm_src 0
		.amdhsa_exception_fp_ieee_div_zero 0
		.amdhsa_exception_fp_ieee_overflow 0
		.amdhsa_exception_fp_ieee_underflow 0
		.amdhsa_exception_fp_ieee_inexact 0
		.amdhsa_exception_int_div_zero 0
	.end_amdhsa_kernel
	.section	.text._ZN7rocprim17ROCPRIM_400000_NS6detail17trampoline_kernelINS0_14default_configENS1_21merge_config_selectorINS0_5tupleIJjjEEENS0_10empty_typeEEEZNS1_10merge_implIS3_NS0_12zip_iteratorINS5_IJN6thrust23THRUST_200600_302600_NS6detail15normal_iteratorINSC_10device_ptrIKjEEEESI_EEEEESK_NSA_INS5_IJNSE_INSF_IjEEEESM_EEEEEPS7_SP_SP_NSC_11hip_rocprim7__merge17predicate_wrapperIjjNSC_4lessIjEEEEEE10hipError_tPvRmT0_T1_T2_T3_T4_T5_mmT6_P12ihipStream_tbEUlT_E_NS1_11comp_targetILNS1_3genE4ELNS1_11target_archE910ELNS1_3gpuE8ELNS1_3repE0EEENS1_30default_config_static_selectorELNS0_4arch9wavefront6targetE0EEEvS10_,"axG",@progbits,_ZN7rocprim17ROCPRIM_400000_NS6detail17trampoline_kernelINS0_14default_configENS1_21merge_config_selectorINS0_5tupleIJjjEEENS0_10empty_typeEEEZNS1_10merge_implIS3_NS0_12zip_iteratorINS5_IJN6thrust23THRUST_200600_302600_NS6detail15normal_iteratorINSC_10device_ptrIKjEEEESI_EEEEESK_NSA_INS5_IJNSE_INSF_IjEEEESM_EEEEEPS7_SP_SP_NSC_11hip_rocprim7__merge17predicate_wrapperIjjNSC_4lessIjEEEEEE10hipError_tPvRmT0_T1_T2_T3_T4_T5_mmT6_P12ihipStream_tbEUlT_E_NS1_11comp_targetILNS1_3genE4ELNS1_11target_archE910ELNS1_3gpuE8ELNS1_3repE0EEENS1_30default_config_static_selectorELNS0_4arch9wavefront6targetE0EEEvS10_,comdat
.Lfunc_end135:
	.size	_ZN7rocprim17ROCPRIM_400000_NS6detail17trampoline_kernelINS0_14default_configENS1_21merge_config_selectorINS0_5tupleIJjjEEENS0_10empty_typeEEEZNS1_10merge_implIS3_NS0_12zip_iteratorINS5_IJN6thrust23THRUST_200600_302600_NS6detail15normal_iteratorINSC_10device_ptrIKjEEEESI_EEEEESK_NSA_INS5_IJNSE_INSF_IjEEEESM_EEEEEPS7_SP_SP_NSC_11hip_rocprim7__merge17predicate_wrapperIjjNSC_4lessIjEEEEEE10hipError_tPvRmT0_T1_T2_T3_T4_T5_mmT6_P12ihipStream_tbEUlT_E_NS1_11comp_targetILNS1_3genE4ELNS1_11target_archE910ELNS1_3gpuE8ELNS1_3repE0EEENS1_30default_config_static_selectorELNS0_4arch9wavefront6targetE0EEEvS10_, .Lfunc_end135-_ZN7rocprim17ROCPRIM_400000_NS6detail17trampoline_kernelINS0_14default_configENS1_21merge_config_selectorINS0_5tupleIJjjEEENS0_10empty_typeEEEZNS1_10merge_implIS3_NS0_12zip_iteratorINS5_IJN6thrust23THRUST_200600_302600_NS6detail15normal_iteratorINSC_10device_ptrIKjEEEESI_EEEEESK_NSA_INS5_IJNSE_INSF_IjEEEESM_EEEEEPS7_SP_SP_NSC_11hip_rocprim7__merge17predicate_wrapperIjjNSC_4lessIjEEEEEE10hipError_tPvRmT0_T1_T2_T3_T4_T5_mmT6_P12ihipStream_tbEUlT_E_NS1_11comp_targetILNS1_3genE4ELNS1_11target_archE910ELNS1_3gpuE8ELNS1_3repE0EEENS1_30default_config_static_selectorELNS0_4arch9wavefront6targetE0EEEvS10_
                                        ; -- End function
	.set _ZN7rocprim17ROCPRIM_400000_NS6detail17trampoline_kernelINS0_14default_configENS1_21merge_config_selectorINS0_5tupleIJjjEEENS0_10empty_typeEEEZNS1_10merge_implIS3_NS0_12zip_iteratorINS5_IJN6thrust23THRUST_200600_302600_NS6detail15normal_iteratorINSC_10device_ptrIKjEEEESI_EEEEESK_NSA_INS5_IJNSE_INSF_IjEEEESM_EEEEEPS7_SP_SP_NSC_11hip_rocprim7__merge17predicate_wrapperIjjNSC_4lessIjEEEEEE10hipError_tPvRmT0_T1_T2_T3_T4_T5_mmT6_P12ihipStream_tbEUlT_E_NS1_11comp_targetILNS1_3genE4ELNS1_11target_archE910ELNS1_3gpuE8ELNS1_3repE0EEENS1_30default_config_static_selectorELNS0_4arch9wavefront6targetE0EEEvS10_.num_vgpr, 0
	.set _ZN7rocprim17ROCPRIM_400000_NS6detail17trampoline_kernelINS0_14default_configENS1_21merge_config_selectorINS0_5tupleIJjjEEENS0_10empty_typeEEEZNS1_10merge_implIS3_NS0_12zip_iteratorINS5_IJN6thrust23THRUST_200600_302600_NS6detail15normal_iteratorINSC_10device_ptrIKjEEEESI_EEEEESK_NSA_INS5_IJNSE_INSF_IjEEEESM_EEEEEPS7_SP_SP_NSC_11hip_rocprim7__merge17predicate_wrapperIjjNSC_4lessIjEEEEEE10hipError_tPvRmT0_T1_T2_T3_T4_T5_mmT6_P12ihipStream_tbEUlT_E_NS1_11comp_targetILNS1_3genE4ELNS1_11target_archE910ELNS1_3gpuE8ELNS1_3repE0EEENS1_30default_config_static_selectorELNS0_4arch9wavefront6targetE0EEEvS10_.num_agpr, 0
	.set _ZN7rocprim17ROCPRIM_400000_NS6detail17trampoline_kernelINS0_14default_configENS1_21merge_config_selectorINS0_5tupleIJjjEEENS0_10empty_typeEEEZNS1_10merge_implIS3_NS0_12zip_iteratorINS5_IJN6thrust23THRUST_200600_302600_NS6detail15normal_iteratorINSC_10device_ptrIKjEEEESI_EEEEESK_NSA_INS5_IJNSE_INSF_IjEEEESM_EEEEEPS7_SP_SP_NSC_11hip_rocprim7__merge17predicate_wrapperIjjNSC_4lessIjEEEEEE10hipError_tPvRmT0_T1_T2_T3_T4_T5_mmT6_P12ihipStream_tbEUlT_E_NS1_11comp_targetILNS1_3genE4ELNS1_11target_archE910ELNS1_3gpuE8ELNS1_3repE0EEENS1_30default_config_static_selectorELNS0_4arch9wavefront6targetE0EEEvS10_.numbered_sgpr, 0
	.set _ZN7rocprim17ROCPRIM_400000_NS6detail17trampoline_kernelINS0_14default_configENS1_21merge_config_selectorINS0_5tupleIJjjEEENS0_10empty_typeEEEZNS1_10merge_implIS3_NS0_12zip_iteratorINS5_IJN6thrust23THRUST_200600_302600_NS6detail15normal_iteratorINSC_10device_ptrIKjEEEESI_EEEEESK_NSA_INS5_IJNSE_INSF_IjEEEESM_EEEEEPS7_SP_SP_NSC_11hip_rocprim7__merge17predicate_wrapperIjjNSC_4lessIjEEEEEE10hipError_tPvRmT0_T1_T2_T3_T4_T5_mmT6_P12ihipStream_tbEUlT_E_NS1_11comp_targetILNS1_3genE4ELNS1_11target_archE910ELNS1_3gpuE8ELNS1_3repE0EEENS1_30default_config_static_selectorELNS0_4arch9wavefront6targetE0EEEvS10_.num_named_barrier, 0
	.set _ZN7rocprim17ROCPRIM_400000_NS6detail17trampoline_kernelINS0_14default_configENS1_21merge_config_selectorINS0_5tupleIJjjEEENS0_10empty_typeEEEZNS1_10merge_implIS3_NS0_12zip_iteratorINS5_IJN6thrust23THRUST_200600_302600_NS6detail15normal_iteratorINSC_10device_ptrIKjEEEESI_EEEEESK_NSA_INS5_IJNSE_INSF_IjEEEESM_EEEEEPS7_SP_SP_NSC_11hip_rocprim7__merge17predicate_wrapperIjjNSC_4lessIjEEEEEE10hipError_tPvRmT0_T1_T2_T3_T4_T5_mmT6_P12ihipStream_tbEUlT_E_NS1_11comp_targetILNS1_3genE4ELNS1_11target_archE910ELNS1_3gpuE8ELNS1_3repE0EEENS1_30default_config_static_selectorELNS0_4arch9wavefront6targetE0EEEvS10_.private_seg_size, 0
	.set _ZN7rocprim17ROCPRIM_400000_NS6detail17trampoline_kernelINS0_14default_configENS1_21merge_config_selectorINS0_5tupleIJjjEEENS0_10empty_typeEEEZNS1_10merge_implIS3_NS0_12zip_iteratorINS5_IJN6thrust23THRUST_200600_302600_NS6detail15normal_iteratorINSC_10device_ptrIKjEEEESI_EEEEESK_NSA_INS5_IJNSE_INSF_IjEEEESM_EEEEEPS7_SP_SP_NSC_11hip_rocprim7__merge17predicate_wrapperIjjNSC_4lessIjEEEEEE10hipError_tPvRmT0_T1_T2_T3_T4_T5_mmT6_P12ihipStream_tbEUlT_E_NS1_11comp_targetILNS1_3genE4ELNS1_11target_archE910ELNS1_3gpuE8ELNS1_3repE0EEENS1_30default_config_static_selectorELNS0_4arch9wavefront6targetE0EEEvS10_.uses_vcc, 0
	.set _ZN7rocprim17ROCPRIM_400000_NS6detail17trampoline_kernelINS0_14default_configENS1_21merge_config_selectorINS0_5tupleIJjjEEENS0_10empty_typeEEEZNS1_10merge_implIS3_NS0_12zip_iteratorINS5_IJN6thrust23THRUST_200600_302600_NS6detail15normal_iteratorINSC_10device_ptrIKjEEEESI_EEEEESK_NSA_INS5_IJNSE_INSF_IjEEEESM_EEEEEPS7_SP_SP_NSC_11hip_rocprim7__merge17predicate_wrapperIjjNSC_4lessIjEEEEEE10hipError_tPvRmT0_T1_T2_T3_T4_T5_mmT6_P12ihipStream_tbEUlT_E_NS1_11comp_targetILNS1_3genE4ELNS1_11target_archE910ELNS1_3gpuE8ELNS1_3repE0EEENS1_30default_config_static_selectorELNS0_4arch9wavefront6targetE0EEEvS10_.uses_flat_scratch, 0
	.set _ZN7rocprim17ROCPRIM_400000_NS6detail17trampoline_kernelINS0_14default_configENS1_21merge_config_selectorINS0_5tupleIJjjEEENS0_10empty_typeEEEZNS1_10merge_implIS3_NS0_12zip_iteratorINS5_IJN6thrust23THRUST_200600_302600_NS6detail15normal_iteratorINSC_10device_ptrIKjEEEESI_EEEEESK_NSA_INS5_IJNSE_INSF_IjEEEESM_EEEEEPS7_SP_SP_NSC_11hip_rocprim7__merge17predicate_wrapperIjjNSC_4lessIjEEEEEE10hipError_tPvRmT0_T1_T2_T3_T4_T5_mmT6_P12ihipStream_tbEUlT_E_NS1_11comp_targetILNS1_3genE4ELNS1_11target_archE910ELNS1_3gpuE8ELNS1_3repE0EEENS1_30default_config_static_selectorELNS0_4arch9wavefront6targetE0EEEvS10_.has_dyn_sized_stack, 0
	.set _ZN7rocprim17ROCPRIM_400000_NS6detail17trampoline_kernelINS0_14default_configENS1_21merge_config_selectorINS0_5tupleIJjjEEENS0_10empty_typeEEEZNS1_10merge_implIS3_NS0_12zip_iteratorINS5_IJN6thrust23THRUST_200600_302600_NS6detail15normal_iteratorINSC_10device_ptrIKjEEEESI_EEEEESK_NSA_INS5_IJNSE_INSF_IjEEEESM_EEEEEPS7_SP_SP_NSC_11hip_rocprim7__merge17predicate_wrapperIjjNSC_4lessIjEEEEEE10hipError_tPvRmT0_T1_T2_T3_T4_T5_mmT6_P12ihipStream_tbEUlT_E_NS1_11comp_targetILNS1_3genE4ELNS1_11target_archE910ELNS1_3gpuE8ELNS1_3repE0EEENS1_30default_config_static_selectorELNS0_4arch9wavefront6targetE0EEEvS10_.has_recursion, 0
	.set _ZN7rocprim17ROCPRIM_400000_NS6detail17trampoline_kernelINS0_14default_configENS1_21merge_config_selectorINS0_5tupleIJjjEEENS0_10empty_typeEEEZNS1_10merge_implIS3_NS0_12zip_iteratorINS5_IJN6thrust23THRUST_200600_302600_NS6detail15normal_iteratorINSC_10device_ptrIKjEEEESI_EEEEESK_NSA_INS5_IJNSE_INSF_IjEEEESM_EEEEEPS7_SP_SP_NSC_11hip_rocprim7__merge17predicate_wrapperIjjNSC_4lessIjEEEEEE10hipError_tPvRmT0_T1_T2_T3_T4_T5_mmT6_P12ihipStream_tbEUlT_E_NS1_11comp_targetILNS1_3genE4ELNS1_11target_archE910ELNS1_3gpuE8ELNS1_3repE0EEENS1_30default_config_static_selectorELNS0_4arch9wavefront6targetE0EEEvS10_.has_indirect_call, 0
	.section	.AMDGPU.csdata,"",@progbits
; Kernel info:
; codeLenInByte = 0
; TotalNumSgprs: 0
; NumVgprs: 0
; ScratchSize: 0
; MemoryBound: 0
; FloatMode: 240
; IeeeMode: 1
; LDSByteSize: 0 bytes/workgroup (compile time only)
; SGPRBlocks: 0
; VGPRBlocks: 0
; NumSGPRsForWavesPerEU: 1
; NumVGPRsForWavesPerEU: 1
; Occupancy: 16
; WaveLimiterHint : 0
; COMPUTE_PGM_RSRC2:SCRATCH_EN: 0
; COMPUTE_PGM_RSRC2:USER_SGPR: 6
; COMPUTE_PGM_RSRC2:TRAP_HANDLER: 0
; COMPUTE_PGM_RSRC2:TGID_X_EN: 1
; COMPUTE_PGM_RSRC2:TGID_Y_EN: 0
; COMPUTE_PGM_RSRC2:TGID_Z_EN: 0
; COMPUTE_PGM_RSRC2:TIDIG_COMP_CNT: 0
	.section	.text._ZN7rocprim17ROCPRIM_400000_NS6detail17trampoline_kernelINS0_14default_configENS1_21merge_config_selectorINS0_5tupleIJjjEEENS0_10empty_typeEEEZNS1_10merge_implIS3_NS0_12zip_iteratorINS5_IJN6thrust23THRUST_200600_302600_NS6detail15normal_iteratorINSC_10device_ptrIKjEEEESI_EEEEESK_NSA_INS5_IJNSE_INSF_IjEEEESM_EEEEEPS7_SP_SP_NSC_11hip_rocprim7__merge17predicate_wrapperIjjNSC_4lessIjEEEEEE10hipError_tPvRmT0_T1_T2_T3_T4_T5_mmT6_P12ihipStream_tbEUlT_E_NS1_11comp_targetILNS1_3genE3ELNS1_11target_archE908ELNS1_3gpuE7ELNS1_3repE0EEENS1_30default_config_static_selectorELNS0_4arch9wavefront6targetE0EEEvS10_,"axG",@progbits,_ZN7rocprim17ROCPRIM_400000_NS6detail17trampoline_kernelINS0_14default_configENS1_21merge_config_selectorINS0_5tupleIJjjEEENS0_10empty_typeEEEZNS1_10merge_implIS3_NS0_12zip_iteratorINS5_IJN6thrust23THRUST_200600_302600_NS6detail15normal_iteratorINSC_10device_ptrIKjEEEESI_EEEEESK_NSA_INS5_IJNSE_INSF_IjEEEESM_EEEEEPS7_SP_SP_NSC_11hip_rocprim7__merge17predicate_wrapperIjjNSC_4lessIjEEEEEE10hipError_tPvRmT0_T1_T2_T3_T4_T5_mmT6_P12ihipStream_tbEUlT_E_NS1_11comp_targetILNS1_3genE3ELNS1_11target_archE908ELNS1_3gpuE7ELNS1_3repE0EEENS1_30default_config_static_selectorELNS0_4arch9wavefront6targetE0EEEvS10_,comdat
	.protected	_ZN7rocprim17ROCPRIM_400000_NS6detail17trampoline_kernelINS0_14default_configENS1_21merge_config_selectorINS0_5tupleIJjjEEENS0_10empty_typeEEEZNS1_10merge_implIS3_NS0_12zip_iteratorINS5_IJN6thrust23THRUST_200600_302600_NS6detail15normal_iteratorINSC_10device_ptrIKjEEEESI_EEEEESK_NSA_INS5_IJNSE_INSF_IjEEEESM_EEEEEPS7_SP_SP_NSC_11hip_rocprim7__merge17predicate_wrapperIjjNSC_4lessIjEEEEEE10hipError_tPvRmT0_T1_T2_T3_T4_T5_mmT6_P12ihipStream_tbEUlT_E_NS1_11comp_targetILNS1_3genE3ELNS1_11target_archE908ELNS1_3gpuE7ELNS1_3repE0EEENS1_30default_config_static_selectorELNS0_4arch9wavefront6targetE0EEEvS10_ ; -- Begin function _ZN7rocprim17ROCPRIM_400000_NS6detail17trampoline_kernelINS0_14default_configENS1_21merge_config_selectorINS0_5tupleIJjjEEENS0_10empty_typeEEEZNS1_10merge_implIS3_NS0_12zip_iteratorINS5_IJN6thrust23THRUST_200600_302600_NS6detail15normal_iteratorINSC_10device_ptrIKjEEEESI_EEEEESK_NSA_INS5_IJNSE_INSF_IjEEEESM_EEEEEPS7_SP_SP_NSC_11hip_rocprim7__merge17predicate_wrapperIjjNSC_4lessIjEEEEEE10hipError_tPvRmT0_T1_T2_T3_T4_T5_mmT6_P12ihipStream_tbEUlT_E_NS1_11comp_targetILNS1_3genE3ELNS1_11target_archE908ELNS1_3gpuE7ELNS1_3repE0EEENS1_30default_config_static_selectorELNS0_4arch9wavefront6targetE0EEEvS10_
	.globl	_ZN7rocprim17ROCPRIM_400000_NS6detail17trampoline_kernelINS0_14default_configENS1_21merge_config_selectorINS0_5tupleIJjjEEENS0_10empty_typeEEEZNS1_10merge_implIS3_NS0_12zip_iteratorINS5_IJN6thrust23THRUST_200600_302600_NS6detail15normal_iteratorINSC_10device_ptrIKjEEEESI_EEEEESK_NSA_INS5_IJNSE_INSF_IjEEEESM_EEEEEPS7_SP_SP_NSC_11hip_rocprim7__merge17predicate_wrapperIjjNSC_4lessIjEEEEEE10hipError_tPvRmT0_T1_T2_T3_T4_T5_mmT6_P12ihipStream_tbEUlT_E_NS1_11comp_targetILNS1_3genE3ELNS1_11target_archE908ELNS1_3gpuE7ELNS1_3repE0EEENS1_30default_config_static_selectorELNS0_4arch9wavefront6targetE0EEEvS10_
	.p2align	8
	.type	_ZN7rocprim17ROCPRIM_400000_NS6detail17trampoline_kernelINS0_14default_configENS1_21merge_config_selectorINS0_5tupleIJjjEEENS0_10empty_typeEEEZNS1_10merge_implIS3_NS0_12zip_iteratorINS5_IJN6thrust23THRUST_200600_302600_NS6detail15normal_iteratorINSC_10device_ptrIKjEEEESI_EEEEESK_NSA_INS5_IJNSE_INSF_IjEEEESM_EEEEEPS7_SP_SP_NSC_11hip_rocprim7__merge17predicate_wrapperIjjNSC_4lessIjEEEEEE10hipError_tPvRmT0_T1_T2_T3_T4_T5_mmT6_P12ihipStream_tbEUlT_E_NS1_11comp_targetILNS1_3genE3ELNS1_11target_archE908ELNS1_3gpuE7ELNS1_3repE0EEENS1_30default_config_static_selectorELNS0_4arch9wavefront6targetE0EEEvS10_,@function
_ZN7rocprim17ROCPRIM_400000_NS6detail17trampoline_kernelINS0_14default_configENS1_21merge_config_selectorINS0_5tupleIJjjEEENS0_10empty_typeEEEZNS1_10merge_implIS3_NS0_12zip_iteratorINS5_IJN6thrust23THRUST_200600_302600_NS6detail15normal_iteratorINSC_10device_ptrIKjEEEESI_EEEEESK_NSA_INS5_IJNSE_INSF_IjEEEESM_EEEEEPS7_SP_SP_NSC_11hip_rocprim7__merge17predicate_wrapperIjjNSC_4lessIjEEEEEE10hipError_tPvRmT0_T1_T2_T3_T4_T5_mmT6_P12ihipStream_tbEUlT_E_NS1_11comp_targetILNS1_3genE3ELNS1_11target_archE908ELNS1_3gpuE7ELNS1_3repE0EEENS1_30default_config_static_selectorELNS0_4arch9wavefront6targetE0EEEvS10_: ; @_ZN7rocprim17ROCPRIM_400000_NS6detail17trampoline_kernelINS0_14default_configENS1_21merge_config_selectorINS0_5tupleIJjjEEENS0_10empty_typeEEEZNS1_10merge_implIS3_NS0_12zip_iteratorINS5_IJN6thrust23THRUST_200600_302600_NS6detail15normal_iteratorINSC_10device_ptrIKjEEEESI_EEEEESK_NSA_INS5_IJNSE_INSF_IjEEEESM_EEEEEPS7_SP_SP_NSC_11hip_rocprim7__merge17predicate_wrapperIjjNSC_4lessIjEEEEEE10hipError_tPvRmT0_T1_T2_T3_T4_T5_mmT6_P12ihipStream_tbEUlT_E_NS1_11comp_targetILNS1_3genE3ELNS1_11target_archE908ELNS1_3gpuE7ELNS1_3repE0EEENS1_30default_config_static_selectorELNS0_4arch9wavefront6targetE0EEEvS10_
; %bb.0:
	.section	.rodata,"a",@progbits
	.p2align	6, 0x0
	.amdhsa_kernel _ZN7rocprim17ROCPRIM_400000_NS6detail17trampoline_kernelINS0_14default_configENS1_21merge_config_selectorINS0_5tupleIJjjEEENS0_10empty_typeEEEZNS1_10merge_implIS3_NS0_12zip_iteratorINS5_IJN6thrust23THRUST_200600_302600_NS6detail15normal_iteratorINSC_10device_ptrIKjEEEESI_EEEEESK_NSA_INS5_IJNSE_INSF_IjEEEESM_EEEEEPS7_SP_SP_NSC_11hip_rocprim7__merge17predicate_wrapperIjjNSC_4lessIjEEEEEE10hipError_tPvRmT0_T1_T2_T3_T4_T5_mmT6_P12ihipStream_tbEUlT_E_NS1_11comp_targetILNS1_3genE3ELNS1_11target_archE908ELNS1_3gpuE7ELNS1_3repE0EEENS1_30default_config_static_selectorELNS0_4arch9wavefront6targetE0EEEvS10_
		.amdhsa_group_segment_fixed_size 0
		.amdhsa_private_segment_fixed_size 0
		.amdhsa_kernarg_size 64
		.amdhsa_user_sgpr_count 6
		.amdhsa_user_sgpr_private_segment_buffer 1
		.amdhsa_user_sgpr_dispatch_ptr 0
		.amdhsa_user_sgpr_queue_ptr 0
		.amdhsa_user_sgpr_kernarg_segment_ptr 1
		.amdhsa_user_sgpr_dispatch_id 0
		.amdhsa_user_sgpr_flat_scratch_init 0
		.amdhsa_user_sgpr_private_segment_size 0
		.amdhsa_wavefront_size32 1
		.amdhsa_uses_dynamic_stack 0
		.amdhsa_system_sgpr_private_segment_wavefront_offset 0
		.amdhsa_system_sgpr_workgroup_id_x 1
		.amdhsa_system_sgpr_workgroup_id_y 0
		.amdhsa_system_sgpr_workgroup_id_z 0
		.amdhsa_system_sgpr_workgroup_info 0
		.amdhsa_system_vgpr_workitem_id 0
		.amdhsa_next_free_vgpr 1
		.amdhsa_next_free_sgpr 1
		.amdhsa_reserve_vcc 0
		.amdhsa_reserve_flat_scratch 0
		.amdhsa_float_round_mode_32 0
		.amdhsa_float_round_mode_16_64 0
		.amdhsa_float_denorm_mode_32 3
		.amdhsa_float_denorm_mode_16_64 3
		.amdhsa_dx10_clamp 1
		.amdhsa_ieee_mode 1
		.amdhsa_fp16_overflow 0
		.amdhsa_workgroup_processor_mode 1
		.amdhsa_memory_ordered 1
		.amdhsa_forward_progress 1
		.amdhsa_shared_vgpr_count 0
		.amdhsa_exception_fp_ieee_invalid_op 0
		.amdhsa_exception_fp_denorm_src 0
		.amdhsa_exception_fp_ieee_div_zero 0
		.amdhsa_exception_fp_ieee_overflow 0
		.amdhsa_exception_fp_ieee_underflow 0
		.amdhsa_exception_fp_ieee_inexact 0
		.amdhsa_exception_int_div_zero 0
	.end_amdhsa_kernel
	.section	.text._ZN7rocprim17ROCPRIM_400000_NS6detail17trampoline_kernelINS0_14default_configENS1_21merge_config_selectorINS0_5tupleIJjjEEENS0_10empty_typeEEEZNS1_10merge_implIS3_NS0_12zip_iteratorINS5_IJN6thrust23THRUST_200600_302600_NS6detail15normal_iteratorINSC_10device_ptrIKjEEEESI_EEEEESK_NSA_INS5_IJNSE_INSF_IjEEEESM_EEEEEPS7_SP_SP_NSC_11hip_rocprim7__merge17predicate_wrapperIjjNSC_4lessIjEEEEEE10hipError_tPvRmT0_T1_T2_T3_T4_T5_mmT6_P12ihipStream_tbEUlT_E_NS1_11comp_targetILNS1_3genE3ELNS1_11target_archE908ELNS1_3gpuE7ELNS1_3repE0EEENS1_30default_config_static_selectorELNS0_4arch9wavefront6targetE0EEEvS10_,"axG",@progbits,_ZN7rocprim17ROCPRIM_400000_NS6detail17trampoline_kernelINS0_14default_configENS1_21merge_config_selectorINS0_5tupleIJjjEEENS0_10empty_typeEEEZNS1_10merge_implIS3_NS0_12zip_iteratorINS5_IJN6thrust23THRUST_200600_302600_NS6detail15normal_iteratorINSC_10device_ptrIKjEEEESI_EEEEESK_NSA_INS5_IJNSE_INSF_IjEEEESM_EEEEEPS7_SP_SP_NSC_11hip_rocprim7__merge17predicate_wrapperIjjNSC_4lessIjEEEEEE10hipError_tPvRmT0_T1_T2_T3_T4_T5_mmT6_P12ihipStream_tbEUlT_E_NS1_11comp_targetILNS1_3genE3ELNS1_11target_archE908ELNS1_3gpuE7ELNS1_3repE0EEENS1_30default_config_static_selectorELNS0_4arch9wavefront6targetE0EEEvS10_,comdat
.Lfunc_end136:
	.size	_ZN7rocprim17ROCPRIM_400000_NS6detail17trampoline_kernelINS0_14default_configENS1_21merge_config_selectorINS0_5tupleIJjjEEENS0_10empty_typeEEEZNS1_10merge_implIS3_NS0_12zip_iteratorINS5_IJN6thrust23THRUST_200600_302600_NS6detail15normal_iteratorINSC_10device_ptrIKjEEEESI_EEEEESK_NSA_INS5_IJNSE_INSF_IjEEEESM_EEEEEPS7_SP_SP_NSC_11hip_rocprim7__merge17predicate_wrapperIjjNSC_4lessIjEEEEEE10hipError_tPvRmT0_T1_T2_T3_T4_T5_mmT6_P12ihipStream_tbEUlT_E_NS1_11comp_targetILNS1_3genE3ELNS1_11target_archE908ELNS1_3gpuE7ELNS1_3repE0EEENS1_30default_config_static_selectorELNS0_4arch9wavefront6targetE0EEEvS10_, .Lfunc_end136-_ZN7rocprim17ROCPRIM_400000_NS6detail17trampoline_kernelINS0_14default_configENS1_21merge_config_selectorINS0_5tupleIJjjEEENS0_10empty_typeEEEZNS1_10merge_implIS3_NS0_12zip_iteratorINS5_IJN6thrust23THRUST_200600_302600_NS6detail15normal_iteratorINSC_10device_ptrIKjEEEESI_EEEEESK_NSA_INS5_IJNSE_INSF_IjEEEESM_EEEEEPS7_SP_SP_NSC_11hip_rocprim7__merge17predicate_wrapperIjjNSC_4lessIjEEEEEE10hipError_tPvRmT0_T1_T2_T3_T4_T5_mmT6_P12ihipStream_tbEUlT_E_NS1_11comp_targetILNS1_3genE3ELNS1_11target_archE908ELNS1_3gpuE7ELNS1_3repE0EEENS1_30default_config_static_selectorELNS0_4arch9wavefront6targetE0EEEvS10_
                                        ; -- End function
	.set _ZN7rocprim17ROCPRIM_400000_NS6detail17trampoline_kernelINS0_14default_configENS1_21merge_config_selectorINS0_5tupleIJjjEEENS0_10empty_typeEEEZNS1_10merge_implIS3_NS0_12zip_iteratorINS5_IJN6thrust23THRUST_200600_302600_NS6detail15normal_iteratorINSC_10device_ptrIKjEEEESI_EEEEESK_NSA_INS5_IJNSE_INSF_IjEEEESM_EEEEEPS7_SP_SP_NSC_11hip_rocprim7__merge17predicate_wrapperIjjNSC_4lessIjEEEEEE10hipError_tPvRmT0_T1_T2_T3_T4_T5_mmT6_P12ihipStream_tbEUlT_E_NS1_11comp_targetILNS1_3genE3ELNS1_11target_archE908ELNS1_3gpuE7ELNS1_3repE0EEENS1_30default_config_static_selectorELNS0_4arch9wavefront6targetE0EEEvS10_.num_vgpr, 0
	.set _ZN7rocprim17ROCPRIM_400000_NS6detail17trampoline_kernelINS0_14default_configENS1_21merge_config_selectorINS0_5tupleIJjjEEENS0_10empty_typeEEEZNS1_10merge_implIS3_NS0_12zip_iteratorINS5_IJN6thrust23THRUST_200600_302600_NS6detail15normal_iteratorINSC_10device_ptrIKjEEEESI_EEEEESK_NSA_INS5_IJNSE_INSF_IjEEEESM_EEEEEPS7_SP_SP_NSC_11hip_rocprim7__merge17predicate_wrapperIjjNSC_4lessIjEEEEEE10hipError_tPvRmT0_T1_T2_T3_T4_T5_mmT6_P12ihipStream_tbEUlT_E_NS1_11comp_targetILNS1_3genE3ELNS1_11target_archE908ELNS1_3gpuE7ELNS1_3repE0EEENS1_30default_config_static_selectorELNS0_4arch9wavefront6targetE0EEEvS10_.num_agpr, 0
	.set _ZN7rocprim17ROCPRIM_400000_NS6detail17trampoline_kernelINS0_14default_configENS1_21merge_config_selectorINS0_5tupleIJjjEEENS0_10empty_typeEEEZNS1_10merge_implIS3_NS0_12zip_iteratorINS5_IJN6thrust23THRUST_200600_302600_NS6detail15normal_iteratorINSC_10device_ptrIKjEEEESI_EEEEESK_NSA_INS5_IJNSE_INSF_IjEEEESM_EEEEEPS7_SP_SP_NSC_11hip_rocprim7__merge17predicate_wrapperIjjNSC_4lessIjEEEEEE10hipError_tPvRmT0_T1_T2_T3_T4_T5_mmT6_P12ihipStream_tbEUlT_E_NS1_11comp_targetILNS1_3genE3ELNS1_11target_archE908ELNS1_3gpuE7ELNS1_3repE0EEENS1_30default_config_static_selectorELNS0_4arch9wavefront6targetE0EEEvS10_.numbered_sgpr, 0
	.set _ZN7rocprim17ROCPRIM_400000_NS6detail17trampoline_kernelINS0_14default_configENS1_21merge_config_selectorINS0_5tupleIJjjEEENS0_10empty_typeEEEZNS1_10merge_implIS3_NS0_12zip_iteratorINS5_IJN6thrust23THRUST_200600_302600_NS6detail15normal_iteratorINSC_10device_ptrIKjEEEESI_EEEEESK_NSA_INS5_IJNSE_INSF_IjEEEESM_EEEEEPS7_SP_SP_NSC_11hip_rocprim7__merge17predicate_wrapperIjjNSC_4lessIjEEEEEE10hipError_tPvRmT0_T1_T2_T3_T4_T5_mmT6_P12ihipStream_tbEUlT_E_NS1_11comp_targetILNS1_3genE3ELNS1_11target_archE908ELNS1_3gpuE7ELNS1_3repE0EEENS1_30default_config_static_selectorELNS0_4arch9wavefront6targetE0EEEvS10_.num_named_barrier, 0
	.set _ZN7rocprim17ROCPRIM_400000_NS6detail17trampoline_kernelINS0_14default_configENS1_21merge_config_selectorINS0_5tupleIJjjEEENS0_10empty_typeEEEZNS1_10merge_implIS3_NS0_12zip_iteratorINS5_IJN6thrust23THRUST_200600_302600_NS6detail15normal_iteratorINSC_10device_ptrIKjEEEESI_EEEEESK_NSA_INS5_IJNSE_INSF_IjEEEESM_EEEEEPS7_SP_SP_NSC_11hip_rocprim7__merge17predicate_wrapperIjjNSC_4lessIjEEEEEE10hipError_tPvRmT0_T1_T2_T3_T4_T5_mmT6_P12ihipStream_tbEUlT_E_NS1_11comp_targetILNS1_3genE3ELNS1_11target_archE908ELNS1_3gpuE7ELNS1_3repE0EEENS1_30default_config_static_selectorELNS0_4arch9wavefront6targetE0EEEvS10_.private_seg_size, 0
	.set _ZN7rocprim17ROCPRIM_400000_NS6detail17trampoline_kernelINS0_14default_configENS1_21merge_config_selectorINS0_5tupleIJjjEEENS0_10empty_typeEEEZNS1_10merge_implIS3_NS0_12zip_iteratorINS5_IJN6thrust23THRUST_200600_302600_NS6detail15normal_iteratorINSC_10device_ptrIKjEEEESI_EEEEESK_NSA_INS5_IJNSE_INSF_IjEEEESM_EEEEEPS7_SP_SP_NSC_11hip_rocprim7__merge17predicate_wrapperIjjNSC_4lessIjEEEEEE10hipError_tPvRmT0_T1_T2_T3_T4_T5_mmT6_P12ihipStream_tbEUlT_E_NS1_11comp_targetILNS1_3genE3ELNS1_11target_archE908ELNS1_3gpuE7ELNS1_3repE0EEENS1_30default_config_static_selectorELNS0_4arch9wavefront6targetE0EEEvS10_.uses_vcc, 0
	.set _ZN7rocprim17ROCPRIM_400000_NS6detail17trampoline_kernelINS0_14default_configENS1_21merge_config_selectorINS0_5tupleIJjjEEENS0_10empty_typeEEEZNS1_10merge_implIS3_NS0_12zip_iteratorINS5_IJN6thrust23THRUST_200600_302600_NS6detail15normal_iteratorINSC_10device_ptrIKjEEEESI_EEEEESK_NSA_INS5_IJNSE_INSF_IjEEEESM_EEEEEPS7_SP_SP_NSC_11hip_rocprim7__merge17predicate_wrapperIjjNSC_4lessIjEEEEEE10hipError_tPvRmT0_T1_T2_T3_T4_T5_mmT6_P12ihipStream_tbEUlT_E_NS1_11comp_targetILNS1_3genE3ELNS1_11target_archE908ELNS1_3gpuE7ELNS1_3repE0EEENS1_30default_config_static_selectorELNS0_4arch9wavefront6targetE0EEEvS10_.uses_flat_scratch, 0
	.set _ZN7rocprim17ROCPRIM_400000_NS6detail17trampoline_kernelINS0_14default_configENS1_21merge_config_selectorINS0_5tupleIJjjEEENS0_10empty_typeEEEZNS1_10merge_implIS3_NS0_12zip_iteratorINS5_IJN6thrust23THRUST_200600_302600_NS6detail15normal_iteratorINSC_10device_ptrIKjEEEESI_EEEEESK_NSA_INS5_IJNSE_INSF_IjEEEESM_EEEEEPS7_SP_SP_NSC_11hip_rocprim7__merge17predicate_wrapperIjjNSC_4lessIjEEEEEE10hipError_tPvRmT0_T1_T2_T3_T4_T5_mmT6_P12ihipStream_tbEUlT_E_NS1_11comp_targetILNS1_3genE3ELNS1_11target_archE908ELNS1_3gpuE7ELNS1_3repE0EEENS1_30default_config_static_selectorELNS0_4arch9wavefront6targetE0EEEvS10_.has_dyn_sized_stack, 0
	.set _ZN7rocprim17ROCPRIM_400000_NS6detail17trampoline_kernelINS0_14default_configENS1_21merge_config_selectorINS0_5tupleIJjjEEENS0_10empty_typeEEEZNS1_10merge_implIS3_NS0_12zip_iteratorINS5_IJN6thrust23THRUST_200600_302600_NS6detail15normal_iteratorINSC_10device_ptrIKjEEEESI_EEEEESK_NSA_INS5_IJNSE_INSF_IjEEEESM_EEEEEPS7_SP_SP_NSC_11hip_rocprim7__merge17predicate_wrapperIjjNSC_4lessIjEEEEEE10hipError_tPvRmT0_T1_T2_T3_T4_T5_mmT6_P12ihipStream_tbEUlT_E_NS1_11comp_targetILNS1_3genE3ELNS1_11target_archE908ELNS1_3gpuE7ELNS1_3repE0EEENS1_30default_config_static_selectorELNS0_4arch9wavefront6targetE0EEEvS10_.has_recursion, 0
	.set _ZN7rocprim17ROCPRIM_400000_NS6detail17trampoline_kernelINS0_14default_configENS1_21merge_config_selectorINS0_5tupleIJjjEEENS0_10empty_typeEEEZNS1_10merge_implIS3_NS0_12zip_iteratorINS5_IJN6thrust23THRUST_200600_302600_NS6detail15normal_iteratorINSC_10device_ptrIKjEEEESI_EEEEESK_NSA_INS5_IJNSE_INSF_IjEEEESM_EEEEEPS7_SP_SP_NSC_11hip_rocprim7__merge17predicate_wrapperIjjNSC_4lessIjEEEEEE10hipError_tPvRmT0_T1_T2_T3_T4_T5_mmT6_P12ihipStream_tbEUlT_E_NS1_11comp_targetILNS1_3genE3ELNS1_11target_archE908ELNS1_3gpuE7ELNS1_3repE0EEENS1_30default_config_static_selectorELNS0_4arch9wavefront6targetE0EEEvS10_.has_indirect_call, 0
	.section	.AMDGPU.csdata,"",@progbits
; Kernel info:
; codeLenInByte = 0
; TotalNumSgprs: 0
; NumVgprs: 0
; ScratchSize: 0
; MemoryBound: 0
; FloatMode: 240
; IeeeMode: 1
; LDSByteSize: 0 bytes/workgroup (compile time only)
; SGPRBlocks: 0
; VGPRBlocks: 0
; NumSGPRsForWavesPerEU: 1
; NumVGPRsForWavesPerEU: 1
; Occupancy: 16
; WaveLimiterHint : 0
; COMPUTE_PGM_RSRC2:SCRATCH_EN: 0
; COMPUTE_PGM_RSRC2:USER_SGPR: 6
; COMPUTE_PGM_RSRC2:TRAP_HANDLER: 0
; COMPUTE_PGM_RSRC2:TGID_X_EN: 1
; COMPUTE_PGM_RSRC2:TGID_Y_EN: 0
; COMPUTE_PGM_RSRC2:TGID_Z_EN: 0
; COMPUTE_PGM_RSRC2:TIDIG_COMP_CNT: 0
	.section	.text._ZN7rocprim17ROCPRIM_400000_NS6detail17trampoline_kernelINS0_14default_configENS1_21merge_config_selectorINS0_5tupleIJjjEEENS0_10empty_typeEEEZNS1_10merge_implIS3_NS0_12zip_iteratorINS5_IJN6thrust23THRUST_200600_302600_NS6detail15normal_iteratorINSC_10device_ptrIKjEEEESI_EEEEESK_NSA_INS5_IJNSE_INSF_IjEEEESM_EEEEEPS7_SP_SP_NSC_11hip_rocprim7__merge17predicate_wrapperIjjNSC_4lessIjEEEEEE10hipError_tPvRmT0_T1_T2_T3_T4_T5_mmT6_P12ihipStream_tbEUlT_E_NS1_11comp_targetILNS1_3genE2ELNS1_11target_archE906ELNS1_3gpuE6ELNS1_3repE0EEENS1_30default_config_static_selectorELNS0_4arch9wavefront6targetE0EEEvS10_,"axG",@progbits,_ZN7rocprim17ROCPRIM_400000_NS6detail17trampoline_kernelINS0_14default_configENS1_21merge_config_selectorINS0_5tupleIJjjEEENS0_10empty_typeEEEZNS1_10merge_implIS3_NS0_12zip_iteratorINS5_IJN6thrust23THRUST_200600_302600_NS6detail15normal_iteratorINSC_10device_ptrIKjEEEESI_EEEEESK_NSA_INS5_IJNSE_INSF_IjEEEESM_EEEEEPS7_SP_SP_NSC_11hip_rocprim7__merge17predicate_wrapperIjjNSC_4lessIjEEEEEE10hipError_tPvRmT0_T1_T2_T3_T4_T5_mmT6_P12ihipStream_tbEUlT_E_NS1_11comp_targetILNS1_3genE2ELNS1_11target_archE906ELNS1_3gpuE6ELNS1_3repE0EEENS1_30default_config_static_selectorELNS0_4arch9wavefront6targetE0EEEvS10_,comdat
	.protected	_ZN7rocprim17ROCPRIM_400000_NS6detail17trampoline_kernelINS0_14default_configENS1_21merge_config_selectorINS0_5tupleIJjjEEENS0_10empty_typeEEEZNS1_10merge_implIS3_NS0_12zip_iteratorINS5_IJN6thrust23THRUST_200600_302600_NS6detail15normal_iteratorINSC_10device_ptrIKjEEEESI_EEEEESK_NSA_INS5_IJNSE_INSF_IjEEEESM_EEEEEPS7_SP_SP_NSC_11hip_rocprim7__merge17predicate_wrapperIjjNSC_4lessIjEEEEEE10hipError_tPvRmT0_T1_T2_T3_T4_T5_mmT6_P12ihipStream_tbEUlT_E_NS1_11comp_targetILNS1_3genE2ELNS1_11target_archE906ELNS1_3gpuE6ELNS1_3repE0EEENS1_30default_config_static_selectorELNS0_4arch9wavefront6targetE0EEEvS10_ ; -- Begin function _ZN7rocprim17ROCPRIM_400000_NS6detail17trampoline_kernelINS0_14default_configENS1_21merge_config_selectorINS0_5tupleIJjjEEENS0_10empty_typeEEEZNS1_10merge_implIS3_NS0_12zip_iteratorINS5_IJN6thrust23THRUST_200600_302600_NS6detail15normal_iteratorINSC_10device_ptrIKjEEEESI_EEEEESK_NSA_INS5_IJNSE_INSF_IjEEEESM_EEEEEPS7_SP_SP_NSC_11hip_rocprim7__merge17predicate_wrapperIjjNSC_4lessIjEEEEEE10hipError_tPvRmT0_T1_T2_T3_T4_T5_mmT6_P12ihipStream_tbEUlT_E_NS1_11comp_targetILNS1_3genE2ELNS1_11target_archE906ELNS1_3gpuE6ELNS1_3repE0EEENS1_30default_config_static_selectorELNS0_4arch9wavefront6targetE0EEEvS10_
	.globl	_ZN7rocprim17ROCPRIM_400000_NS6detail17trampoline_kernelINS0_14default_configENS1_21merge_config_selectorINS0_5tupleIJjjEEENS0_10empty_typeEEEZNS1_10merge_implIS3_NS0_12zip_iteratorINS5_IJN6thrust23THRUST_200600_302600_NS6detail15normal_iteratorINSC_10device_ptrIKjEEEESI_EEEEESK_NSA_INS5_IJNSE_INSF_IjEEEESM_EEEEEPS7_SP_SP_NSC_11hip_rocprim7__merge17predicate_wrapperIjjNSC_4lessIjEEEEEE10hipError_tPvRmT0_T1_T2_T3_T4_T5_mmT6_P12ihipStream_tbEUlT_E_NS1_11comp_targetILNS1_3genE2ELNS1_11target_archE906ELNS1_3gpuE6ELNS1_3repE0EEENS1_30default_config_static_selectorELNS0_4arch9wavefront6targetE0EEEvS10_
	.p2align	8
	.type	_ZN7rocprim17ROCPRIM_400000_NS6detail17trampoline_kernelINS0_14default_configENS1_21merge_config_selectorINS0_5tupleIJjjEEENS0_10empty_typeEEEZNS1_10merge_implIS3_NS0_12zip_iteratorINS5_IJN6thrust23THRUST_200600_302600_NS6detail15normal_iteratorINSC_10device_ptrIKjEEEESI_EEEEESK_NSA_INS5_IJNSE_INSF_IjEEEESM_EEEEEPS7_SP_SP_NSC_11hip_rocprim7__merge17predicate_wrapperIjjNSC_4lessIjEEEEEE10hipError_tPvRmT0_T1_T2_T3_T4_T5_mmT6_P12ihipStream_tbEUlT_E_NS1_11comp_targetILNS1_3genE2ELNS1_11target_archE906ELNS1_3gpuE6ELNS1_3repE0EEENS1_30default_config_static_selectorELNS0_4arch9wavefront6targetE0EEEvS10_,@function
_ZN7rocprim17ROCPRIM_400000_NS6detail17trampoline_kernelINS0_14default_configENS1_21merge_config_selectorINS0_5tupleIJjjEEENS0_10empty_typeEEEZNS1_10merge_implIS3_NS0_12zip_iteratorINS5_IJN6thrust23THRUST_200600_302600_NS6detail15normal_iteratorINSC_10device_ptrIKjEEEESI_EEEEESK_NSA_INS5_IJNSE_INSF_IjEEEESM_EEEEEPS7_SP_SP_NSC_11hip_rocprim7__merge17predicate_wrapperIjjNSC_4lessIjEEEEEE10hipError_tPvRmT0_T1_T2_T3_T4_T5_mmT6_P12ihipStream_tbEUlT_E_NS1_11comp_targetILNS1_3genE2ELNS1_11target_archE906ELNS1_3gpuE6ELNS1_3repE0EEENS1_30default_config_static_selectorELNS0_4arch9wavefront6targetE0EEEvS10_: ; @_ZN7rocprim17ROCPRIM_400000_NS6detail17trampoline_kernelINS0_14default_configENS1_21merge_config_selectorINS0_5tupleIJjjEEENS0_10empty_typeEEEZNS1_10merge_implIS3_NS0_12zip_iteratorINS5_IJN6thrust23THRUST_200600_302600_NS6detail15normal_iteratorINSC_10device_ptrIKjEEEESI_EEEEESK_NSA_INS5_IJNSE_INSF_IjEEEESM_EEEEEPS7_SP_SP_NSC_11hip_rocprim7__merge17predicate_wrapperIjjNSC_4lessIjEEEEEE10hipError_tPvRmT0_T1_T2_T3_T4_T5_mmT6_P12ihipStream_tbEUlT_E_NS1_11comp_targetILNS1_3genE2ELNS1_11target_archE906ELNS1_3gpuE6ELNS1_3repE0EEENS1_30default_config_static_selectorELNS0_4arch9wavefront6targetE0EEEvS10_
; %bb.0:
	.section	.rodata,"a",@progbits
	.p2align	6, 0x0
	.amdhsa_kernel _ZN7rocprim17ROCPRIM_400000_NS6detail17trampoline_kernelINS0_14default_configENS1_21merge_config_selectorINS0_5tupleIJjjEEENS0_10empty_typeEEEZNS1_10merge_implIS3_NS0_12zip_iteratorINS5_IJN6thrust23THRUST_200600_302600_NS6detail15normal_iteratorINSC_10device_ptrIKjEEEESI_EEEEESK_NSA_INS5_IJNSE_INSF_IjEEEESM_EEEEEPS7_SP_SP_NSC_11hip_rocprim7__merge17predicate_wrapperIjjNSC_4lessIjEEEEEE10hipError_tPvRmT0_T1_T2_T3_T4_T5_mmT6_P12ihipStream_tbEUlT_E_NS1_11comp_targetILNS1_3genE2ELNS1_11target_archE906ELNS1_3gpuE6ELNS1_3repE0EEENS1_30default_config_static_selectorELNS0_4arch9wavefront6targetE0EEEvS10_
		.amdhsa_group_segment_fixed_size 0
		.amdhsa_private_segment_fixed_size 0
		.amdhsa_kernarg_size 64
		.amdhsa_user_sgpr_count 6
		.amdhsa_user_sgpr_private_segment_buffer 1
		.amdhsa_user_sgpr_dispatch_ptr 0
		.amdhsa_user_sgpr_queue_ptr 0
		.amdhsa_user_sgpr_kernarg_segment_ptr 1
		.amdhsa_user_sgpr_dispatch_id 0
		.amdhsa_user_sgpr_flat_scratch_init 0
		.amdhsa_user_sgpr_private_segment_size 0
		.amdhsa_wavefront_size32 1
		.amdhsa_uses_dynamic_stack 0
		.amdhsa_system_sgpr_private_segment_wavefront_offset 0
		.amdhsa_system_sgpr_workgroup_id_x 1
		.amdhsa_system_sgpr_workgroup_id_y 0
		.amdhsa_system_sgpr_workgroup_id_z 0
		.amdhsa_system_sgpr_workgroup_info 0
		.amdhsa_system_vgpr_workitem_id 0
		.amdhsa_next_free_vgpr 1
		.amdhsa_next_free_sgpr 1
		.amdhsa_reserve_vcc 0
		.amdhsa_reserve_flat_scratch 0
		.amdhsa_float_round_mode_32 0
		.amdhsa_float_round_mode_16_64 0
		.amdhsa_float_denorm_mode_32 3
		.amdhsa_float_denorm_mode_16_64 3
		.amdhsa_dx10_clamp 1
		.amdhsa_ieee_mode 1
		.amdhsa_fp16_overflow 0
		.amdhsa_workgroup_processor_mode 1
		.amdhsa_memory_ordered 1
		.amdhsa_forward_progress 1
		.amdhsa_shared_vgpr_count 0
		.amdhsa_exception_fp_ieee_invalid_op 0
		.amdhsa_exception_fp_denorm_src 0
		.amdhsa_exception_fp_ieee_div_zero 0
		.amdhsa_exception_fp_ieee_overflow 0
		.amdhsa_exception_fp_ieee_underflow 0
		.amdhsa_exception_fp_ieee_inexact 0
		.amdhsa_exception_int_div_zero 0
	.end_amdhsa_kernel
	.section	.text._ZN7rocprim17ROCPRIM_400000_NS6detail17trampoline_kernelINS0_14default_configENS1_21merge_config_selectorINS0_5tupleIJjjEEENS0_10empty_typeEEEZNS1_10merge_implIS3_NS0_12zip_iteratorINS5_IJN6thrust23THRUST_200600_302600_NS6detail15normal_iteratorINSC_10device_ptrIKjEEEESI_EEEEESK_NSA_INS5_IJNSE_INSF_IjEEEESM_EEEEEPS7_SP_SP_NSC_11hip_rocprim7__merge17predicate_wrapperIjjNSC_4lessIjEEEEEE10hipError_tPvRmT0_T1_T2_T3_T4_T5_mmT6_P12ihipStream_tbEUlT_E_NS1_11comp_targetILNS1_3genE2ELNS1_11target_archE906ELNS1_3gpuE6ELNS1_3repE0EEENS1_30default_config_static_selectorELNS0_4arch9wavefront6targetE0EEEvS10_,"axG",@progbits,_ZN7rocprim17ROCPRIM_400000_NS6detail17trampoline_kernelINS0_14default_configENS1_21merge_config_selectorINS0_5tupleIJjjEEENS0_10empty_typeEEEZNS1_10merge_implIS3_NS0_12zip_iteratorINS5_IJN6thrust23THRUST_200600_302600_NS6detail15normal_iteratorINSC_10device_ptrIKjEEEESI_EEEEESK_NSA_INS5_IJNSE_INSF_IjEEEESM_EEEEEPS7_SP_SP_NSC_11hip_rocprim7__merge17predicate_wrapperIjjNSC_4lessIjEEEEEE10hipError_tPvRmT0_T1_T2_T3_T4_T5_mmT6_P12ihipStream_tbEUlT_E_NS1_11comp_targetILNS1_3genE2ELNS1_11target_archE906ELNS1_3gpuE6ELNS1_3repE0EEENS1_30default_config_static_selectorELNS0_4arch9wavefront6targetE0EEEvS10_,comdat
.Lfunc_end137:
	.size	_ZN7rocprim17ROCPRIM_400000_NS6detail17trampoline_kernelINS0_14default_configENS1_21merge_config_selectorINS0_5tupleIJjjEEENS0_10empty_typeEEEZNS1_10merge_implIS3_NS0_12zip_iteratorINS5_IJN6thrust23THRUST_200600_302600_NS6detail15normal_iteratorINSC_10device_ptrIKjEEEESI_EEEEESK_NSA_INS5_IJNSE_INSF_IjEEEESM_EEEEEPS7_SP_SP_NSC_11hip_rocprim7__merge17predicate_wrapperIjjNSC_4lessIjEEEEEE10hipError_tPvRmT0_T1_T2_T3_T4_T5_mmT6_P12ihipStream_tbEUlT_E_NS1_11comp_targetILNS1_3genE2ELNS1_11target_archE906ELNS1_3gpuE6ELNS1_3repE0EEENS1_30default_config_static_selectorELNS0_4arch9wavefront6targetE0EEEvS10_, .Lfunc_end137-_ZN7rocprim17ROCPRIM_400000_NS6detail17trampoline_kernelINS0_14default_configENS1_21merge_config_selectorINS0_5tupleIJjjEEENS0_10empty_typeEEEZNS1_10merge_implIS3_NS0_12zip_iteratorINS5_IJN6thrust23THRUST_200600_302600_NS6detail15normal_iteratorINSC_10device_ptrIKjEEEESI_EEEEESK_NSA_INS5_IJNSE_INSF_IjEEEESM_EEEEEPS7_SP_SP_NSC_11hip_rocprim7__merge17predicate_wrapperIjjNSC_4lessIjEEEEEE10hipError_tPvRmT0_T1_T2_T3_T4_T5_mmT6_P12ihipStream_tbEUlT_E_NS1_11comp_targetILNS1_3genE2ELNS1_11target_archE906ELNS1_3gpuE6ELNS1_3repE0EEENS1_30default_config_static_selectorELNS0_4arch9wavefront6targetE0EEEvS10_
                                        ; -- End function
	.set _ZN7rocprim17ROCPRIM_400000_NS6detail17trampoline_kernelINS0_14default_configENS1_21merge_config_selectorINS0_5tupleIJjjEEENS0_10empty_typeEEEZNS1_10merge_implIS3_NS0_12zip_iteratorINS5_IJN6thrust23THRUST_200600_302600_NS6detail15normal_iteratorINSC_10device_ptrIKjEEEESI_EEEEESK_NSA_INS5_IJNSE_INSF_IjEEEESM_EEEEEPS7_SP_SP_NSC_11hip_rocprim7__merge17predicate_wrapperIjjNSC_4lessIjEEEEEE10hipError_tPvRmT0_T1_T2_T3_T4_T5_mmT6_P12ihipStream_tbEUlT_E_NS1_11comp_targetILNS1_3genE2ELNS1_11target_archE906ELNS1_3gpuE6ELNS1_3repE0EEENS1_30default_config_static_selectorELNS0_4arch9wavefront6targetE0EEEvS10_.num_vgpr, 0
	.set _ZN7rocprim17ROCPRIM_400000_NS6detail17trampoline_kernelINS0_14default_configENS1_21merge_config_selectorINS0_5tupleIJjjEEENS0_10empty_typeEEEZNS1_10merge_implIS3_NS0_12zip_iteratorINS5_IJN6thrust23THRUST_200600_302600_NS6detail15normal_iteratorINSC_10device_ptrIKjEEEESI_EEEEESK_NSA_INS5_IJNSE_INSF_IjEEEESM_EEEEEPS7_SP_SP_NSC_11hip_rocprim7__merge17predicate_wrapperIjjNSC_4lessIjEEEEEE10hipError_tPvRmT0_T1_T2_T3_T4_T5_mmT6_P12ihipStream_tbEUlT_E_NS1_11comp_targetILNS1_3genE2ELNS1_11target_archE906ELNS1_3gpuE6ELNS1_3repE0EEENS1_30default_config_static_selectorELNS0_4arch9wavefront6targetE0EEEvS10_.num_agpr, 0
	.set _ZN7rocprim17ROCPRIM_400000_NS6detail17trampoline_kernelINS0_14default_configENS1_21merge_config_selectorINS0_5tupleIJjjEEENS0_10empty_typeEEEZNS1_10merge_implIS3_NS0_12zip_iteratorINS5_IJN6thrust23THRUST_200600_302600_NS6detail15normal_iteratorINSC_10device_ptrIKjEEEESI_EEEEESK_NSA_INS5_IJNSE_INSF_IjEEEESM_EEEEEPS7_SP_SP_NSC_11hip_rocprim7__merge17predicate_wrapperIjjNSC_4lessIjEEEEEE10hipError_tPvRmT0_T1_T2_T3_T4_T5_mmT6_P12ihipStream_tbEUlT_E_NS1_11comp_targetILNS1_3genE2ELNS1_11target_archE906ELNS1_3gpuE6ELNS1_3repE0EEENS1_30default_config_static_selectorELNS0_4arch9wavefront6targetE0EEEvS10_.numbered_sgpr, 0
	.set _ZN7rocprim17ROCPRIM_400000_NS6detail17trampoline_kernelINS0_14default_configENS1_21merge_config_selectorINS0_5tupleIJjjEEENS0_10empty_typeEEEZNS1_10merge_implIS3_NS0_12zip_iteratorINS5_IJN6thrust23THRUST_200600_302600_NS6detail15normal_iteratorINSC_10device_ptrIKjEEEESI_EEEEESK_NSA_INS5_IJNSE_INSF_IjEEEESM_EEEEEPS7_SP_SP_NSC_11hip_rocprim7__merge17predicate_wrapperIjjNSC_4lessIjEEEEEE10hipError_tPvRmT0_T1_T2_T3_T4_T5_mmT6_P12ihipStream_tbEUlT_E_NS1_11comp_targetILNS1_3genE2ELNS1_11target_archE906ELNS1_3gpuE6ELNS1_3repE0EEENS1_30default_config_static_selectorELNS0_4arch9wavefront6targetE0EEEvS10_.num_named_barrier, 0
	.set _ZN7rocprim17ROCPRIM_400000_NS6detail17trampoline_kernelINS0_14default_configENS1_21merge_config_selectorINS0_5tupleIJjjEEENS0_10empty_typeEEEZNS1_10merge_implIS3_NS0_12zip_iteratorINS5_IJN6thrust23THRUST_200600_302600_NS6detail15normal_iteratorINSC_10device_ptrIKjEEEESI_EEEEESK_NSA_INS5_IJNSE_INSF_IjEEEESM_EEEEEPS7_SP_SP_NSC_11hip_rocprim7__merge17predicate_wrapperIjjNSC_4lessIjEEEEEE10hipError_tPvRmT0_T1_T2_T3_T4_T5_mmT6_P12ihipStream_tbEUlT_E_NS1_11comp_targetILNS1_3genE2ELNS1_11target_archE906ELNS1_3gpuE6ELNS1_3repE0EEENS1_30default_config_static_selectorELNS0_4arch9wavefront6targetE0EEEvS10_.private_seg_size, 0
	.set _ZN7rocprim17ROCPRIM_400000_NS6detail17trampoline_kernelINS0_14default_configENS1_21merge_config_selectorINS0_5tupleIJjjEEENS0_10empty_typeEEEZNS1_10merge_implIS3_NS0_12zip_iteratorINS5_IJN6thrust23THRUST_200600_302600_NS6detail15normal_iteratorINSC_10device_ptrIKjEEEESI_EEEEESK_NSA_INS5_IJNSE_INSF_IjEEEESM_EEEEEPS7_SP_SP_NSC_11hip_rocprim7__merge17predicate_wrapperIjjNSC_4lessIjEEEEEE10hipError_tPvRmT0_T1_T2_T3_T4_T5_mmT6_P12ihipStream_tbEUlT_E_NS1_11comp_targetILNS1_3genE2ELNS1_11target_archE906ELNS1_3gpuE6ELNS1_3repE0EEENS1_30default_config_static_selectorELNS0_4arch9wavefront6targetE0EEEvS10_.uses_vcc, 0
	.set _ZN7rocprim17ROCPRIM_400000_NS6detail17trampoline_kernelINS0_14default_configENS1_21merge_config_selectorINS0_5tupleIJjjEEENS0_10empty_typeEEEZNS1_10merge_implIS3_NS0_12zip_iteratorINS5_IJN6thrust23THRUST_200600_302600_NS6detail15normal_iteratorINSC_10device_ptrIKjEEEESI_EEEEESK_NSA_INS5_IJNSE_INSF_IjEEEESM_EEEEEPS7_SP_SP_NSC_11hip_rocprim7__merge17predicate_wrapperIjjNSC_4lessIjEEEEEE10hipError_tPvRmT0_T1_T2_T3_T4_T5_mmT6_P12ihipStream_tbEUlT_E_NS1_11comp_targetILNS1_3genE2ELNS1_11target_archE906ELNS1_3gpuE6ELNS1_3repE0EEENS1_30default_config_static_selectorELNS0_4arch9wavefront6targetE0EEEvS10_.uses_flat_scratch, 0
	.set _ZN7rocprim17ROCPRIM_400000_NS6detail17trampoline_kernelINS0_14default_configENS1_21merge_config_selectorINS0_5tupleIJjjEEENS0_10empty_typeEEEZNS1_10merge_implIS3_NS0_12zip_iteratorINS5_IJN6thrust23THRUST_200600_302600_NS6detail15normal_iteratorINSC_10device_ptrIKjEEEESI_EEEEESK_NSA_INS5_IJNSE_INSF_IjEEEESM_EEEEEPS7_SP_SP_NSC_11hip_rocprim7__merge17predicate_wrapperIjjNSC_4lessIjEEEEEE10hipError_tPvRmT0_T1_T2_T3_T4_T5_mmT6_P12ihipStream_tbEUlT_E_NS1_11comp_targetILNS1_3genE2ELNS1_11target_archE906ELNS1_3gpuE6ELNS1_3repE0EEENS1_30default_config_static_selectorELNS0_4arch9wavefront6targetE0EEEvS10_.has_dyn_sized_stack, 0
	.set _ZN7rocprim17ROCPRIM_400000_NS6detail17trampoline_kernelINS0_14default_configENS1_21merge_config_selectorINS0_5tupleIJjjEEENS0_10empty_typeEEEZNS1_10merge_implIS3_NS0_12zip_iteratorINS5_IJN6thrust23THRUST_200600_302600_NS6detail15normal_iteratorINSC_10device_ptrIKjEEEESI_EEEEESK_NSA_INS5_IJNSE_INSF_IjEEEESM_EEEEEPS7_SP_SP_NSC_11hip_rocprim7__merge17predicate_wrapperIjjNSC_4lessIjEEEEEE10hipError_tPvRmT0_T1_T2_T3_T4_T5_mmT6_P12ihipStream_tbEUlT_E_NS1_11comp_targetILNS1_3genE2ELNS1_11target_archE906ELNS1_3gpuE6ELNS1_3repE0EEENS1_30default_config_static_selectorELNS0_4arch9wavefront6targetE0EEEvS10_.has_recursion, 0
	.set _ZN7rocprim17ROCPRIM_400000_NS6detail17trampoline_kernelINS0_14default_configENS1_21merge_config_selectorINS0_5tupleIJjjEEENS0_10empty_typeEEEZNS1_10merge_implIS3_NS0_12zip_iteratorINS5_IJN6thrust23THRUST_200600_302600_NS6detail15normal_iteratorINSC_10device_ptrIKjEEEESI_EEEEESK_NSA_INS5_IJNSE_INSF_IjEEEESM_EEEEEPS7_SP_SP_NSC_11hip_rocprim7__merge17predicate_wrapperIjjNSC_4lessIjEEEEEE10hipError_tPvRmT0_T1_T2_T3_T4_T5_mmT6_P12ihipStream_tbEUlT_E_NS1_11comp_targetILNS1_3genE2ELNS1_11target_archE906ELNS1_3gpuE6ELNS1_3repE0EEENS1_30default_config_static_selectorELNS0_4arch9wavefront6targetE0EEEvS10_.has_indirect_call, 0
	.section	.AMDGPU.csdata,"",@progbits
; Kernel info:
; codeLenInByte = 0
; TotalNumSgprs: 0
; NumVgprs: 0
; ScratchSize: 0
; MemoryBound: 0
; FloatMode: 240
; IeeeMode: 1
; LDSByteSize: 0 bytes/workgroup (compile time only)
; SGPRBlocks: 0
; VGPRBlocks: 0
; NumSGPRsForWavesPerEU: 1
; NumVGPRsForWavesPerEU: 1
; Occupancy: 16
; WaveLimiterHint : 0
; COMPUTE_PGM_RSRC2:SCRATCH_EN: 0
; COMPUTE_PGM_RSRC2:USER_SGPR: 6
; COMPUTE_PGM_RSRC2:TRAP_HANDLER: 0
; COMPUTE_PGM_RSRC2:TGID_X_EN: 1
; COMPUTE_PGM_RSRC2:TGID_Y_EN: 0
; COMPUTE_PGM_RSRC2:TGID_Z_EN: 0
; COMPUTE_PGM_RSRC2:TIDIG_COMP_CNT: 0
	.section	.text._ZN7rocprim17ROCPRIM_400000_NS6detail17trampoline_kernelINS0_14default_configENS1_21merge_config_selectorINS0_5tupleIJjjEEENS0_10empty_typeEEEZNS1_10merge_implIS3_NS0_12zip_iteratorINS5_IJN6thrust23THRUST_200600_302600_NS6detail15normal_iteratorINSC_10device_ptrIKjEEEESI_EEEEESK_NSA_INS5_IJNSE_INSF_IjEEEESM_EEEEEPS7_SP_SP_NSC_11hip_rocprim7__merge17predicate_wrapperIjjNSC_4lessIjEEEEEE10hipError_tPvRmT0_T1_T2_T3_T4_T5_mmT6_P12ihipStream_tbEUlT_E_NS1_11comp_targetILNS1_3genE10ELNS1_11target_archE1201ELNS1_3gpuE5ELNS1_3repE0EEENS1_30default_config_static_selectorELNS0_4arch9wavefront6targetE0EEEvS10_,"axG",@progbits,_ZN7rocprim17ROCPRIM_400000_NS6detail17trampoline_kernelINS0_14default_configENS1_21merge_config_selectorINS0_5tupleIJjjEEENS0_10empty_typeEEEZNS1_10merge_implIS3_NS0_12zip_iteratorINS5_IJN6thrust23THRUST_200600_302600_NS6detail15normal_iteratorINSC_10device_ptrIKjEEEESI_EEEEESK_NSA_INS5_IJNSE_INSF_IjEEEESM_EEEEEPS7_SP_SP_NSC_11hip_rocprim7__merge17predicate_wrapperIjjNSC_4lessIjEEEEEE10hipError_tPvRmT0_T1_T2_T3_T4_T5_mmT6_P12ihipStream_tbEUlT_E_NS1_11comp_targetILNS1_3genE10ELNS1_11target_archE1201ELNS1_3gpuE5ELNS1_3repE0EEENS1_30default_config_static_selectorELNS0_4arch9wavefront6targetE0EEEvS10_,comdat
	.protected	_ZN7rocprim17ROCPRIM_400000_NS6detail17trampoline_kernelINS0_14default_configENS1_21merge_config_selectorINS0_5tupleIJjjEEENS0_10empty_typeEEEZNS1_10merge_implIS3_NS0_12zip_iteratorINS5_IJN6thrust23THRUST_200600_302600_NS6detail15normal_iteratorINSC_10device_ptrIKjEEEESI_EEEEESK_NSA_INS5_IJNSE_INSF_IjEEEESM_EEEEEPS7_SP_SP_NSC_11hip_rocprim7__merge17predicate_wrapperIjjNSC_4lessIjEEEEEE10hipError_tPvRmT0_T1_T2_T3_T4_T5_mmT6_P12ihipStream_tbEUlT_E_NS1_11comp_targetILNS1_3genE10ELNS1_11target_archE1201ELNS1_3gpuE5ELNS1_3repE0EEENS1_30default_config_static_selectorELNS0_4arch9wavefront6targetE0EEEvS10_ ; -- Begin function _ZN7rocprim17ROCPRIM_400000_NS6detail17trampoline_kernelINS0_14default_configENS1_21merge_config_selectorINS0_5tupleIJjjEEENS0_10empty_typeEEEZNS1_10merge_implIS3_NS0_12zip_iteratorINS5_IJN6thrust23THRUST_200600_302600_NS6detail15normal_iteratorINSC_10device_ptrIKjEEEESI_EEEEESK_NSA_INS5_IJNSE_INSF_IjEEEESM_EEEEEPS7_SP_SP_NSC_11hip_rocprim7__merge17predicate_wrapperIjjNSC_4lessIjEEEEEE10hipError_tPvRmT0_T1_T2_T3_T4_T5_mmT6_P12ihipStream_tbEUlT_E_NS1_11comp_targetILNS1_3genE10ELNS1_11target_archE1201ELNS1_3gpuE5ELNS1_3repE0EEENS1_30default_config_static_selectorELNS0_4arch9wavefront6targetE0EEEvS10_
	.globl	_ZN7rocprim17ROCPRIM_400000_NS6detail17trampoline_kernelINS0_14default_configENS1_21merge_config_selectorINS0_5tupleIJjjEEENS0_10empty_typeEEEZNS1_10merge_implIS3_NS0_12zip_iteratorINS5_IJN6thrust23THRUST_200600_302600_NS6detail15normal_iteratorINSC_10device_ptrIKjEEEESI_EEEEESK_NSA_INS5_IJNSE_INSF_IjEEEESM_EEEEEPS7_SP_SP_NSC_11hip_rocprim7__merge17predicate_wrapperIjjNSC_4lessIjEEEEEE10hipError_tPvRmT0_T1_T2_T3_T4_T5_mmT6_P12ihipStream_tbEUlT_E_NS1_11comp_targetILNS1_3genE10ELNS1_11target_archE1201ELNS1_3gpuE5ELNS1_3repE0EEENS1_30default_config_static_selectorELNS0_4arch9wavefront6targetE0EEEvS10_
	.p2align	8
	.type	_ZN7rocprim17ROCPRIM_400000_NS6detail17trampoline_kernelINS0_14default_configENS1_21merge_config_selectorINS0_5tupleIJjjEEENS0_10empty_typeEEEZNS1_10merge_implIS3_NS0_12zip_iteratorINS5_IJN6thrust23THRUST_200600_302600_NS6detail15normal_iteratorINSC_10device_ptrIKjEEEESI_EEEEESK_NSA_INS5_IJNSE_INSF_IjEEEESM_EEEEEPS7_SP_SP_NSC_11hip_rocprim7__merge17predicate_wrapperIjjNSC_4lessIjEEEEEE10hipError_tPvRmT0_T1_T2_T3_T4_T5_mmT6_P12ihipStream_tbEUlT_E_NS1_11comp_targetILNS1_3genE10ELNS1_11target_archE1201ELNS1_3gpuE5ELNS1_3repE0EEENS1_30default_config_static_selectorELNS0_4arch9wavefront6targetE0EEEvS10_,@function
_ZN7rocprim17ROCPRIM_400000_NS6detail17trampoline_kernelINS0_14default_configENS1_21merge_config_selectorINS0_5tupleIJjjEEENS0_10empty_typeEEEZNS1_10merge_implIS3_NS0_12zip_iteratorINS5_IJN6thrust23THRUST_200600_302600_NS6detail15normal_iteratorINSC_10device_ptrIKjEEEESI_EEEEESK_NSA_INS5_IJNSE_INSF_IjEEEESM_EEEEEPS7_SP_SP_NSC_11hip_rocprim7__merge17predicate_wrapperIjjNSC_4lessIjEEEEEE10hipError_tPvRmT0_T1_T2_T3_T4_T5_mmT6_P12ihipStream_tbEUlT_E_NS1_11comp_targetILNS1_3genE10ELNS1_11target_archE1201ELNS1_3gpuE5ELNS1_3repE0EEENS1_30default_config_static_selectorELNS0_4arch9wavefront6targetE0EEEvS10_: ; @_ZN7rocprim17ROCPRIM_400000_NS6detail17trampoline_kernelINS0_14default_configENS1_21merge_config_selectorINS0_5tupleIJjjEEENS0_10empty_typeEEEZNS1_10merge_implIS3_NS0_12zip_iteratorINS5_IJN6thrust23THRUST_200600_302600_NS6detail15normal_iteratorINSC_10device_ptrIKjEEEESI_EEEEESK_NSA_INS5_IJNSE_INSF_IjEEEESM_EEEEEPS7_SP_SP_NSC_11hip_rocprim7__merge17predicate_wrapperIjjNSC_4lessIjEEEEEE10hipError_tPvRmT0_T1_T2_T3_T4_T5_mmT6_P12ihipStream_tbEUlT_E_NS1_11comp_targetILNS1_3genE10ELNS1_11target_archE1201ELNS1_3gpuE5ELNS1_3repE0EEENS1_30default_config_static_selectorELNS0_4arch9wavefront6targetE0EEEvS10_
; %bb.0:
	.section	.rodata,"a",@progbits
	.p2align	6, 0x0
	.amdhsa_kernel _ZN7rocprim17ROCPRIM_400000_NS6detail17trampoline_kernelINS0_14default_configENS1_21merge_config_selectorINS0_5tupleIJjjEEENS0_10empty_typeEEEZNS1_10merge_implIS3_NS0_12zip_iteratorINS5_IJN6thrust23THRUST_200600_302600_NS6detail15normal_iteratorINSC_10device_ptrIKjEEEESI_EEEEESK_NSA_INS5_IJNSE_INSF_IjEEEESM_EEEEEPS7_SP_SP_NSC_11hip_rocprim7__merge17predicate_wrapperIjjNSC_4lessIjEEEEEE10hipError_tPvRmT0_T1_T2_T3_T4_T5_mmT6_P12ihipStream_tbEUlT_E_NS1_11comp_targetILNS1_3genE10ELNS1_11target_archE1201ELNS1_3gpuE5ELNS1_3repE0EEENS1_30default_config_static_selectorELNS0_4arch9wavefront6targetE0EEEvS10_
		.amdhsa_group_segment_fixed_size 0
		.amdhsa_private_segment_fixed_size 0
		.amdhsa_kernarg_size 64
		.amdhsa_user_sgpr_count 6
		.amdhsa_user_sgpr_private_segment_buffer 1
		.amdhsa_user_sgpr_dispatch_ptr 0
		.amdhsa_user_sgpr_queue_ptr 0
		.amdhsa_user_sgpr_kernarg_segment_ptr 1
		.amdhsa_user_sgpr_dispatch_id 0
		.amdhsa_user_sgpr_flat_scratch_init 0
		.amdhsa_user_sgpr_private_segment_size 0
		.amdhsa_wavefront_size32 1
		.amdhsa_uses_dynamic_stack 0
		.amdhsa_system_sgpr_private_segment_wavefront_offset 0
		.amdhsa_system_sgpr_workgroup_id_x 1
		.amdhsa_system_sgpr_workgroup_id_y 0
		.amdhsa_system_sgpr_workgroup_id_z 0
		.amdhsa_system_sgpr_workgroup_info 0
		.amdhsa_system_vgpr_workitem_id 0
		.amdhsa_next_free_vgpr 1
		.amdhsa_next_free_sgpr 1
		.amdhsa_reserve_vcc 0
		.amdhsa_reserve_flat_scratch 0
		.amdhsa_float_round_mode_32 0
		.amdhsa_float_round_mode_16_64 0
		.amdhsa_float_denorm_mode_32 3
		.amdhsa_float_denorm_mode_16_64 3
		.amdhsa_dx10_clamp 1
		.amdhsa_ieee_mode 1
		.amdhsa_fp16_overflow 0
		.amdhsa_workgroup_processor_mode 1
		.amdhsa_memory_ordered 1
		.amdhsa_forward_progress 1
		.amdhsa_shared_vgpr_count 0
		.amdhsa_exception_fp_ieee_invalid_op 0
		.amdhsa_exception_fp_denorm_src 0
		.amdhsa_exception_fp_ieee_div_zero 0
		.amdhsa_exception_fp_ieee_overflow 0
		.amdhsa_exception_fp_ieee_underflow 0
		.amdhsa_exception_fp_ieee_inexact 0
		.amdhsa_exception_int_div_zero 0
	.end_amdhsa_kernel
	.section	.text._ZN7rocprim17ROCPRIM_400000_NS6detail17trampoline_kernelINS0_14default_configENS1_21merge_config_selectorINS0_5tupleIJjjEEENS0_10empty_typeEEEZNS1_10merge_implIS3_NS0_12zip_iteratorINS5_IJN6thrust23THRUST_200600_302600_NS6detail15normal_iteratorINSC_10device_ptrIKjEEEESI_EEEEESK_NSA_INS5_IJNSE_INSF_IjEEEESM_EEEEEPS7_SP_SP_NSC_11hip_rocprim7__merge17predicate_wrapperIjjNSC_4lessIjEEEEEE10hipError_tPvRmT0_T1_T2_T3_T4_T5_mmT6_P12ihipStream_tbEUlT_E_NS1_11comp_targetILNS1_3genE10ELNS1_11target_archE1201ELNS1_3gpuE5ELNS1_3repE0EEENS1_30default_config_static_selectorELNS0_4arch9wavefront6targetE0EEEvS10_,"axG",@progbits,_ZN7rocprim17ROCPRIM_400000_NS6detail17trampoline_kernelINS0_14default_configENS1_21merge_config_selectorINS0_5tupleIJjjEEENS0_10empty_typeEEEZNS1_10merge_implIS3_NS0_12zip_iteratorINS5_IJN6thrust23THRUST_200600_302600_NS6detail15normal_iteratorINSC_10device_ptrIKjEEEESI_EEEEESK_NSA_INS5_IJNSE_INSF_IjEEEESM_EEEEEPS7_SP_SP_NSC_11hip_rocprim7__merge17predicate_wrapperIjjNSC_4lessIjEEEEEE10hipError_tPvRmT0_T1_T2_T3_T4_T5_mmT6_P12ihipStream_tbEUlT_E_NS1_11comp_targetILNS1_3genE10ELNS1_11target_archE1201ELNS1_3gpuE5ELNS1_3repE0EEENS1_30default_config_static_selectorELNS0_4arch9wavefront6targetE0EEEvS10_,comdat
.Lfunc_end138:
	.size	_ZN7rocprim17ROCPRIM_400000_NS6detail17trampoline_kernelINS0_14default_configENS1_21merge_config_selectorINS0_5tupleIJjjEEENS0_10empty_typeEEEZNS1_10merge_implIS3_NS0_12zip_iteratorINS5_IJN6thrust23THRUST_200600_302600_NS6detail15normal_iteratorINSC_10device_ptrIKjEEEESI_EEEEESK_NSA_INS5_IJNSE_INSF_IjEEEESM_EEEEEPS7_SP_SP_NSC_11hip_rocprim7__merge17predicate_wrapperIjjNSC_4lessIjEEEEEE10hipError_tPvRmT0_T1_T2_T3_T4_T5_mmT6_P12ihipStream_tbEUlT_E_NS1_11comp_targetILNS1_3genE10ELNS1_11target_archE1201ELNS1_3gpuE5ELNS1_3repE0EEENS1_30default_config_static_selectorELNS0_4arch9wavefront6targetE0EEEvS10_, .Lfunc_end138-_ZN7rocprim17ROCPRIM_400000_NS6detail17trampoline_kernelINS0_14default_configENS1_21merge_config_selectorINS0_5tupleIJjjEEENS0_10empty_typeEEEZNS1_10merge_implIS3_NS0_12zip_iteratorINS5_IJN6thrust23THRUST_200600_302600_NS6detail15normal_iteratorINSC_10device_ptrIKjEEEESI_EEEEESK_NSA_INS5_IJNSE_INSF_IjEEEESM_EEEEEPS7_SP_SP_NSC_11hip_rocprim7__merge17predicate_wrapperIjjNSC_4lessIjEEEEEE10hipError_tPvRmT0_T1_T2_T3_T4_T5_mmT6_P12ihipStream_tbEUlT_E_NS1_11comp_targetILNS1_3genE10ELNS1_11target_archE1201ELNS1_3gpuE5ELNS1_3repE0EEENS1_30default_config_static_selectorELNS0_4arch9wavefront6targetE0EEEvS10_
                                        ; -- End function
	.set _ZN7rocprim17ROCPRIM_400000_NS6detail17trampoline_kernelINS0_14default_configENS1_21merge_config_selectorINS0_5tupleIJjjEEENS0_10empty_typeEEEZNS1_10merge_implIS3_NS0_12zip_iteratorINS5_IJN6thrust23THRUST_200600_302600_NS6detail15normal_iteratorINSC_10device_ptrIKjEEEESI_EEEEESK_NSA_INS5_IJNSE_INSF_IjEEEESM_EEEEEPS7_SP_SP_NSC_11hip_rocprim7__merge17predicate_wrapperIjjNSC_4lessIjEEEEEE10hipError_tPvRmT0_T1_T2_T3_T4_T5_mmT6_P12ihipStream_tbEUlT_E_NS1_11comp_targetILNS1_3genE10ELNS1_11target_archE1201ELNS1_3gpuE5ELNS1_3repE0EEENS1_30default_config_static_selectorELNS0_4arch9wavefront6targetE0EEEvS10_.num_vgpr, 0
	.set _ZN7rocprim17ROCPRIM_400000_NS6detail17trampoline_kernelINS0_14default_configENS1_21merge_config_selectorINS0_5tupleIJjjEEENS0_10empty_typeEEEZNS1_10merge_implIS3_NS0_12zip_iteratorINS5_IJN6thrust23THRUST_200600_302600_NS6detail15normal_iteratorINSC_10device_ptrIKjEEEESI_EEEEESK_NSA_INS5_IJNSE_INSF_IjEEEESM_EEEEEPS7_SP_SP_NSC_11hip_rocprim7__merge17predicate_wrapperIjjNSC_4lessIjEEEEEE10hipError_tPvRmT0_T1_T2_T3_T4_T5_mmT6_P12ihipStream_tbEUlT_E_NS1_11comp_targetILNS1_3genE10ELNS1_11target_archE1201ELNS1_3gpuE5ELNS1_3repE0EEENS1_30default_config_static_selectorELNS0_4arch9wavefront6targetE0EEEvS10_.num_agpr, 0
	.set _ZN7rocprim17ROCPRIM_400000_NS6detail17trampoline_kernelINS0_14default_configENS1_21merge_config_selectorINS0_5tupleIJjjEEENS0_10empty_typeEEEZNS1_10merge_implIS3_NS0_12zip_iteratorINS5_IJN6thrust23THRUST_200600_302600_NS6detail15normal_iteratorINSC_10device_ptrIKjEEEESI_EEEEESK_NSA_INS5_IJNSE_INSF_IjEEEESM_EEEEEPS7_SP_SP_NSC_11hip_rocprim7__merge17predicate_wrapperIjjNSC_4lessIjEEEEEE10hipError_tPvRmT0_T1_T2_T3_T4_T5_mmT6_P12ihipStream_tbEUlT_E_NS1_11comp_targetILNS1_3genE10ELNS1_11target_archE1201ELNS1_3gpuE5ELNS1_3repE0EEENS1_30default_config_static_selectorELNS0_4arch9wavefront6targetE0EEEvS10_.numbered_sgpr, 0
	.set _ZN7rocprim17ROCPRIM_400000_NS6detail17trampoline_kernelINS0_14default_configENS1_21merge_config_selectorINS0_5tupleIJjjEEENS0_10empty_typeEEEZNS1_10merge_implIS3_NS0_12zip_iteratorINS5_IJN6thrust23THRUST_200600_302600_NS6detail15normal_iteratorINSC_10device_ptrIKjEEEESI_EEEEESK_NSA_INS5_IJNSE_INSF_IjEEEESM_EEEEEPS7_SP_SP_NSC_11hip_rocprim7__merge17predicate_wrapperIjjNSC_4lessIjEEEEEE10hipError_tPvRmT0_T1_T2_T3_T4_T5_mmT6_P12ihipStream_tbEUlT_E_NS1_11comp_targetILNS1_3genE10ELNS1_11target_archE1201ELNS1_3gpuE5ELNS1_3repE0EEENS1_30default_config_static_selectorELNS0_4arch9wavefront6targetE0EEEvS10_.num_named_barrier, 0
	.set _ZN7rocprim17ROCPRIM_400000_NS6detail17trampoline_kernelINS0_14default_configENS1_21merge_config_selectorINS0_5tupleIJjjEEENS0_10empty_typeEEEZNS1_10merge_implIS3_NS0_12zip_iteratorINS5_IJN6thrust23THRUST_200600_302600_NS6detail15normal_iteratorINSC_10device_ptrIKjEEEESI_EEEEESK_NSA_INS5_IJNSE_INSF_IjEEEESM_EEEEEPS7_SP_SP_NSC_11hip_rocprim7__merge17predicate_wrapperIjjNSC_4lessIjEEEEEE10hipError_tPvRmT0_T1_T2_T3_T4_T5_mmT6_P12ihipStream_tbEUlT_E_NS1_11comp_targetILNS1_3genE10ELNS1_11target_archE1201ELNS1_3gpuE5ELNS1_3repE0EEENS1_30default_config_static_selectorELNS0_4arch9wavefront6targetE0EEEvS10_.private_seg_size, 0
	.set _ZN7rocprim17ROCPRIM_400000_NS6detail17trampoline_kernelINS0_14default_configENS1_21merge_config_selectorINS0_5tupleIJjjEEENS0_10empty_typeEEEZNS1_10merge_implIS3_NS0_12zip_iteratorINS5_IJN6thrust23THRUST_200600_302600_NS6detail15normal_iteratorINSC_10device_ptrIKjEEEESI_EEEEESK_NSA_INS5_IJNSE_INSF_IjEEEESM_EEEEEPS7_SP_SP_NSC_11hip_rocprim7__merge17predicate_wrapperIjjNSC_4lessIjEEEEEE10hipError_tPvRmT0_T1_T2_T3_T4_T5_mmT6_P12ihipStream_tbEUlT_E_NS1_11comp_targetILNS1_3genE10ELNS1_11target_archE1201ELNS1_3gpuE5ELNS1_3repE0EEENS1_30default_config_static_selectorELNS0_4arch9wavefront6targetE0EEEvS10_.uses_vcc, 0
	.set _ZN7rocprim17ROCPRIM_400000_NS6detail17trampoline_kernelINS0_14default_configENS1_21merge_config_selectorINS0_5tupleIJjjEEENS0_10empty_typeEEEZNS1_10merge_implIS3_NS0_12zip_iteratorINS5_IJN6thrust23THRUST_200600_302600_NS6detail15normal_iteratorINSC_10device_ptrIKjEEEESI_EEEEESK_NSA_INS5_IJNSE_INSF_IjEEEESM_EEEEEPS7_SP_SP_NSC_11hip_rocprim7__merge17predicate_wrapperIjjNSC_4lessIjEEEEEE10hipError_tPvRmT0_T1_T2_T3_T4_T5_mmT6_P12ihipStream_tbEUlT_E_NS1_11comp_targetILNS1_3genE10ELNS1_11target_archE1201ELNS1_3gpuE5ELNS1_3repE0EEENS1_30default_config_static_selectorELNS0_4arch9wavefront6targetE0EEEvS10_.uses_flat_scratch, 0
	.set _ZN7rocprim17ROCPRIM_400000_NS6detail17trampoline_kernelINS0_14default_configENS1_21merge_config_selectorINS0_5tupleIJjjEEENS0_10empty_typeEEEZNS1_10merge_implIS3_NS0_12zip_iteratorINS5_IJN6thrust23THRUST_200600_302600_NS6detail15normal_iteratorINSC_10device_ptrIKjEEEESI_EEEEESK_NSA_INS5_IJNSE_INSF_IjEEEESM_EEEEEPS7_SP_SP_NSC_11hip_rocprim7__merge17predicate_wrapperIjjNSC_4lessIjEEEEEE10hipError_tPvRmT0_T1_T2_T3_T4_T5_mmT6_P12ihipStream_tbEUlT_E_NS1_11comp_targetILNS1_3genE10ELNS1_11target_archE1201ELNS1_3gpuE5ELNS1_3repE0EEENS1_30default_config_static_selectorELNS0_4arch9wavefront6targetE0EEEvS10_.has_dyn_sized_stack, 0
	.set _ZN7rocprim17ROCPRIM_400000_NS6detail17trampoline_kernelINS0_14default_configENS1_21merge_config_selectorINS0_5tupleIJjjEEENS0_10empty_typeEEEZNS1_10merge_implIS3_NS0_12zip_iteratorINS5_IJN6thrust23THRUST_200600_302600_NS6detail15normal_iteratorINSC_10device_ptrIKjEEEESI_EEEEESK_NSA_INS5_IJNSE_INSF_IjEEEESM_EEEEEPS7_SP_SP_NSC_11hip_rocprim7__merge17predicate_wrapperIjjNSC_4lessIjEEEEEE10hipError_tPvRmT0_T1_T2_T3_T4_T5_mmT6_P12ihipStream_tbEUlT_E_NS1_11comp_targetILNS1_3genE10ELNS1_11target_archE1201ELNS1_3gpuE5ELNS1_3repE0EEENS1_30default_config_static_selectorELNS0_4arch9wavefront6targetE0EEEvS10_.has_recursion, 0
	.set _ZN7rocprim17ROCPRIM_400000_NS6detail17trampoline_kernelINS0_14default_configENS1_21merge_config_selectorINS0_5tupleIJjjEEENS0_10empty_typeEEEZNS1_10merge_implIS3_NS0_12zip_iteratorINS5_IJN6thrust23THRUST_200600_302600_NS6detail15normal_iteratorINSC_10device_ptrIKjEEEESI_EEEEESK_NSA_INS5_IJNSE_INSF_IjEEEESM_EEEEEPS7_SP_SP_NSC_11hip_rocprim7__merge17predicate_wrapperIjjNSC_4lessIjEEEEEE10hipError_tPvRmT0_T1_T2_T3_T4_T5_mmT6_P12ihipStream_tbEUlT_E_NS1_11comp_targetILNS1_3genE10ELNS1_11target_archE1201ELNS1_3gpuE5ELNS1_3repE0EEENS1_30default_config_static_selectorELNS0_4arch9wavefront6targetE0EEEvS10_.has_indirect_call, 0
	.section	.AMDGPU.csdata,"",@progbits
; Kernel info:
; codeLenInByte = 0
; TotalNumSgprs: 0
; NumVgprs: 0
; ScratchSize: 0
; MemoryBound: 0
; FloatMode: 240
; IeeeMode: 1
; LDSByteSize: 0 bytes/workgroup (compile time only)
; SGPRBlocks: 0
; VGPRBlocks: 0
; NumSGPRsForWavesPerEU: 1
; NumVGPRsForWavesPerEU: 1
; Occupancy: 16
; WaveLimiterHint : 0
; COMPUTE_PGM_RSRC2:SCRATCH_EN: 0
; COMPUTE_PGM_RSRC2:USER_SGPR: 6
; COMPUTE_PGM_RSRC2:TRAP_HANDLER: 0
; COMPUTE_PGM_RSRC2:TGID_X_EN: 1
; COMPUTE_PGM_RSRC2:TGID_Y_EN: 0
; COMPUTE_PGM_RSRC2:TGID_Z_EN: 0
; COMPUTE_PGM_RSRC2:TIDIG_COMP_CNT: 0
	.section	.text._ZN7rocprim17ROCPRIM_400000_NS6detail17trampoline_kernelINS0_14default_configENS1_21merge_config_selectorINS0_5tupleIJjjEEENS0_10empty_typeEEEZNS1_10merge_implIS3_NS0_12zip_iteratorINS5_IJN6thrust23THRUST_200600_302600_NS6detail15normal_iteratorINSC_10device_ptrIKjEEEESI_EEEEESK_NSA_INS5_IJNSE_INSF_IjEEEESM_EEEEEPS7_SP_SP_NSC_11hip_rocprim7__merge17predicate_wrapperIjjNSC_4lessIjEEEEEE10hipError_tPvRmT0_T1_T2_T3_T4_T5_mmT6_P12ihipStream_tbEUlT_E_NS1_11comp_targetILNS1_3genE10ELNS1_11target_archE1200ELNS1_3gpuE4ELNS1_3repE0EEENS1_30default_config_static_selectorELNS0_4arch9wavefront6targetE0EEEvS10_,"axG",@progbits,_ZN7rocprim17ROCPRIM_400000_NS6detail17trampoline_kernelINS0_14default_configENS1_21merge_config_selectorINS0_5tupleIJjjEEENS0_10empty_typeEEEZNS1_10merge_implIS3_NS0_12zip_iteratorINS5_IJN6thrust23THRUST_200600_302600_NS6detail15normal_iteratorINSC_10device_ptrIKjEEEESI_EEEEESK_NSA_INS5_IJNSE_INSF_IjEEEESM_EEEEEPS7_SP_SP_NSC_11hip_rocprim7__merge17predicate_wrapperIjjNSC_4lessIjEEEEEE10hipError_tPvRmT0_T1_T2_T3_T4_T5_mmT6_P12ihipStream_tbEUlT_E_NS1_11comp_targetILNS1_3genE10ELNS1_11target_archE1200ELNS1_3gpuE4ELNS1_3repE0EEENS1_30default_config_static_selectorELNS0_4arch9wavefront6targetE0EEEvS10_,comdat
	.protected	_ZN7rocprim17ROCPRIM_400000_NS6detail17trampoline_kernelINS0_14default_configENS1_21merge_config_selectorINS0_5tupleIJjjEEENS0_10empty_typeEEEZNS1_10merge_implIS3_NS0_12zip_iteratorINS5_IJN6thrust23THRUST_200600_302600_NS6detail15normal_iteratorINSC_10device_ptrIKjEEEESI_EEEEESK_NSA_INS5_IJNSE_INSF_IjEEEESM_EEEEEPS7_SP_SP_NSC_11hip_rocprim7__merge17predicate_wrapperIjjNSC_4lessIjEEEEEE10hipError_tPvRmT0_T1_T2_T3_T4_T5_mmT6_P12ihipStream_tbEUlT_E_NS1_11comp_targetILNS1_3genE10ELNS1_11target_archE1200ELNS1_3gpuE4ELNS1_3repE0EEENS1_30default_config_static_selectorELNS0_4arch9wavefront6targetE0EEEvS10_ ; -- Begin function _ZN7rocprim17ROCPRIM_400000_NS6detail17trampoline_kernelINS0_14default_configENS1_21merge_config_selectorINS0_5tupleIJjjEEENS0_10empty_typeEEEZNS1_10merge_implIS3_NS0_12zip_iteratorINS5_IJN6thrust23THRUST_200600_302600_NS6detail15normal_iteratorINSC_10device_ptrIKjEEEESI_EEEEESK_NSA_INS5_IJNSE_INSF_IjEEEESM_EEEEEPS7_SP_SP_NSC_11hip_rocprim7__merge17predicate_wrapperIjjNSC_4lessIjEEEEEE10hipError_tPvRmT0_T1_T2_T3_T4_T5_mmT6_P12ihipStream_tbEUlT_E_NS1_11comp_targetILNS1_3genE10ELNS1_11target_archE1200ELNS1_3gpuE4ELNS1_3repE0EEENS1_30default_config_static_selectorELNS0_4arch9wavefront6targetE0EEEvS10_
	.globl	_ZN7rocprim17ROCPRIM_400000_NS6detail17trampoline_kernelINS0_14default_configENS1_21merge_config_selectorINS0_5tupleIJjjEEENS0_10empty_typeEEEZNS1_10merge_implIS3_NS0_12zip_iteratorINS5_IJN6thrust23THRUST_200600_302600_NS6detail15normal_iteratorINSC_10device_ptrIKjEEEESI_EEEEESK_NSA_INS5_IJNSE_INSF_IjEEEESM_EEEEEPS7_SP_SP_NSC_11hip_rocprim7__merge17predicate_wrapperIjjNSC_4lessIjEEEEEE10hipError_tPvRmT0_T1_T2_T3_T4_T5_mmT6_P12ihipStream_tbEUlT_E_NS1_11comp_targetILNS1_3genE10ELNS1_11target_archE1200ELNS1_3gpuE4ELNS1_3repE0EEENS1_30default_config_static_selectorELNS0_4arch9wavefront6targetE0EEEvS10_
	.p2align	8
	.type	_ZN7rocprim17ROCPRIM_400000_NS6detail17trampoline_kernelINS0_14default_configENS1_21merge_config_selectorINS0_5tupleIJjjEEENS0_10empty_typeEEEZNS1_10merge_implIS3_NS0_12zip_iteratorINS5_IJN6thrust23THRUST_200600_302600_NS6detail15normal_iteratorINSC_10device_ptrIKjEEEESI_EEEEESK_NSA_INS5_IJNSE_INSF_IjEEEESM_EEEEEPS7_SP_SP_NSC_11hip_rocprim7__merge17predicate_wrapperIjjNSC_4lessIjEEEEEE10hipError_tPvRmT0_T1_T2_T3_T4_T5_mmT6_P12ihipStream_tbEUlT_E_NS1_11comp_targetILNS1_3genE10ELNS1_11target_archE1200ELNS1_3gpuE4ELNS1_3repE0EEENS1_30default_config_static_selectorELNS0_4arch9wavefront6targetE0EEEvS10_,@function
_ZN7rocprim17ROCPRIM_400000_NS6detail17trampoline_kernelINS0_14default_configENS1_21merge_config_selectorINS0_5tupleIJjjEEENS0_10empty_typeEEEZNS1_10merge_implIS3_NS0_12zip_iteratorINS5_IJN6thrust23THRUST_200600_302600_NS6detail15normal_iteratorINSC_10device_ptrIKjEEEESI_EEEEESK_NSA_INS5_IJNSE_INSF_IjEEEESM_EEEEEPS7_SP_SP_NSC_11hip_rocprim7__merge17predicate_wrapperIjjNSC_4lessIjEEEEEE10hipError_tPvRmT0_T1_T2_T3_T4_T5_mmT6_P12ihipStream_tbEUlT_E_NS1_11comp_targetILNS1_3genE10ELNS1_11target_archE1200ELNS1_3gpuE4ELNS1_3repE0EEENS1_30default_config_static_selectorELNS0_4arch9wavefront6targetE0EEEvS10_: ; @_ZN7rocprim17ROCPRIM_400000_NS6detail17trampoline_kernelINS0_14default_configENS1_21merge_config_selectorINS0_5tupleIJjjEEENS0_10empty_typeEEEZNS1_10merge_implIS3_NS0_12zip_iteratorINS5_IJN6thrust23THRUST_200600_302600_NS6detail15normal_iteratorINSC_10device_ptrIKjEEEESI_EEEEESK_NSA_INS5_IJNSE_INSF_IjEEEESM_EEEEEPS7_SP_SP_NSC_11hip_rocprim7__merge17predicate_wrapperIjjNSC_4lessIjEEEEEE10hipError_tPvRmT0_T1_T2_T3_T4_T5_mmT6_P12ihipStream_tbEUlT_E_NS1_11comp_targetILNS1_3genE10ELNS1_11target_archE1200ELNS1_3gpuE4ELNS1_3repE0EEENS1_30default_config_static_selectorELNS0_4arch9wavefront6targetE0EEEvS10_
; %bb.0:
	.section	.rodata,"a",@progbits
	.p2align	6, 0x0
	.amdhsa_kernel _ZN7rocprim17ROCPRIM_400000_NS6detail17trampoline_kernelINS0_14default_configENS1_21merge_config_selectorINS0_5tupleIJjjEEENS0_10empty_typeEEEZNS1_10merge_implIS3_NS0_12zip_iteratorINS5_IJN6thrust23THRUST_200600_302600_NS6detail15normal_iteratorINSC_10device_ptrIKjEEEESI_EEEEESK_NSA_INS5_IJNSE_INSF_IjEEEESM_EEEEEPS7_SP_SP_NSC_11hip_rocprim7__merge17predicate_wrapperIjjNSC_4lessIjEEEEEE10hipError_tPvRmT0_T1_T2_T3_T4_T5_mmT6_P12ihipStream_tbEUlT_E_NS1_11comp_targetILNS1_3genE10ELNS1_11target_archE1200ELNS1_3gpuE4ELNS1_3repE0EEENS1_30default_config_static_selectorELNS0_4arch9wavefront6targetE0EEEvS10_
		.amdhsa_group_segment_fixed_size 0
		.amdhsa_private_segment_fixed_size 0
		.amdhsa_kernarg_size 64
		.amdhsa_user_sgpr_count 6
		.amdhsa_user_sgpr_private_segment_buffer 1
		.amdhsa_user_sgpr_dispatch_ptr 0
		.amdhsa_user_sgpr_queue_ptr 0
		.amdhsa_user_sgpr_kernarg_segment_ptr 1
		.amdhsa_user_sgpr_dispatch_id 0
		.amdhsa_user_sgpr_flat_scratch_init 0
		.amdhsa_user_sgpr_private_segment_size 0
		.amdhsa_wavefront_size32 1
		.amdhsa_uses_dynamic_stack 0
		.amdhsa_system_sgpr_private_segment_wavefront_offset 0
		.amdhsa_system_sgpr_workgroup_id_x 1
		.amdhsa_system_sgpr_workgroup_id_y 0
		.amdhsa_system_sgpr_workgroup_id_z 0
		.amdhsa_system_sgpr_workgroup_info 0
		.amdhsa_system_vgpr_workitem_id 0
		.amdhsa_next_free_vgpr 1
		.amdhsa_next_free_sgpr 1
		.amdhsa_reserve_vcc 0
		.amdhsa_reserve_flat_scratch 0
		.amdhsa_float_round_mode_32 0
		.amdhsa_float_round_mode_16_64 0
		.amdhsa_float_denorm_mode_32 3
		.amdhsa_float_denorm_mode_16_64 3
		.amdhsa_dx10_clamp 1
		.amdhsa_ieee_mode 1
		.amdhsa_fp16_overflow 0
		.amdhsa_workgroup_processor_mode 1
		.amdhsa_memory_ordered 1
		.amdhsa_forward_progress 1
		.amdhsa_shared_vgpr_count 0
		.amdhsa_exception_fp_ieee_invalid_op 0
		.amdhsa_exception_fp_denorm_src 0
		.amdhsa_exception_fp_ieee_div_zero 0
		.amdhsa_exception_fp_ieee_overflow 0
		.amdhsa_exception_fp_ieee_underflow 0
		.amdhsa_exception_fp_ieee_inexact 0
		.amdhsa_exception_int_div_zero 0
	.end_amdhsa_kernel
	.section	.text._ZN7rocprim17ROCPRIM_400000_NS6detail17trampoline_kernelINS0_14default_configENS1_21merge_config_selectorINS0_5tupleIJjjEEENS0_10empty_typeEEEZNS1_10merge_implIS3_NS0_12zip_iteratorINS5_IJN6thrust23THRUST_200600_302600_NS6detail15normal_iteratorINSC_10device_ptrIKjEEEESI_EEEEESK_NSA_INS5_IJNSE_INSF_IjEEEESM_EEEEEPS7_SP_SP_NSC_11hip_rocprim7__merge17predicate_wrapperIjjNSC_4lessIjEEEEEE10hipError_tPvRmT0_T1_T2_T3_T4_T5_mmT6_P12ihipStream_tbEUlT_E_NS1_11comp_targetILNS1_3genE10ELNS1_11target_archE1200ELNS1_3gpuE4ELNS1_3repE0EEENS1_30default_config_static_selectorELNS0_4arch9wavefront6targetE0EEEvS10_,"axG",@progbits,_ZN7rocprim17ROCPRIM_400000_NS6detail17trampoline_kernelINS0_14default_configENS1_21merge_config_selectorINS0_5tupleIJjjEEENS0_10empty_typeEEEZNS1_10merge_implIS3_NS0_12zip_iteratorINS5_IJN6thrust23THRUST_200600_302600_NS6detail15normal_iteratorINSC_10device_ptrIKjEEEESI_EEEEESK_NSA_INS5_IJNSE_INSF_IjEEEESM_EEEEEPS7_SP_SP_NSC_11hip_rocprim7__merge17predicate_wrapperIjjNSC_4lessIjEEEEEE10hipError_tPvRmT0_T1_T2_T3_T4_T5_mmT6_P12ihipStream_tbEUlT_E_NS1_11comp_targetILNS1_3genE10ELNS1_11target_archE1200ELNS1_3gpuE4ELNS1_3repE0EEENS1_30default_config_static_selectorELNS0_4arch9wavefront6targetE0EEEvS10_,comdat
.Lfunc_end139:
	.size	_ZN7rocprim17ROCPRIM_400000_NS6detail17trampoline_kernelINS0_14default_configENS1_21merge_config_selectorINS0_5tupleIJjjEEENS0_10empty_typeEEEZNS1_10merge_implIS3_NS0_12zip_iteratorINS5_IJN6thrust23THRUST_200600_302600_NS6detail15normal_iteratorINSC_10device_ptrIKjEEEESI_EEEEESK_NSA_INS5_IJNSE_INSF_IjEEEESM_EEEEEPS7_SP_SP_NSC_11hip_rocprim7__merge17predicate_wrapperIjjNSC_4lessIjEEEEEE10hipError_tPvRmT0_T1_T2_T3_T4_T5_mmT6_P12ihipStream_tbEUlT_E_NS1_11comp_targetILNS1_3genE10ELNS1_11target_archE1200ELNS1_3gpuE4ELNS1_3repE0EEENS1_30default_config_static_selectorELNS0_4arch9wavefront6targetE0EEEvS10_, .Lfunc_end139-_ZN7rocprim17ROCPRIM_400000_NS6detail17trampoline_kernelINS0_14default_configENS1_21merge_config_selectorINS0_5tupleIJjjEEENS0_10empty_typeEEEZNS1_10merge_implIS3_NS0_12zip_iteratorINS5_IJN6thrust23THRUST_200600_302600_NS6detail15normal_iteratorINSC_10device_ptrIKjEEEESI_EEEEESK_NSA_INS5_IJNSE_INSF_IjEEEESM_EEEEEPS7_SP_SP_NSC_11hip_rocprim7__merge17predicate_wrapperIjjNSC_4lessIjEEEEEE10hipError_tPvRmT0_T1_T2_T3_T4_T5_mmT6_P12ihipStream_tbEUlT_E_NS1_11comp_targetILNS1_3genE10ELNS1_11target_archE1200ELNS1_3gpuE4ELNS1_3repE0EEENS1_30default_config_static_selectorELNS0_4arch9wavefront6targetE0EEEvS10_
                                        ; -- End function
	.set _ZN7rocprim17ROCPRIM_400000_NS6detail17trampoline_kernelINS0_14default_configENS1_21merge_config_selectorINS0_5tupleIJjjEEENS0_10empty_typeEEEZNS1_10merge_implIS3_NS0_12zip_iteratorINS5_IJN6thrust23THRUST_200600_302600_NS6detail15normal_iteratorINSC_10device_ptrIKjEEEESI_EEEEESK_NSA_INS5_IJNSE_INSF_IjEEEESM_EEEEEPS7_SP_SP_NSC_11hip_rocprim7__merge17predicate_wrapperIjjNSC_4lessIjEEEEEE10hipError_tPvRmT0_T1_T2_T3_T4_T5_mmT6_P12ihipStream_tbEUlT_E_NS1_11comp_targetILNS1_3genE10ELNS1_11target_archE1200ELNS1_3gpuE4ELNS1_3repE0EEENS1_30default_config_static_selectorELNS0_4arch9wavefront6targetE0EEEvS10_.num_vgpr, 0
	.set _ZN7rocprim17ROCPRIM_400000_NS6detail17trampoline_kernelINS0_14default_configENS1_21merge_config_selectorINS0_5tupleIJjjEEENS0_10empty_typeEEEZNS1_10merge_implIS3_NS0_12zip_iteratorINS5_IJN6thrust23THRUST_200600_302600_NS6detail15normal_iteratorINSC_10device_ptrIKjEEEESI_EEEEESK_NSA_INS5_IJNSE_INSF_IjEEEESM_EEEEEPS7_SP_SP_NSC_11hip_rocprim7__merge17predicate_wrapperIjjNSC_4lessIjEEEEEE10hipError_tPvRmT0_T1_T2_T3_T4_T5_mmT6_P12ihipStream_tbEUlT_E_NS1_11comp_targetILNS1_3genE10ELNS1_11target_archE1200ELNS1_3gpuE4ELNS1_3repE0EEENS1_30default_config_static_selectorELNS0_4arch9wavefront6targetE0EEEvS10_.num_agpr, 0
	.set _ZN7rocprim17ROCPRIM_400000_NS6detail17trampoline_kernelINS0_14default_configENS1_21merge_config_selectorINS0_5tupleIJjjEEENS0_10empty_typeEEEZNS1_10merge_implIS3_NS0_12zip_iteratorINS5_IJN6thrust23THRUST_200600_302600_NS6detail15normal_iteratorINSC_10device_ptrIKjEEEESI_EEEEESK_NSA_INS5_IJNSE_INSF_IjEEEESM_EEEEEPS7_SP_SP_NSC_11hip_rocprim7__merge17predicate_wrapperIjjNSC_4lessIjEEEEEE10hipError_tPvRmT0_T1_T2_T3_T4_T5_mmT6_P12ihipStream_tbEUlT_E_NS1_11comp_targetILNS1_3genE10ELNS1_11target_archE1200ELNS1_3gpuE4ELNS1_3repE0EEENS1_30default_config_static_selectorELNS0_4arch9wavefront6targetE0EEEvS10_.numbered_sgpr, 0
	.set _ZN7rocprim17ROCPRIM_400000_NS6detail17trampoline_kernelINS0_14default_configENS1_21merge_config_selectorINS0_5tupleIJjjEEENS0_10empty_typeEEEZNS1_10merge_implIS3_NS0_12zip_iteratorINS5_IJN6thrust23THRUST_200600_302600_NS6detail15normal_iteratorINSC_10device_ptrIKjEEEESI_EEEEESK_NSA_INS5_IJNSE_INSF_IjEEEESM_EEEEEPS7_SP_SP_NSC_11hip_rocprim7__merge17predicate_wrapperIjjNSC_4lessIjEEEEEE10hipError_tPvRmT0_T1_T2_T3_T4_T5_mmT6_P12ihipStream_tbEUlT_E_NS1_11comp_targetILNS1_3genE10ELNS1_11target_archE1200ELNS1_3gpuE4ELNS1_3repE0EEENS1_30default_config_static_selectorELNS0_4arch9wavefront6targetE0EEEvS10_.num_named_barrier, 0
	.set _ZN7rocprim17ROCPRIM_400000_NS6detail17trampoline_kernelINS0_14default_configENS1_21merge_config_selectorINS0_5tupleIJjjEEENS0_10empty_typeEEEZNS1_10merge_implIS3_NS0_12zip_iteratorINS5_IJN6thrust23THRUST_200600_302600_NS6detail15normal_iteratorINSC_10device_ptrIKjEEEESI_EEEEESK_NSA_INS5_IJNSE_INSF_IjEEEESM_EEEEEPS7_SP_SP_NSC_11hip_rocprim7__merge17predicate_wrapperIjjNSC_4lessIjEEEEEE10hipError_tPvRmT0_T1_T2_T3_T4_T5_mmT6_P12ihipStream_tbEUlT_E_NS1_11comp_targetILNS1_3genE10ELNS1_11target_archE1200ELNS1_3gpuE4ELNS1_3repE0EEENS1_30default_config_static_selectorELNS0_4arch9wavefront6targetE0EEEvS10_.private_seg_size, 0
	.set _ZN7rocprim17ROCPRIM_400000_NS6detail17trampoline_kernelINS0_14default_configENS1_21merge_config_selectorINS0_5tupleIJjjEEENS0_10empty_typeEEEZNS1_10merge_implIS3_NS0_12zip_iteratorINS5_IJN6thrust23THRUST_200600_302600_NS6detail15normal_iteratorINSC_10device_ptrIKjEEEESI_EEEEESK_NSA_INS5_IJNSE_INSF_IjEEEESM_EEEEEPS7_SP_SP_NSC_11hip_rocprim7__merge17predicate_wrapperIjjNSC_4lessIjEEEEEE10hipError_tPvRmT0_T1_T2_T3_T4_T5_mmT6_P12ihipStream_tbEUlT_E_NS1_11comp_targetILNS1_3genE10ELNS1_11target_archE1200ELNS1_3gpuE4ELNS1_3repE0EEENS1_30default_config_static_selectorELNS0_4arch9wavefront6targetE0EEEvS10_.uses_vcc, 0
	.set _ZN7rocprim17ROCPRIM_400000_NS6detail17trampoline_kernelINS0_14default_configENS1_21merge_config_selectorINS0_5tupleIJjjEEENS0_10empty_typeEEEZNS1_10merge_implIS3_NS0_12zip_iteratorINS5_IJN6thrust23THRUST_200600_302600_NS6detail15normal_iteratorINSC_10device_ptrIKjEEEESI_EEEEESK_NSA_INS5_IJNSE_INSF_IjEEEESM_EEEEEPS7_SP_SP_NSC_11hip_rocprim7__merge17predicate_wrapperIjjNSC_4lessIjEEEEEE10hipError_tPvRmT0_T1_T2_T3_T4_T5_mmT6_P12ihipStream_tbEUlT_E_NS1_11comp_targetILNS1_3genE10ELNS1_11target_archE1200ELNS1_3gpuE4ELNS1_3repE0EEENS1_30default_config_static_selectorELNS0_4arch9wavefront6targetE0EEEvS10_.uses_flat_scratch, 0
	.set _ZN7rocprim17ROCPRIM_400000_NS6detail17trampoline_kernelINS0_14default_configENS1_21merge_config_selectorINS0_5tupleIJjjEEENS0_10empty_typeEEEZNS1_10merge_implIS3_NS0_12zip_iteratorINS5_IJN6thrust23THRUST_200600_302600_NS6detail15normal_iteratorINSC_10device_ptrIKjEEEESI_EEEEESK_NSA_INS5_IJNSE_INSF_IjEEEESM_EEEEEPS7_SP_SP_NSC_11hip_rocprim7__merge17predicate_wrapperIjjNSC_4lessIjEEEEEE10hipError_tPvRmT0_T1_T2_T3_T4_T5_mmT6_P12ihipStream_tbEUlT_E_NS1_11comp_targetILNS1_3genE10ELNS1_11target_archE1200ELNS1_3gpuE4ELNS1_3repE0EEENS1_30default_config_static_selectorELNS0_4arch9wavefront6targetE0EEEvS10_.has_dyn_sized_stack, 0
	.set _ZN7rocprim17ROCPRIM_400000_NS6detail17trampoline_kernelINS0_14default_configENS1_21merge_config_selectorINS0_5tupleIJjjEEENS0_10empty_typeEEEZNS1_10merge_implIS3_NS0_12zip_iteratorINS5_IJN6thrust23THRUST_200600_302600_NS6detail15normal_iteratorINSC_10device_ptrIKjEEEESI_EEEEESK_NSA_INS5_IJNSE_INSF_IjEEEESM_EEEEEPS7_SP_SP_NSC_11hip_rocprim7__merge17predicate_wrapperIjjNSC_4lessIjEEEEEE10hipError_tPvRmT0_T1_T2_T3_T4_T5_mmT6_P12ihipStream_tbEUlT_E_NS1_11comp_targetILNS1_3genE10ELNS1_11target_archE1200ELNS1_3gpuE4ELNS1_3repE0EEENS1_30default_config_static_selectorELNS0_4arch9wavefront6targetE0EEEvS10_.has_recursion, 0
	.set _ZN7rocprim17ROCPRIM_400000_NS6detail17trampoline_kernelINS0_14default_configENS1_21merge_config_selectorINS0_5tupleIJjjEEENS0_10empty_typeEEEZNS1_10merge_implIS3_NS0_12zip_iteratorINS5_IJN6thrust23THRUST_200600_302600_NS6detail15normal_iteratorINSC_10device_ptrIKjEEEESI_EEEEESK_NSA_INS5_IJNSE_INSF_IjEEEESM_EEEEEPS7_SP_SP_NSC_11hip_rocprim7__merge17predicate_wrapperIjjNSC_4lessIjEEEEEE10hipError_tPvRmT0_T1_T2_T3_T4_T5_mmT6_P12ihipStream_tbEUlT_E_NS1_11comp_targetILNS1_3genE10ELNS1_11target_archE1200ELNS1_3gpuE4ELNS1_3repE0EEENS1_30default_config_static_selectorELNS0_4arch9wavefront6targetE0EEEvS10_.has_indirect_call, 0
	.section	.AMDGPU.csdata,"",@progbits
; Kernel info:
; codeLenInByte = 0
; TotalNumSgprs: 0
; NumVgprs: 0
; ScratchSize: 0
; MemoryBound: 0
; FloatMode: 240
; IeeeMode: 1
; LDSByteSize: 0 bytes/workgroup (compile time only)
; SGPRBlocks: 0
; VGPRBlocks: 0
; NumSGPRsForWavesPerEU: 1
; NumVGPRsForWavesPerEU: 1
; Occupancy: 16
; WaveLimiterHint : 0
; COMPUTE_PGM_RSRC2:SCRATCH_EN: 0
; COMPUTE_PGM_RSRC2:USER_SGPR: 6
; COMPUTE_PGM_RSRC2:TRAP_HANDLER: 0
; COMPUTE_PGM_RSRC2:TGID_X_EN: 1
; COMPUTE_PGM_RSRC2:TGID_Y_EN: 0
; COMPUTE_PGM_RSRC2:TGID_Z_EN: 0
; COMPUTE_PGM_RSRC2:TIDIG_COMP_CNT: 0
	.section	.text._ZN7rocprim17ROCPRIM_400000_NS6detail17trampoline_kernelINS0_14default_configENS1_21merge_config_selectorINS0_5tupleIJjjEEENS0_10empty_typeEEEZNS1_10merge_implIS3_NS0_12zip_iteratorINS5_IJN6thrust23THRUST_200600_302600_NS6detail15normal_iteratorINSC_10device_ptrIKjEEEESI_EEEEESK_NSA_INS5_IJNSE_INSF_IjEEEESM_EEEEEPS7_SP_SP_NSC_11hip_rocprim7__merge17predicate_wrapperIjjNSC_4lessIjEEEEEE10hipError_tPvRmT0_T1_T2_T3_T4_T5_mmT6_P12ihipStream_tbEUlT_E_NS1_11comp_targetILNS1_3genE9ELNS1_11target_archE1100ELNS1_3gpuE3ELNS1_3repE0EEENS1_30default_config_static_selectorELNS0_4arch9wavefront6targetE0EEEvS10_,"axG",@progbits,_ZN7rocprim17ROCPRIM_400000_NS6detail17trampoline_kernelINS0_14default_configENS1_21merge_config_selectorINS0_5tupleIJjjEEENS0_10empty_typeEEEZNS1_10merge_implIS3_NS0_12zip_iteratorINS5_IJN6thrust23THRUST_200600_302600_NS6detail15normal_iteratorINSC_10device_ptrIKjEEEESI_EEEEESK_NSA_INS5_IJNSE_INSF_IjEEEESM_EEEEEPS7_SP_SP_NSC_11hip_rocprim7__merge17predicate_wrapperIjjNSC_4lessIjEEEEEE10hipError_tPvRmT0_T1_T2_T3_T4_T5_mmT6_P12ihipStream_tbEUlT_E_NS1_11comp_targetILNS1_3genE9ELNS1_11target_archE1100ELNS1_3gpuE3ELNS1_3repE0EEENS1_30default_config_static_selectorELNS0_4arch9wavefront6targetE0EEEvS10_,comdat
	.protected	_ZN7rocprim17ROCPRIM_400000_NS6detail17trampoline_kernelINS0_14default_configENS1_21merge_config_selectorINS0_5tupleIJjjEEENS0_10empty_typeEEEZNS1_10merge_implIS3_NS0_12zip_iteratorINS5_IJN6thrust23THRUST_200600_302600_NS6detail15normal_iteratorINSC_10device_ptrIKjEEEESI_EEEEESK_NSA_INS5_IJNSE_INSF_IjEEEESM_EEEEEPS7_SP_SP_NSC_11hip_rocprim7__merge17predicate_wrapperIjjNSC_4lessIjEEEEEE10hipError_tPvRmT0_T1_T2_T3_T4_T5_mmT6_P12ihipStream_tbEUlT_E_NS1_11comp_targetILNS1_3genE9ELNS1_11target_archE1100ELNS1_3gpuE3ELNS1_3repE0EEENS1_30default_config_static_selectorELNS0_4arch9wavefront6targetE0EEEvS10_ ; -- Begin function _ZN7rocprim17ROCPRIM_400000_NS6detail17trampoline_kernelINS0_14default_configENS1_21merge_config_selectorINS0_5tupleIJjjEEENS0_10empty_typeEEEZNS1_10merge_implIS3_NS0_12zip_iteratorINS5_IJN6thrust23THRUST_200600_302600_NS6detail15normal_iteratorINSC_10device_ptrIKjEEEESI_EEEEESK_NSA_INS5_IJNSE_INSF_IjEEEESM_EEEEEPS7_SP_SP_NSC_11hip_rocprim7__merge17predicate_wrapperIjjNSC_4lessIjEEEEEE10hipError_tPvRmT0_T1_T2_T3_T4_T5_mmT6_P12ihipStream_tbEUlT_E_NS1_11comp_targetILNS1_3genE9ELNS1_11target_archE1100ELNS1_3gpuE3ELNS1_3repE0EEENS1_30default_config_static_selectorELNS0_4arch9wavefront6targetE0EEEvS10_
	.globl	_ZN7rocprim17ROCPRIM_400000_NS6detail17trampoline_kernelINS0_14default_configENS1_21merge_config_selectorINS0_5tupleIJjjEEENS0_10empty_typeEEEZNS1_10merge_implIS3_NS0_12zip_iteratorINS5_IJN6thrust23THRUST_200600_302600_NS6detail15normal_iteratorINSC_10device_ptrIKjEEEESI_EEEEESK_NSA_INS5_IJNSE_INSF_IjEEEESM_EEEEEPS7_SP_SP_NSC_11hip_rocprim7__merge17predicate_wrapperIjjNSC_4lessIjEEEEEE10hipError_tPvRmT0_T1_T2_T3_T4_T5_mmT6_P12ihipStream_tbEUlT_E_NS1_11comp_targetILNS1_3genE9ELNS1_11target_archE1100ELNS1_3gpuE3ELNS1_3repE0EEENS1_30default_config_static_selectorELNS0_4arch9wavefront6targetE0EEEvS10_
	.p2align	8
	.type	_ZN7rocprim17ROCPRIM_400000_NS6detail17trampoline_kernelINS0_14default_configENS1_21merge_config_selectorINS0_5tupleIJjjEEENS0_10empty_typeEEEZNS1_10merge_implIS3_NS0_12zip_iteratorINS5_IJN6thrust23THRUST_200600_302600_NS6detail15normal_iteratorINSC_10device_ptrIKjEEEESI_EEEEESK_NSA_INS5_IJNSE_INSF_IjEEEESM_EEEEEPS7_SP_SP_NSC_11hip_rocprim7__merge17predicate_wrapperIjjNSC_4lessIjEEEEEE10hipError_tPvRmT0_T1_T2_T3_T4_T5_mmT6_P12ihipStream_tbEUlT_E_NS1_11comp_targetILNS1_3genE9ELNS1_11target_archE1100ELNS1_3gpuE3ELNS1_3repE0EEENS1_30default_config_static_selectorELNS0_4arch9wavefront6targetE0EEEvS10_,@function
_ZN7rocprim17ROCPRIM_400000_NS6detail17trampoline_kernelINS0_14default_configENS1_21merge_config_selectorINS0_5tupleIJjjEEENS0_10empty_typeEEEZNS1_10merge_implIS3_NS0_12zip_iteratorINS5_IJN6thrust23THRUST_200600_302600_NS6detail15normal_iteratorINSC_10device_ptrIKjEEEESI_EEEEESK_NSA_INS5_IJNSE_INSF_IjEEEESM_EEEEEPS7_SP_SP_NSC_11hip_rocprim7__merge17predicate_wrapperIjjNSC_4lessIjEEEEEE10hipError_tPvRmT0_T1_T2_T3_T4_T5_mmT6_P12ihipStream_tbEUlT_E_NS1_11comp_targetILNS1_3genE9ELNS1_11target_archE1100ELNS1_3gpuE3ELNS1_3repE0EEENS1_30default_config_static_selectorELNS0_4arch9wavefront6targetE0EEEvS10_: ; @_ZN7rocprim17ROCPRIM_400000_NS6detail17trampoline_kernelINS0_14default_configENS1_21merge_config_selectorINS0_5tupleIJjjEEENS0_10empty_typeEEEZNS1_10merge_implIS3_NS0_12zip_iteratorINS5_IJN6thrust23THRUST_200600_302600_NS6detail15normal_iteratorINSC_10device_ptrIKjEEEESI_EEEEESK_NSA_INS5_IJNSE_INSF_IjEEEESM_EEEEEPS7_SP_SP_NSC_11hip_rocprim7__merge17predicate_wrapperIjjNSC_4lessIjEEEEEE10hipError_tPvRmT0_T1_T2_T3_T4_T5_mmT6_P12ihipStream_tbEUlT_E_NS1_11comp_targetILNS1_3genE9ELNS1_11target_archE1100ELNS1_3gpuE3ELNS1_3repE0EEENS1_30default_config_static_selectorELNS0_4arch9wavefront6targetE0EEEvS10_
; %bb.0:
	.section	.rodata,"a",@progbits
	.p2align	6, 0x0
	.amdhsa_kernel _ZN7rocprim17ROCPRIM_400000_NS6detail17trampoline_kernelINS0_14default_configENS1_21merge_config_selectorINS0_5tupleIJjjEEENS0_10empty_typeEEEZNS1_10merge_implIS3_NS0_12zip_iteratorINS5_IJN6thrust23THRUST_200600_302600_NS6detail15normal_iteratorINSC_10device_ptrIKjEEEESI_EEEEESK_NSA_INS5_IJNSE_INSF_IjEEEESM_EEEEEPS7_SP_SP_NSC_11hip_rocprim7__merge17predicate_wrapperIjjNSC_4lessIjEEEEEE10hipError_tPvRmT0_T1_T2_T3_T4_T5_mmT6_P12ihipStream_tbEUlT_E_NS1_11comp_targetILNS1_3genE9ELNS1_11target_archE1100ELNS1_3gpuE3ELNS1_3repE0EEENS1_30default_config_static_selectorELNS0_4arch9wavefront6targetE0EEEvS10_
		.amdhsa_group_segment_fixed_size 0
		.amdhsa_private_segment_fixed_size 0
		.amdhsa_kernarg_size 64
		.amdhsa_user_sgpr_count 6
		.amdhsa_user_sgpr_private_segment_buffer 1
		.amdhsa_user_sgpr_dispatch_ptr 0
		.amdhsa_user_sgpr_queue_ptr 0
		.amdhsa_user_sgpr_kernarg_segment_ptr 1
		.amdhsa_user_sgpr_dispatch_id 0
		.amdhsa_user_sgpr_flat_scratch_init 0
		.amdhsa_user_sgpr_private_segment_size 0
		.amdhsa_wavefront_size32 1
		.amdhsa_uses_dynamic_stack 0
		.amdhsa_system_sgpr_private_segment_wavefront_offset 0
		.amdhsa_system_sgpr_workgroup_id_x 1
		.amdhsa_system_sgpr_workgroup_id_y 0
		.amdhsa_system_sgpr_workgroup_id_z 0
		.amdhsa_system_sgpr_workgroup_info 0
		.amdhsa_system_vgpr_workitem_id 0
		.amdhsa_next_free_vgpr 1
		.amdhsa_next_free_sgpr 1
		.amdhsa_reserve_vcc 0
		.amdhsa_reserve_flat_scratch 0
		.amdhsa_float_round_mode_32 0
		.amdhsa_float_round_mode_16_64 0
		.amdhsa_float_denorm_mode_32 3
		.amdhsa_float_denorm_mode_16_64 3
		.amdhsa_dx10_clamp 1
		.amdhsa_ieee_mode 1
		.amdhsa_fp16_overflow 0
		.amdhsa_workgroup_processor_mode 1
		.amdhsa_memory_ordered 1
		.amdhsa_forward_progress 1
		.amdhsa_shared_vgpr_count 0
		.amdhsa_exception_fp_ieee_invalid_op 0
		.amdhsa_exception_fp_denorm_src 0
		.amdhsa_exception_fp_ieee_div_zero 0
		.amdhsa_exception_fp_ieee_overflow 0
		.amdhsa_exception_fp_ieee_underflow 0
		.amdhsa_exception_fp_ieee_inexact 0
		.amdhsa_exception_int_div_zero 0
	.end_amdhsa_kernel
	.section	.text._ZN7rocprim17ROCPRIM_400000_NS6detail17trampoline_kernelINS0_14default_configENS1_21merge_config_selectorINS0_5tupleIJjjEEENS0_10empty_typeEEEZNS1_10merge_implIS3_NS0_12zip_iteratorINS5_IJN6thrust23THRUST_200600_302600_NS6detail15normal_iteratorINSC_10device_ptrIKjEEEESI_EEEEESK_NSA_INS5_IJNSE_INSF_IjEEEESM_EEEEEPS7_SP_SP_NSC_11hip_rocprim7__merge17predicate_wrapperIjjNSC_4lessIjEEEEEE10hipError_tPvRmT0_T1_T2_T3_T4_T5_mmT6_P12ihipStream_tbEUlT_E_NS1_11comp_targetILNS1_3genE9ELNS1_11target_archE1100ELNS1_3gpuE3ELNS1_3repE0EEENS1_30default_config_static_selectorELNS0_4arch9wavefront6targetE0EEEvS10_,"axG",@progbits,_ZN7rocprim17ROCPRIM_400000_NS6detail17trampoline_kernelINS0_14default_configENS1_21merge_config_selectorINS0_5tupleIJjjEEENS0_10empty_typeEEEZNS1_10merge_implIS3_NS0_12zip_iteratorINS5_IJN6thrust23THRUST_200600_302600_NS6detail15normal_iteratorINSC_10device_ptrIKjEEEESI_EEEEESK_NSA_INS5_IJNSE_INSF_IjEEEESM_EEEEEPS7_SP_SP_NSC_11hip_rocprim7__merge17predicate_wrapperIjjNSC_4lessIjEEEEEE10hipError_tPvRmT0_T1_T2_T3_T4_T5_mmT6_P12ihipStream_tbEUlT_E_NS1_11comp_targetILNS1_3genE9ELNS1_11target_archE1100ELNS1_3gpuE3ELNS1_3repE0EEENS1_30default_config_static_selectorELNS0_4arch9wavefront6targetE0EEEvS10_,comdat
.Lfunc_end140:
	.size	_ZN7rocprim17ROCPRIM_400000_NS6detail17trampoline_kernelINS0_14default_configENS1_21merge_config_selectorINS0_5tupleIJjjEEENS0_10empty_typeEEEZNS1_10merge_implIS3_NS0_12zip_iteratorINS5_IJN6thrust23THRUST_200600_302600_NS6detail15normal_iteratorINSC_10device_ptrIKjEEEESI_EEEEESK_NSA_INS5_IJNSE_INSF_IjEEEESM_EEEEEPS7_SP_SP_NSC_11hip_rocprim7__merge17predicate_wrapperIjjNSC_4lessIjEEEEEE10hipError_tPvRmT0_T1_T2_T3_T4_T5_mmT6_P12ihipStream_tbEUlT_E_NS1_11comp_targetILNS1_3genE9ELNS1_11target_archE1100ELNS1_3gpuE3ELNS1_3repE0EEENS1_30default_config_static_selectorELNS0_4arch9wavefront6targetE0EEEvS10_, .Lfunc_end140-_ZN7rocprim17ROCPRIM_400000_NS6detail17trampoline_kernelINS0_14default_configENS1_21merge_config_selectorINS0_5tupleIJjjEEENS0_10empty_typeEEEZNS1_10merge_implIS3_NS0_12zip_iteratorINS5_IJN6thrust23THRUST_200600_302600_NS6detail15normal_iteratorINSC_10device_ptrIKjEEEESI_EEEEESK_NSA_INS5_IJNSE_INSF_IjEEEESM_EEEEEPS7_SP_SP_NSC_11hip_rocprim7__merge17predicate_wrapperIjjNSC_4lessIjEEEEEE10hipError_tPvRmT0_T1_T2_T3_T4_T5_mmT6_P12ihipStream_tbEUlT_E_NS1_11comp_targetILNS1_3genE9ELNS1_11target_archE1100ELNS1_3gpuE3ELNS1_3repE0EEENS1_30default_config_static_selectorELNS0_4arch9wavefront6targetE0EEEvS10_
                                        ; -- End function
	.set _ZN7rocprim17ROCPRIM_400000_NS6detail17trampoline_kernelINS0_14default_configENS1_21merge_config_selectorINS0_5tupleIJjjEEENS0_10empty_typeEEEZNS1_10merge_implIS3_NS0_12zip_iteratorINS5_IJN6thrust23THRUST_200600_302600_NS6detail15normal_iteratorINSC_10device_ptrIKjEEEESI_EEEEESK_NSA_INS5_IJNSE_INSF_IjEEEESM_EEEEEPS7_SP_SP_NSC_11hip_rocprim7__merge17predicate_wrapperIjjNSC_4lessIjEEEEEE10hipError_tPvRmT0_T1_T2_T3_T4_T5_mmT6_P12ihipStream_tbEUlT_E_NS1_11comp_targetILNS1_3genE9ELNS1_11target_archE1100ELNS1_3gpuE3ELNS1_3repE0EEENS1_30default_config_static_selectorELNS0_4arch9wavefront6targetE0EEEvS10_.num_vgpr, 0
	.set _ZN7rocprim17ROCPRIM_400000_NS6detail17trampoline_kernelINS0_14default_configENS1_21merge_config_selectorINS0_5tupleIJjjEEENS0_10empty_typeEEEZNS1_10merge_implIS3_NS0_12zip_iteratorINS5_IJN6thrust23THRUST_200600_302600_NS6detail15normal_iteratorINSC_10device_ptrIKjEEEESI_EEEEESK_NSA_INS5_IJNSE_INSF_IjEEEESM_EEEEEPS7_SP_SP_NSC_11hip_rocprim7__merge17predicate_wrapperIjjNSC_4lessIjEEEEEE10hipError_tPvRmT0_T1_T2_T3_T4_T5_mmT6_P12ihipStream_tbEUlT_E_NS1_11comp_targetILNS1_3genE9ELNS1_11target_archE1100ELNS1_3gpuE3ELNS1_3repE0EEENS1_30default_config_static_selectorELNS0_4arch9wavefront6targetE0EEEvS10_.num_agpr, 0
	.set _ZN7rocprim17ROCPRIM_400000_NS6detail17trampoline_kernelINS0_14default_configENS1_21merge_config_selectorINS0_5tupleIJjjEEENS0_10empty_typeEEEZNS1_10merge_implIS3_NS0_12zip_iteratorINS5_IJN6thrust23THRUST_200600_302600_NS6detail15normal_iteratorINSC_10device_ptrIKjEEEESI_EEEEESK_NSA_INS5_IJNSE_INSF_IjEEEESM_EEEEEPS7_SP_SP_NSC_11hip_rocprim7__merge17predicate_wrapperIjjNSC_4lessIjEEEEEE10hipError_tPvRmT0_T1_T2_T3_T4_T5_mmT6_P12ihipStream_tbEUlT_E_NS1_11comp_targetILNS1_3genE9ELNS1_11target_archE1100ELNS1_3gpuE3ELNS1_3repE0EEENS1_30default_config_static_selectorELNS0_4arch9wavefront6targetE0EEEvS10_.numbered_sgpr, 0
	.set _ZN7rocprim17ROCPRIM_400000_NS6detail17trampoline_kernelINS0_14default_configENS1_21merge_config_selectorINS0_5tupleIJjjEEENS0_10empty_typeEEEZNS1_10merge_implIS3_NS0_12zip_iteratorINS5_IJN6thrust23THRUST_200600_302600_NS6detail15normal_iteratorINSC_10device_ptrIKjEEEESI_EEEEESK_NSA_INS5_IJNSE_INSF_IjEEEESM_EEEEEPS7_SP_SP_NSC_11hip_rocprim7__merge17predicate_wrapperIjjNSC_4lessIjEEEEEE10hipError_tPvRmT0_T1_T2_T3_T4_T5_mmT6_P12ihipStream_tbEUlT_E_NS1_11comp_targetILNS1_3genE9ELNS1_11target_archE1100ELNS1_3gpuE3ELNS1_3repE0EEENS1_30default_config_static_selectorELNS0_4arch9wavefront6targetE0EEEvS10_.num_named_barrier, 0
	.set _ZN7rocprim17ROCPRIM_400000_NS6detail17trampoline_kernelINS0_14default_configENS1_21merge_config_selectorINS0_5tupleIJjjEEENS0_10empty_typeEEEZNS1_10merge_implIS3_NS0_12zip_iteratorINS5_IJN6thrust23THRUST_200600_302600_NS6detail15normal_iteratorINSC_10device_ptrIKjEEEESI_EEEEESK_NSA_INS5_IJNSE_INSF_IjEEEESM_EEEEEPS7_SP_SP_NSC_11hip_rocprim7__merge17predicate_wrapperIjjNSC_4lessIjEEEEEE10hipError_tPvRmT0_T1_T2_T3_T4_T5_mmT6_P12ihipStream_tbEUlT_E_NS1_11comp_targetILNS1_3genE9ELNS1_11target_archE1100ELNS1_3gpuE3ELNS1_3repE0EEENS1_30default_config_static_selectorELNS0_4arch9wavefront6targetE0EEEvS10_.private_seg_size, 0
	.set _ZN7rocprim17ROCPRIM_400000_NS6detail17trampoline_kernelINS0_14default_configENS1_21merge_config_selectorINS0_5tupleIJjjEEENS0_10empty_typeEEEZNS1_10merge_implIS3_NS0_12zip_iteratorINS5_IJN6thrust23THRUST_200600_302600_NS6detail15normal_iteratorINSC_10device_ptrIKjEEEESI_EEEEESK_NSA_INS5_IJNSE_INSF_IjEEEESM_EEEEEPS7_SP_SP_NSC_11hip_rocprim7__merge17predicate_wrapperIjjNSC_4lessIjEEEEEE10hipError_tPvRmT0_T1_T2_T3_T4_T5_mmT6_P12ihipStream_tbEUlT_E_NS1_11comp_targetILNS1_3genE9ELNS1_11target_archE1100ELNS1_3gpuE3ELNS1_3repE0EEENS1_30default_config_static_selectorELNS0_4arch9wavefront6targetE0EEEvS10_.uses_vcc, 0
	.set _ZN7rocprim17ROCPRIM_400000_NS6detail17trampoline_kernelINS0_14default_configENS1_21merge_config_selectorINS0_5tupleIJjjEEENS0_10empty_typeEEEZNS1_10merge_implIS3_NS0_12zip_iteratorINS5_IJN6thrust23THRUST_200600_302600_NS6detail15normal_iteratorINSC_10device_ptrIKjEEEESI_EEEEESK_NSA_INS5_IJNSE_INSF_IjEEEESM_EEEEEPS7_SP_SP_NSC_11hip_rocprim7__merge17predicate_wrapperIjjNSC_4lessIjEEEEEE10hipError_tPvRmT0_T1_T2_T3_T4_T5_mmT6_P12ihipStream_tbEUlT_E_NS1_11comp_targetILNS1_3genE9ELNS1_11target_archE1100ELNS1_3gpuE3ELNS1_3repE0EEENS1_30default_config_static_selectorELNS0_4arch9wavefront6targetE0EEEvS10_.uses_flat_scratch, 0
	.set _ZN7rocprim17ROCPRIM_400000_NS6detail17trampoline_kernelINS0_14default_configENS1_21merge_config_selectorINS0_5tupleIJjjEEENS0_10empty_typeEEEZNS1_10merge_implIS3_NS0_12zip_iteratorINS5_IJN6thrust23THRUST_200600_302600_NS6detail15normal_iteratorINSC_10device_ptrIKjEEEESI_EEEEESK_NSA_INS5_IJNSE_INSF_IjEEEESM_EEEEEPS7_SP_SP_NSC_11hip_rocprim7__merge17predicate_wrapperIjjNSC_4lessIjEEEEEE10hipError_tPvRmT0_T1_T2_T3_T4_T5_mmT6_P12ihipStream_tbEUlT_E_NS1_11comp_targetILNS1_3genE9ELNS1_11target_archE1100ELNS1_3gpuE3ELNS1_3repE0EEENS1_30default_config_static_selectorELNS0_4arch9wavefront6targetE0EEEvS10_.has_dyn_sized_stack, 0
	.set _ZN7rocprim17ROCPRIM_400000_NS6detail17trampoline_kernelINS0_14default_configENS1_21merge_config_selectorINS0_5tupleIJjjEEENS0_10empty_typeEEEZNS1_10merge_implIS3_NS0_12zip_iteratorINS5_IJN6thrust23THRUST_200600_302600_NS6detail15normal_iteratorINSC_10device_ptrIKjEEEESI_EEEEESK_NSA_INS5_IJNSE_INSF_IjEEEESM_EEEEEPS7_SP_SP_NSC_11hip_rocprim7__merge17predicate_wrapperIjjNSC_4lessIjEEEEEE10hipError_tPvRmT0_T1_T2_T3_T4_T5_mmT6_P12ihipStream_tbEUlT_E_NS1_11comp_targetILNS1_3genE9ELNS1_11target_archE1100ELNS1_3gpuE3ELNS1_3repE0EEENS1_30default_config_static_selectorELNS0_4arch9wavefront6targetE0EEEvS10_.has_recursion, 0
	.set _ZN7rocprim17ROCPRIM_400000_NS6detail17trampoline_kernelINS0_14default_configENS1_21merge_config_selectorINS0_5tupleIJjjEEENS0_10empty_typeEEEZNS1_10merge_implIS3_NS0_12zip_iteratorINS5_IJN6thrust23THRUST_200600_302600_NS6detail15normal_iteratorINSC_10device_ptrIKjEEEESI_EEEEESK_NSA_INS5_IJNSE_INSF_IjEEEESM_EEEEEPS7_SP_SP_NSC_11hip_rocprim7__merge17predicate_wrapperIjjNSC_4lessIjEEEEEE10hipError_tPvRmT0_T1_T2_T3_T4_T5_mmT6_P12ihipStream_tbEUlT_E_NS1_11comp_targetILNS1_3genE9ELNS1_11target_archE1100ELNS1_3gpuE3ELNS1_3repE0EEENS1_30default_config_static_selectorELNS0_4arch9wavefront6targetE0EEEvS10_.has_indirect_call, 0
	.section	.AMDGPU.csdata,"",@progbits
; Kernel info:
; codeLenInByte = 0
; TotalNumSgprs: 0
; NumVgprs: 0
; ScratchSize: 0
; MemoryBound: 0
; FloatMode: 240
; IeeeMode: 1
; LDSByteSize: 0 bytes/workgroup (compile time only)
; SGPRBlocks: 0
; VGPRBlocks: 0
; NumSGPRsForWavesPerEU: 1
; NumVGPRsForWavesPerEU: 1
; Occupancy: 16
; WaveLimiterHint : 0
; COMPUTE_PGM_RSRC2:SCRATCH_EN: 0
; COMPUTE_PGM_RSRC2:USER_SGPR: 6
; COMPUTE_PGM_RSRC2:TRAP_HANDLER: 0
; COMPUTE_PGM_RSRC2:TGID_X_EN: 1
; COMPUTE_PGM_RSRC2:TGID_Y_EN: 0
; COMPUTE_PGM_RSRC2:TGID_Z_EN: 0
; COMPUTE_PGM_RSRC2:TIDIG_COMP_CNT: 0
	.section	.text._ZN7rocprim17ROCPRIM_400000_NS6detail17trampoline_kernelINS0_14default_configENS1_21merge_config_selectorINS0_5tupleIJjjEEENS0_10empty_typeEEEZNS1_10merge_implIS3_NS0_12zip_iteratorINS5_IJN6thrust23THRUST_200600_302600_NS6detail15normal_iteratorINSC_10device_ptrIKjEEEESI_EEEEESK_NSA_INS5_IJNSE_INSF_IjEEEESM_EEEEEPS7_SP_SP_NSC_11hip_rocprim7__merge17predicate_wrapperIjjNSC_4lessIjEEEEEE10hipError_tPvRmT0_T1_T2_T3_T4_T5_mmT6_P12ihipStream_tbEUlT_E_NS1_11comp_targetILNS1_3genE8ELNS1_11target_archE1030ELNS1_3gpuE2ELNS1_3repE0EEENS1_30default_config_static_selectorELNS0_4arch9wavefront6targetE0EEEvS10_,"axG",@progbits,_ZN7rocprim17ROCPRIM_400000_NS6detail17trampoline_kernelINS0_14default_configENS1_21merge_config_selectorINS0_5tupleIJjjEEENS0_10empty_typeEEEZNS1_10merge_implIS3_NS0_12zip_iteratorINS5_IJN6thrust23THRUST_200600_302600_NS6detail15normal_iteratorINSC_10device_ptrIKjEEEESI_EEEEESK_NSA_INS5_IJNSE_INSF_IjEEEESM_EEEEEPS7_SP_SP_NSC_11hip_rocprim7__merge17predicate_wrapperIjjNSC_4lessIjEEEEEE10hipError_tPvRmT0_T1_T2_T3_T4_T5_mmT6_P12ihipStream_tbEUlT_E_NS1_11comp_targetILNS1_3genE8ELNS1_11target_archE1030ELNS1_3gpuE2ELNS1_3repE0EEENS1_30default_config_static_selectorELNS0_4arch9wavefront6targetE0EEEvS10_,comdat
	.protected	_ZN7rocprim17ROCPRIM_400000_NS6detail17trampoline_kernelINS0_14default_configENS1_21merge_config_selectorINS0_5tupleIJjjEEENS0_10empty_typeEEEZNS1_10merge_implIS3_NS0_12zip_iteratorINS5_IJN6thrust23THRUST_200600_302600_NS6detail15normal_iteratorINSC_10device_ptrIKjEEEESI_EEEEESK_NSA_INS5_IJNSE_INSF_IjEEEESM_EEEEEPS7_SP_SP_NSC_11hip_rocprim7__merge17predicate_wrapperIjjNSC_4lessIjEEEEEE10hipError_tPvRmT0_T1_T2_T3_T4_T5_mmT6_P12ihipStream_tbEUlT_E_NS1_11comp_targetILNS1_3genE8ELNS1_11target_archE1030ELNS1_3gpuE2ELNS1_3repE0EEENS1_30default_config_static_selectorELNS0_4arch9wavefront6targetE0EEEvS10_ ; -- Begin function _ZN7rocprim17ROCPRIM_400000_NS6detail17trampoline_kernelINS0_14default_configENS1_21merge_config_selectorINS0_5tupleIJjjEEENS0_10empty_typeEEEZNS1_10merge_implIS3_NS0_12zip_iteratorINS5_IJN6thrust23THRUST_200600_302600_NS6detail15normal_iteratorINSC_10device_ptrIKjEEEESI_EEEEESK_NSA_INS5_IJNSE_INSF_IjEEEESM_EEEEEPS7_SP_SP_NSC_11hip_rocprim7__merge17predicate_wrapperIjjNSC_4lessIjEEEEEE10hipError_tPvRmT0_T1_T2_T3_T4_T5_mmT6_P12ihipStream_tbEUlT_E_NS1_11comp_targetILNS1_3genE8ELNS1_11target_archE1030ELNS1_3gpuE2ELNS1_3repE0EEENS1_30default_config_static_selectorELNS0_4arch9wavefront6targetE0EEEvS10_
	.globl	_ZN7rocprim17ROCPRIM_400000_NS6detail17trampoline_kernelINS0_14default_configENS1_21merge_config_selectorINS0_5tupleIJjjEEENS0_10empty_typeEEEZNS1_10merge_implIS3_NS0_12zip_iteratorINS5_IJN6thrust23THRUST_200600_302600_NS6detail15normal_iteratorINSC_10device_ptrIKjEEEESI_EEEEESK_NSA_INS5_IJNSE_INSF_IjEEEESM_EEEEEPS7_SP_SP_NSC_11hip_rocprim7__merge17predicate_wrapperIjjNSC_4lessIjEEEEEE10hipError_tPvRmT0_T1_T2_T3_T4_T5_mmT6_P12ihipStream_tbEUlT_E_NS1_11comp_targetILNS1_3genE8ELNS1_11target_archE1030ELNS1_3gpuE2ELNS1_3repE0EEENS1_30default_config_static_selectorELNS0_4arch9wavefront6targetE0EEEvS10_
	.p2align	8
	.type	_ZN7rocprim17ROCPRIM_400000_NS6detail17trampoline_kernelINS0_14default_configENS1_21merge_config_selectorINS0_5tupleIJjjEEENS0_10empty_typeEEEZNS1_10merge_implIS3_NS0_12zip_iteratorINS5_IJN6thrust23THRUST_200600_302600_NS6detail15normal_iteratorINSC_10device_ptrIKjEEEESI_EEEEESK_NSA_INS5_IJNSE_INSF_IjEEEESM_EEEEEPS7_SP_SP_NSC_11hip_rocprim7__merge17predicate_wrapperIjjNSC_4lessIjEEEEEE10hipError_tPvRmT0_T1_T2_T3_T4_T5_mmT6_P12ihipStream_tbEUlT_E_NS1_11comp_targetILNS1_3genE8ELNS1_11target_archE1030ELNS1_3gpuE2ELNS1_3repE0EEENS1_30default_config_static_selectorELNS0_4arch9wavefront6targetE0EEEvS10_,@function
_ZN7rocprim17ROCPRIM_400000_NS6detail17trampoline_kernelINS0_14default_configENS1_21merge_config_selectorINS0_5tupleIJjjEEENS0_10empty_typeEEEZNS1_10merge_implIS3_NS0_12zip_iteratorINS5_IJN6thrust23THRUST_200600_302600_NS6detail15normal_iteratorINSC_10device_ptrIKjEEEESI_EEEEESK_NSA_INS5_IJNSE_INSF_IjEEEESM_EEEEEPS7_SP_SP_NSC_11hip_rocprim7__merge17predicate_wrapperIjjNSC_4lessIjEEEEEE10hipError_tPvRmT0_T1_T2_T3_T4_T5_mmT6_P12ihipStream_tbEUlT_E_NS1_11comp_targetILNS1_3genE8ELNS1_11target_archE1030ELNS1_3gpuE2ELNS1_3repE0EEENS1_30default_config_static_selectorELNS0_4arch9wavefront6targetE0EEEvS10_: ; @_ZN7rocprim17ROCPRIM_400000_NS6detail17trampoline_kernelINS0_14default_configENS1_21merge_config_selectorINS0_5tupleIJjjEEENS0_10empty_typeEEEZNS1_10merge_implIS3_NS0_12zip_iteratorINS5_IJN6thrust23THRUST_200600_302600_NS6detail15normal_iteratorINSC_10device_ptrIKjEEEESI_EEEEESK_NSA_INS5_IJNSE_INSF_IjEEEESM_EEEEEPS7_SP_SP_NSC_11hip_rocprim7__merge17predicate_wrapperIjjNSC_4lessIjEEEEEE10hipError_tPvRmT0_T1_T2_T3_T4_T5_mmT6_P12ihipStream_tbEUlT_E_NS1_11comp_targetILNS1_3genE8ELNS1_11target_archE1030ELNS1_3gpuE2ELNS1_3repE0EEENS1_30default_config_static_selectorELNS0_4arch9wavefront6targetE0EEEvS10_
; %bb.0:
	s_clause 0x2
	s_load_dword s2, s[4:5], 0x38
	s_load_dword s0, s[4:5], 0x4c
	s_load_dwordx4 s[12:15], s[4:5], 0x28
	s_waitcnt lgkmcnt(0)
	v_cvt_f32_u32_e32 v1, s2
	s_and_b32 s3, s0, 0xffff
	s_add_u32 s0, s14, s12
	s_addc_u32 s1, s15, s13
	s_sub_i32 s8, 0, s2
	v_rcp_iflag_f32_e32 v1, v1
	s_add_i32 s9, s2, s0
	s_add_i32 s9, s9, -1
	v_mul_f32_e32 v1, 0x4f7ffffe, v1
	v_cvt_u32_f32_e32 v1, v1
	v_readfirstlane_b32 s7, v1
	v_mad_u64_u32 v[0:1], null, s6, s3, v[0:1]
	s_mul_i32 s8, s8, s7
	s_mul_hi_u32 s8, s7, s8
	s_add_i32 s7, s7, s8
	s_mul_hi_u32 s7, s9, s7
	s_mul_i32 s8, s7, s2
	s_sub_i32 s8, s9, s8
	s_add_i32 s9, s7, 1
	s_sub_i32 s10, s8, s2
	s_cmp_ge_u32 s8, s2
	s_cselect_b32 s3, s9, s7
	s_cselect_b32 s6, s10, s8
	s_add_i32 s7, s3, 1
	s_cmp_ge_u32 s6, s2
	s_cselect_b32 s3, s7, s3
	v_cmp_ge_u32_e32 vcc_lo, s3, v0
	s_and_saveexec_b32 s3, vcc_lo
	s_cbranch_execz .LBB141_6
; %bb.1:
	v_mul_lo_u32 v1, v0, s2
	v_mov_b32_e32 v2, 0
	s_load_dwordx4 s[8:11], s[4:5], 0x0
	v_cmp_gt_u64_e32 vcc_lo, s[0:1], v[1:2]
	v_cndmask_b32_e32 v6, s0, v1, vcc_lo
	v_cndmask_b32_e64 v7, s1, 0, vcc_lo
	v_sub_co_u32 v1, vcc_lo, v6, s14
	v_subrev_co_ci_u32_e64 v2, null, s15, v7, vcc_lo
	v_cmp_gt_u64_e64 s0, s[12:13], v[6:7]
	v_cmp_gt_u64_e32 vcc_lo, v[1:2], v[6:7]
	v_cndmask_b32_e64 v5, s13, v7, s0
	v_cndmask_b32_e64 v4, s12, v6, s0
	s_mov_b32 s0, exec_lo
	v_cndmask_b32_e64 v3, v2, 0, vcc_lo
	v_cndmask_b32_e64 v2, v1, 0, vcc_lo
	v_cmpx_lt_u64_e64 v[2:3], v[4:5]
	s_cbranch_execz .LBB141_5
; %bb.2:
	s_load_dwordx2 s[2:3], s[4:5], 0x18
	v_lshlrev_b64 v[6:7], 2, v[6:7]
	s_mov_b32 s1, 0
	s_waitcnt lgkmcnt(0)
	v_add_co_u32 v1, vcc_lo, s2, v6
	v_add_co_ci_u32_e64 v6, null, s3, v7, vcc_lo
	s_inst_prefetch 0x1
	.p2align	6
.LBB141_3:                              ; =>This Inner Loop Header: Depth=1
	v_add_co_u32 v7, vcc_lo, v4, v2
	v_add_co_ci_u32_e64 v8, null, v5, v3, vcc_lo
	v_lshrrev_b64 v[7:8], 1, v[7:8]
	v_lshlrev_b64 v[9:10], 2, v[7:8]
	v_xor_b32_e32 v11, -4, v9
	v_xor_b32_e32 v12, -1, v10
	v_add_co_u32 v9, vcc_lo, s10, v9
	v_add_co_ci_u32_e64 v10, null, s11, v10, vcc_lo
	v_add_co_u32 v11, vcc_lo, v1, v11
	v_add_co_ci_u32_e64 v12, null, v6, v12, vcc_lo
	global_load_dword v9, v[9:10], off
	global_load_dword v10, v[11:12], off
	v_add_co_u32 v11, vcc_lo, v7, 1
	v_add_co_ci_u32_e64 v12, null, 0, v8, vcc_lo
	s_waitcnt vmcnt(0)
	v_cmp_lt_u32_e32 vcc_lo, v10, v9
	v_cndmask_b32_e32 v5, v5, v8, vcc_lo
	v_cndmask_b32_e32 v4, v4, v7, vcc_lo
	;; [unrolled: 1-line block ×4, first 2 shown]
	v_cmp_ge_u64_e32 vcc_lo, v[2:3], v[4:5]
	s_or_b32 s1, vcc_lo, s1
	s_andn2_b32 exec_lo, exec_lo, s1
	s_cbranch_execnz .LBB141_3
; %bb.4:
	s_inst_prefetch 0x2
	s_or_b32 exec_lo, exec_lo, s1
.LBB141_5:
	s_or_b32 exec_lo, exec_lo, s0
	v_mov_b32_e32 v1, 0
	v_lshlrev_b64 v[0:1], 2, v[0:1]
	s_waitcnt lgkmcnt(0)
	v_add_co_u32 v0, vcc_lo, s8, v0
	v_add_co_ci_u32_e64 v1, null, s9, v1, vcc_lo
	global_store_dword v[0:1], v2, off
.LBB141_6:
	s_endpgm
	.section	.rodata,"a",@progbits
	.p2align	6, 0x0
	.amdhsa_kernel _ZN7rocprim17ROCPRIM_400000_NS6detail17trampoline_kernelINS0_14default_configENS1_21merge_config_selectorINS0_5tupleIJjjEEENS0_10empty_typeEEEZNS1_10merge_implIS3_NS0_12zip_iteratorINS5_IJN6thrust23THRUST_200600_302600_NS6detail15normal_iteratorINSC_10device_ptrIKjEEEESI_EEEEESK_NSA_INS5_IJNSE_INSF_IjEEEESM_EEEEEPS7_SP_SP_NSC_11hip_rocprim7__merge17predicate_wrapperIjjNSC_4lessIjEEEEEE10hipError_tPvRmT0_T1_T2_T3_T4_T5_mmT6_P12ihipStream_tbEUlT_E_NS1_11comp_targetILNS1_3genE8ELNS1_11target_archE1030ELNS1_3gpuE2ELNS1_3repE0EEENS1_30default_config_static_selectorELNS0_4arch9wavefront6targetE0EEEvS10_
		.amdhsa_group_segment_fixed_size 0
		.amdhsa_private_segment_fixed_size 0
		.amdhsa_kernarg_size 320
		.amdhsa_user_sgpr_count 6
		.amdhsa_user_sgpr_private_segment_buffer 1
		.amdhsa_user_sgpr_dispatch_ptr 0
		.amdhsa_user_sgpr_queue_ptr 0
		.amdhsa_user_sgpr_kernarg_segment_ptr 1
		.amdhsa_user_sgpr_dispatch_id 0
		.amdhsa_user_sgpr_flat_scratch_init 0
		.amdhsa_user_sgpr_private_segment_size 0
		.amdhsa_wavefront_size32 1
		.amdhsa_uses_dynamic_stack 0
		.amdhsa_system_sgpr_private_segment_wavefront_offset 0
		.amdhsa_system_sgpr_workgroup_id_x 1
		.amdhsa_system_sgpr_workgroup_id_y 0
		.amdhsa_system_sgpr_workgroup_id_z 0
		.amdhsa_system_sgpr_workgroup_info 0
		.amdhsa_system_vgpr_workitem_id 0
		.amdhsa_next_free_vgpr 13
		.amdhsa_next_free_sgpr 16
		.amdhsa_reserve_vcc 1
		.amdhsa_reserve_flat_scratch 0
		.amdhsa_float_round_mode_32 0
		.amdhsa_float_round_mode_16_64 0
		.amdhsa_float_denorm_mode_32 3
		.amdhsa_float_denorm_mode_16_64 3
		.amdhsa_dx10_clamp 1
		.amdhsa_ieee_mode 1
		.amdhsa_fp16_overflow 0
		.amdhsa_workgroup_processor_mode 1
		.amdhsa_memory_ordered 1
		.amdhsa_forward_progress 1
		.amdhsa_shared_vgpr_count 0
		.amdhsa_exception_fp_ieee_invalid_op 0
		.amdhsa_exception_fp_denorm_src 0
		.amdhsa_exception_fp_ieee_div_zero 0
		.amdhsa_exception_fp_ieee_overflow 0
		.amdhsa_exception_fp_ieee_underflow 0
		.amdhsa_exception_fp_ieee_inexact 0
		.amdhsa_exception_int_div_zero 0
	.end_amdhsa_kernel
	.section	.text._ZN7rocprim17ROCPRIM_400000_NS6detail17trampoline_kernelINS0_14default_configENS1_21merge_config_selectorINS0_5tupleIJjjEEENS0_10empty_typeEEEZNS1_10merge_implIS3_NS0_12zip_iteratorINS5_IJN6thrust23THRUST_200600_302600_NS6detail15normal_iteratorINSC_10device_ptrIKjEEEESI_EEEEESK_NSA_INS5_IJNSE_INSF_IjEEEESM_EEEEEPS7_SP_SP_NSC_11hip_rocprim7__merge17predicate_wrapperIjjNSC_4lessIjEEEEEE10hipError_tPvRmT0_T1_T2_T3_T4_T5_mmT6_P12ihipStream_tbEUlT_E_NS1_11comp_targetILNS1_3genE8ELNS1_11target_archE1030ELNS1_3gpuE2ELNS1_3repE0EEENS1_30default_config_static_selectorELNS0_4arch9wavefront6targetE0EEEvS10_,"axG",@progbits,_ZN7rocprim17ROCPRIM_400000_NS6detail17trampoline_kernelINS0_14default_configENS1_21merge_config_selectorINS0_5tupleIJjjEEENS0_10empty_typeEEEZNS1_10merge_implIS3_NS0_12zip_iteratorINS5_IJN6thrust23THRUST_200600_302600_NS6detail15normal_iteratorINSC_10device_ptrIKjEEEESI_EEEEESK_NSA_INS5_IJNSE_INSF_IjEEEESM_EEEEEPS7_SP_SP_NSC_11hip_rocprim7__merge17predicate_wrapperIjjNSC_4lessIjEEEEEE10hipError_tPvRmT0_T1_T2_T3_T4_T5_mmT6_P12ihipStream_tbEUlT_E_NS1_11comp_targetILNS1_3genE8ELNS1_11target_archE1030ELNS1_3gpuE2ELNS1_3repE0EEENS1_30default_config_static_selectorELNS0_4arch9wavefront6targetE0EEEvS10_,comdat
.Lfunc_end141:
	.size	_ZN7rocprim17ROCPRIM_400000_NS6detail17trampoline_kernelINS0_14default_configENS1_21merge_config_selectorINS0_5tupleIJjjEEENS0_10empty_typeEEEZNS1_10merge_implIS3_NS0_12zip_iteratorINS5_IJN6thrust23THRUST_200600_302600_NS6detail15normal_iteratorINSC_10device_ptrIKjEEEESI_EEEEESK_NSA_INS5_IJNSE_INSF_IjEEEESM_EEEEEPS7_SP_SP_NSC_11hip_rocprim7__merge17predicate_wrapperIjjNSC_4lessIjEEEEEE10hipError_tPvRmT0_T1_T2_T3_T4_T5_mmT6_P12ihipStream_tbEUlT_E_NS1_11comp_targetILNS1_3genE8ELNS1_11target_archE1030ELNS1_3gpuE2ELNS1_3repE0EEENS1_30default_config_static_selectorELNS0_4arch9wavefront6targetE0EEEvS10_, .Lfunc_end141-_ZN7rocprim17ROCPRIM_400000_NS6detail17trampoline_kernelINS0_14default_configENS1_21merge_config_selectorINS0_5tupleIJjjEEENS0_10empty_typeEEEZNS1_10merge_implIS3_NS0_12zip_iteratorINS5_IJN6thrust23THRUST_200600_302600_NS6detail15normal_iteratorINSC_10device_ptrIKjEEEESI_EEEEESK_NSA_INS5_IJNSE_INSF_IjEEEESM_EEEEEPS7_SP_SP_NSC_11hip_rocprim7__merge17predicate_wrapperIjjNSC_4lessIjEEEEEE10hipError_tPvRmT0_T1_T2_T3_T4_T5_mmT6_P12ihipStream_tbEUlT_E_NS1_11comp_targetILNS1_3genE8ELNS1_11target_archE1030ELNS1_3gpuE2ELNS1_3repE0EEENS1_30default_config_static_selectorELNS0_4arch9wavefront6targetE0EEEvS10_
                                        ; -- End function
	.set _ZN7rocprim17ROCPRIM_400000_NS6detail17trampoline_kernelINS0_14default_configENS1_21merge_config_selectorINS0_5tupleIJjjEEENS0_10empty_typeEEEZNS1_10merge_implIS3_NS0_12zip_iteratorINS5_IJN6thrust23THRUST_200600_302600_NS6detail15normal_iteratorINSC_10device_ptrIKjEEEESI_EEEEESK_NSA_INS5_IJNSE_INSF_IjEEEESM_EEEEEPS7_SP_SP_NSC_11hip_rocprim7__merge17predicate_wrapperIjjNSC_4lessIjEEEEEE10hipError_tPvRmT0_T1_T2_T3_T4_T5_mmT6_P12ihipStream_tbEUlT_E_NS1_11comp_targetILNS1_3genE8ELNS1_11target_archE1030ELNS1_3gpuE2ELNS1_3repE0EEENS1_30default_config_static_selectorELNS0_4arch9wavefront6targetE0EEEvS10_.num_vgpr, 13
	.set _ZN7rocprim17ROCPRIM_400000_NS6detail17trampoline_kernelINS0_14default_configENS1_21merge_config_selectorINS0_5tupleIJjjEEENS0_10empty_typeEEEZNS1_10merge_implIS3_NS0_12zip_iteratorINS5_IJN6thrust23THRUST_200600_302600_NS6detail15normal_iteratorINSC_10device_ptrIKjEEEESI_EEEEESK_NSA_INS5_IJNSE_INSF_IjEEEESM_EEEEEPS7_SP_SP_NSC_11hip_rocprim7__merge17predicate_wrapperIjjNSC_4lessIjEEEEEE10hipError_tPvRmT0_T1_T2_T3_T4_T5_mmT6_P12ihipStream_tbEUlT_E_NS1_11comp_targetILNS1_3genE8ELNS1_11target_archE1030ELNS1_3gpuE2ELNS1_3repE0EEENS1_30default_config_static_selectorELNS0_4arch9wavefront6targetE0EEEvS10_.num_agpr, 0
	.set _ZN7rocprim17ROCPRIM_400000_NS6detail17trampoline_kernelINS0_14default_configENS1_21merge_config_selectorINS0_5tupleIJjjEEENS0_10empty_typeEEEZNS1_10merge_implIS3_NS0_12zip_iteratorINS5_IJN6thrust23THRUST_200600_302600_NS6detail15normal_iteratorINSC_10device_ptrIKjEEEESI_EEEEESK_NSA_INS5_IJNSE_INSF_IjEEEESM_EEEEEPS7_SP_SP_NSC_11hip_rocprim7__merge17predicate_wrapperIjjNSC_4lessIjEEEEEE10hipError_tPvRmT0_T1_T2_T3_T4_T5_mmT6_P12ihipStream_tbEUlT_E_NS1_11comp_targetILNS1_3genE8ELNS1_11target_archE1030ELNS1_3gpuE2ELNS1_3repE0EEENS1_30default_config_static_selectorELNS0_4arch9wavefront6targetE0EEEvS10_.numbered_sgpr, 16
	.set _ZN7rocprim17ROCPRIM_400000_NS6detail17trampoline_kernelINS0_14default_configENS1_21merge_config_selectorINS0_5tupleIJjjEEENS0_10empty_typeEEEZNS1_10merge_implIS3_NS0_12zip_iteratorINS5_IJN6thrust23THRUST_200600_302600_NS6detail15normal_iteratorINSC_10device_ptrIKjEEEESI_EEEEESK_NSA_INS5_IJNSE_INSF_IjEEEESM_EEEEEPS7_SP_SP_NSC_11hip_rocprim7__merge17predicate_wrapperIjjNSC_4lessIjEEEEEE10hipError_tPvRmT0_T1_T2_T3_T4_T5_mmT6_P12ihipStream_tbEUlT_E_NS1_11comp_targetILNS1_3genE8ELNS1_11target_archE1030ELNS1_3gpuE2ELNS1_3repE0EEENS1_30default_config_static_selectorELNS0_4arch9wavefront6targetE0EEEvS10_.num_named_barrier, 0
	.set _ZN7rocprim17ROCPRIM_400000_NS6detail17trampoline_kernelINS0_14default_configENS1_21merge_config_selectorINS0_5tupleIJjjEEENS0_10empty_typeEEEZNS1_10merge_implIS3_NS0_12zip_iteratorINS5_IJN6thrust23THRUST_200600_302600_NS6detail15normal_iteratorINSC_10device_ptrIKjEEEESI_EEEEESK_NSA_INS5_IJNSE_INSF_IjEEEESM_EEEEEPS7_SP_SP_NSC_11hip_rocprim7__merge17predicate_wrapperIjjNSC_4lessIjEEEEEE10hipError_tPvRmT0_T1_T2_T3_T4_T5_mmT6_P12ihipStream_tbEUlT_E_NS1_11comp_targetILNS1_3genE8ELNS1_11target_archE1030ELNS1_3gpuE2ELNS1_3repE0EEENS1_30default_config_static_selectorELNS0_4arch9wavefront6targetE0EEEvS10_.private_seg_size, 0
	.set _ZN7rocprim17ROCPRIM_400000_NS6detail17trampoline_kernelINS0_14default_configENS1_21merge_config_selectorINS0_5tupleIJjjEEENS0_10empty_typeEEEZNS1_10merge_implIS3_NS0_12zip_iteratorINS5_IJN6thrust23THRUST_200600_302600_NS6detail15normal_iteratorINSC_10device_ptrIKjEEEESI_EEEEESK_NSA_INS5_IJNSE_INSF_IjEEEESM_EEEEEPS7_SP_SP_NSC_11hip_rocprim7__merge17predicate_wrapperIjjNSC_4lessIjEEEEEE10hipError_tPvRmT0_T1_T2_T3_T4_T5_mmT6_P12ihipStream_tbEUlT_E_NS1_11comp_targetILNS1_3genE8ELNS1_11target_archE1030ELNS1_3gpuE2ELNS1_3repE0EEENS1_30default_config_static_selectorELNS0_4arch9wavefront6targetE0EEEvS10_.uses_vcc, 1
	.set _ZN7rocprim17ROCPRIM_400000_NS6detail17trampoline_kernelINS0_14default_configENS1_21merge_config_selectorINS0_5tupleIJjjEEENS0_10empty_typeEEEZNS1_10merge_implIS3_NS0_12zip_iteratorINS5_IJN6thrust23THRUST_200600_302600_NS6detail15normal_iteratorINSC_10device_ptrIKjEEEESI_EEEEESK_NSA_INS5_IJNSE_INSF_IjEEEESM_EEEEEPS7_SP_SP_NSC_11hip_rocprim7__merge17predicate_wrapperIjjNSC_4lessIjEEEEEE10hipError_tPvRmT0_T1_T2_T3_T4_T5_mmT6_P12ihipStream_tbEUlT_E_NS1_11comp_targetILNS1_3genE8ELNS1_11target_archE1030ELNS1_3gpuE2ELNS1_3repE0EEENS1_30default_config_static_selectorELNS0_4arch9wavefront6targetE0EEEvS10_.uses_flat_scratch, 0
	.set _ZN7rocprim17ROCPRIM_400000_NS6detail17trampoline_kernelINS0_14default_configENS1_21merge_config_selectorINS0_5tupleIJjjEEENS0_10empty_typeEEEZNS1_10merge_implIS3_NS0_12zip_iteratorINS5_IJN6thrust23THRUST_200600_302600_NS6detail15normal_iteratorINSC_10device_ptrIKjEEEESI_EEEEESK_NSA_INS5_IJNSE_INSF_IjEEEESM_EEEEEPS7_SP_SP_NSC_11hip_rocprim7__merge17predicate_wrapperIjjNSC_4lessIjEEEEEE10hipError_tPvRmT0_T1_T2_T3_T4_T5_mmT6_P12ihipStream_tbEUlT_E_NS1_11comp_targetILNS1_3genE8ELNS1_11target_archE1030ELNS1_3gpuE2ELNS1_3repE0EEENS1_30default_config_static_selectorELNS0_4arch9wavefront6targetE0EEEvS10_.has_dyn_sized_stack, 0
	.set _ZN7rocprim17ROCPRIM_400000_NS6detail17trampoline_kernelINS0_14default_configENS1_21merge_config_selectorINS0_5tupleIJjjEEENS0_10empty_typeEEEZNS1_10merge_implIS3_NS0_12zip_iteratorINS5_IJN6thrust23THRUST_200600_302600_NS6detail15normal_iteratorINSC_10device_ptrIKjEEEESI_EEEEESK_NSA_INS5_IJNSE_INSF_IjEEEESM_EEEEEPS7_SP_SP_NSC_11hip_rocprim7__merge17predicate_wrapperIjjNSC_4lessIjEEEEEE10hipError_tPvRmT0_T1_T2_T3_T4_T5_mmT6_P12ihipStream_tbEUlT_E_NS1_11comp_targetILNS1_3genE8ELNS1_11target_archE1030ELNS1_3gpuE2ELNS1_3repE0EEENS1_30default_config_static_selectorELNS0_4arch9wavefront6targetE0EEEvS10_.has_recursion, 0
	.set _ZN7rocprim17ROCPRIM_400000_NS6detail17trampoline_kernelINS0_14default_configENS1_21merge_config_selectorINS0_5tupleIJjjEEENS0_10empty_typeEEEZNS1_10merge_implIS3_NS0_12zip_iteratorINS5_IJN6thrust23THRUST_200600_302600_NS6detail15normal_iteratorINSC_10device_ptrIKjEEEESI_EEEEESK_NSA_INS5_IJNSE_INSF_IjEEEESM_EEEEEPS7_SP_SP_NSC_11hip_rocprim7__merge17predicate_wrapperIjjNSC_4lessIjEEEEEE10hipError_tPvRmT0_T1_T2_T3_T4_T5_mmT6_P12ihipStream_tbEUlT_E_NS1_11comp_targetILNS1_3genE8ELNS1_11target_archE1030ELNS1_3gpuE2ELNS1_3repE0EEENS1_30default_config_static_selectorELNS0_4arch9wavefront6targetE0EEEvS10_.has_indirect_call, 0
	.section	.AMDGPU.csdata,"",@progbits
; Kernel info:
; codeLenInByte = 520
; TotalNumSgprs: 18
; NumVgprs: 13
; ScratchSize: 0
; MemoryBound: 0
; FloatMode: 240
; IeeeMode: 1
; LDSByteSize: 0 bytes/workgroup (compile time only)
; SGPRBlocks: 0
; VGPRBlocks: 1
; NumSGPRsForWavesPerEU: 18
; NumVGPRsForWavesPerEU: 13
; Occupancy: 16
; WaveLimiterHint : 0
; COMPUTE_PGM_RSRC2:SCRATCH_EN: 0
; COMPUTE_PGM_RSRC2:USER_SGPR: 6
; COMPUTE_PGM_RSRC2:TRAP_HANDLER: 0
; COMPUTE_PGM_RSRC2:TGID_X_EN: 1
; COMPUTE_PGM_RSRC2:TGID_Y_EN: 0
; COMPUTE_PGM_RSRC2:TGID_Z_EN: 0
; COMPUTE_PGM_RSRC2:TIDIG_COMP_CNT: 0
	.section	.text._ZN7rocprim17ROCPRIM_400000_NS6detail17trampoline_kernelINS0_14default_configENS1_21merge_config_selectorINS0_5tupleIJjjEEENS0_10empty_typeEEEZNS1_10merge_implIS3_NS0_12zip_iteratorINS5_IJN6thrust23THRUST_200600_302600_NS6detail15normal_iteratorINSC_10device_ptrIKjEEEESI_EEEEESK_NSA_INS5_IJNSE_INSF_IjEEEESM_EEEEEPS7_SP_SP_NSC_11hip_rocprim7__merge17predicate_wrapperIjjNSC_4lessIjEEEEEE10hipError_tPvRmT0_T1_T2_T3_T4_T5_mmT6_P12ihipStream_tbEUlT_E0_NS1_11comp_targetILNS1_3genE0ELNS1_11target_archE4294967295ELNS1_3gpuE0ELNS1_3repE0EEENS1_30default_config_static_selectorELNS0_4arch9wavefront6targetE0EEEvS10_,"axG",@progbits,_ZN7rocprim17ROCPRIM_400000_NS6detail17trampoline_kernelINS0_14default_configENS1_21merge_config_selectorINS0_5tupleIJjjEEENS0_10empty_typeEEEZNS1_10merge_implIS3_NS0_12zip_iteratorINS5_IJN6thrust23THRUST_200600_302600_NS6detail15normal_iteratorINSC_10device_ptrIKjEEEESI_EEEEESK_NSA_INS5_IJNSE_INSF_IjEEEESM_EEEEEPS7_SP_SP_NSC_11hip_rocprim7__merge17predicate_wrapperIjjNSC_4lessIjEEEEEE10hipError_tPvRmT0_T1_T2_T3_T4_T5_mmT6_P12ihipStream_tbEUlT_E0_NS1_11comp_targetILNS1_3genE0ELNS1_11target_archE4294967295ELNS1_3gpuE0ELNS1_3repE0EEENS1_30default_config_static_selectorELNS0_4arch9wavefront6targetE0EEEvS10_,comdat
	.protected	_ZN7rocprim17ROCPRIM_400000_NS6detail17trampoline_kernelINS0_14default_configENS1_21merge_config_selectorINS0_5tupleIJjjEEENS0_10empty_typeEEEZNS1_10merge_implIS3_NS0_12zip_iteratorINS5_IJN6thrust23THRUST_200600_302600_NS6detail15normal_iteratorINSC_10device_ptrIKjEEEESI_EEEEESK_NSA_INS5_IJNSE_INSF_IjEEEESM_EEEEEPS7_SP_SP_NSC_11hip_rocprim7__merge17predicate_wrapperIjjNSC_4lessIjEEEEEE10hipError_tPvRmT0_T1_T2_T3_T4_T5_mmT6_P12ihipStream_tbEUlT_E0_NS1_11comp_targetILNS1_3genE0ELNS1_11target_archE4294967295ELNS1_3gpuE0ELNS1_3repE0EEENS1_30default_config_static_selectorELNS0_4arch9wavefront6targetE0EEEvS10_ ; -- Begin function _ZN7rocprim17ROCPRIM_400000_NS6detail17trampoline_kernelINS0_14default_configENS1_21merge_config_selectorINS0_5tupleIJjjEEENS0_10empty_typeEEEZNS1_10merge_implIS3_NS0_12zip_iteratorINS5_IJN6thrust23THRUST_200600_302600_NS6detail15normal_iteratorINSC_10device_ptrIKjEEEESI_EEEEESK_NSA_INS5_IJNSE_INSF_IjEEEESM_EEEEEPS7_SP_SP_NSC_11hip_rocprim7__merge17predicate_wrapperIjjNSC_4lessIjEEEEEE10hipError_tPvRmT0_T1_T2_T3_T4_T5_mmT6_P12ihipStream_tbEUlT_E0_NS1_11comp_targetILNS1_3genE0ELNS1_11target_archE4294967295ELNS1_3gpuE0ELNS1_3repE0EEENS1_30default_config_static_selectorELNS0_4arch9wavefront6targetE0EEEvS10_
	.globl	_ZN7rocprim17ROCPRIM_400000_NS6detail17trampoline_kernelINS0_14default_configENS1_21merge_config_selectorINS0_5tupleIJjjEEENS0_10empty_typeEEEZNS1_10merge_implIS3_NS0_12zip_iteratorINS5_IJN6thrust23THRUST_200600_302600_NS6detail15normal_iteratorINSC_10device_ptrIKjEEEESI_EEEEESK_NSA_INS5_IJNSE_INSF_IjEEEESM_EEEEEPS7_SP_SP_NSC_11hip_rocprim7__merge17predicate_wrapperIjjNSC_4lessIjEEEEEE10hipError_tPvRmT0_T1_T2_T3_T4_T5_mmT6_P12ihipStream_tbEUlT_E0_NS1_11comp_targetILNS1_3genE0ELNS1_11target_archE4294967295ELNS1_3gpuE0ELNS1_3repE0EEENS1_30default_config_static_selectorELNS0_4arch9wavefront6targetE0EEEvS10_
	.p2align	8
	.type	_ZN7rocprim17ROCPRIM_400000_NS6detail17trampoline_kernelINS0_14default_configENS1_21merge_config_selectorINS0_5tupleIJjjEEENS0_10empty_typeEEEZNS1_10merge_implIS3_NS0_12zip_iteratorINS5_IJN6thrust23THRUST_200600_302600_NS6detail15normal_iteratorINSC_10device_ptrIKjEEEESI_EEEEESK_NSA_INS5_IJNSE_INSF_IjEEEESM_EEEEEPS7_SP_SP_NSC_11hip_rocprim7__merge17predicate_wrapperIjjNSC_4lessIjEEEEEE10hipError_tPvRmT0_T1_T2_T3_T4_T5_mmT6_P12ihipStream_tbEUlT_E0_NS1_11comp_targetILNS1_3genE0ELNS1_11target_archE4294967295ELNS1_3gpuE0ELNS1_3repE0EEENS1_30default_config_static_selectorELNS0_4arch9wavefront6targetE0EEEvS10_,@function
_ZN7rocprim17ROCPRIM_400000_NS6detail17trampoline_kernelINS0_14default_configENS1_21merge_config_selectorINS0_5tupleIJjjEEENS0_10empty_typeEEEZNS1_10merge_implIS3_NS0_12zip_iteratorINS5_IJN6thrust23THRUST_200600_302600_NS6detail15normal_iteratorINSC_10device_ptrIKjEEEESI_EEEEESK_NSA_INS5_IJNSE_INSF_IjEEEESM_EEEEEPS7_SP_SP_NSC_11hip_rocprim7__merge17predicate_wrapperIjjNSC_4lessIjEEEEEE10hipError_tPvRmT0_T1_T2_T3_T4_T5_mmT6_P12ihipStream_tbEUlT_E0_NS1_11comp_targetILNS1_3genE0ELNS1_11target_archE4294967295ELNS1_3gpuE0ELNS1_3repE0EEENS1_30default_config_static_selectorELNS0_4arch9wavefront6targetE0EEEvS10_: ; @_ZN7rocprim17ROCPRIM_400000_NS6detail17trampoline_kernelINS0_14default_configENS1_21merge_config_selectorINS0_5tupleIJjjEEENS0_10empty_typeEEEZNS1_10merge_implIS3_NS0_12zip_iteratorINS5_IJN6thrust23THRUST_200600_302600_NS6detail15normal_iteratorINSC_10device_ptrIKjEEEESI_EEEEESK_NSA_INS5_IJNSE_INSF_IjEEEESM_EEEEEPS7_SP_SP_NSC_11hip_rocprim7__merge17predicate_wrapperIjjNSC_4lessIjEEEEEE10hipError_tPvRmT0_T1_T2_T3_T4_T5_mmT6_P12ihipStream_tbEUlT_E0_NS1_11comp_targetILNS1_3genE0ELNS1_11target_archE4294967295ELNS1_3gpuE0ELNS1_3repE0EEENS1_30default_config_static_selectorELNS0_4arch9wavefront6targetE0EEEvS10_
; %bb.0:
	.section	.rodata,"a",@progbits
	.p2align	6, 0x0
	.amdhsa_kernel _ZN7rocprim17ROCPRIM_400000_NS6detail17trampoline_kernelINS0_14default_configENS1_21merge_config_selectorINS0_5tupleIJjjEEENS0_10empty_typeEEEZNS1_10merge_implIS3_NS0_12zip_iteratorINS5_IJN6thrust23THRUST_200600_302600_NS6detail15normal_iteratorINSC_10device_ptrIKjEEEESI_EEEEESK_NSA_INS5_IJNSE_INSF_IjEEEESM_EEEEEPS7_SP_SP_NSC_11hip_rocprim7__merge17predicate_wrapperIjjNSC_4lessIjEEEEEE10hipError_tPvRmT0_T1_T2_T3_T4_T5_mmT6_P12ihipStream_tbEUlT_E0_NS1_11comp_targetILNS1_3genE0ELNS1_11target_archE4294967295ELNS1_3gpuE0ELNS1_3repE0EEENS1_30default_config_static_selectorELNS0_4arch9wavefront6targetE0EEEvS10_
		.amdhsa_group_segment_fixed_size 0
		.amdhsa_private_segment_fixed_size 0
		.amdhsa_kernarg_size 112
		.amdhsa_user_sgpr_count 6
		.amdhsa_user_sgpr_private_segment_buffer 1
		.amdhsa_user_sgpr_dispatch_ptr 0
		.amdhsa_user_sgpr_queue_ptr 0
		.amdhsa_user_sgpr_kernarg_segment_ptr 1
		.amdhsa_user_sgpr_dispatch_id 0
		.amdhsa_user_sgpr_flat_scratch_init 0
		.amdhsa_user_sgpr_private_segment_size 0
		.amdhsa_wavefront_size32 1
		.amdhsa_uses_dynamic_stack 0
		.amdhsa_system_sgpr_private_segment_wavefront_offset 0
		.amdhsa_system_sgpr_workgroup_id_x 1
		.amdhsa_system_sgpr_workgroup_id_y 0
		.amdhsa_system_sgpr_workgroup_id_z 0
		.amdhsa_system_sgpr_workgroup_info 0
		.amdhsa_system_vgpr_workitem_id 0
		.amdhsa_next_free_vgpr 1
		.amdhsa_next_free_sgpr 1
		.amdhsa_reserve_vcc 0
		.amdhsa_reserve_flat_scratch 0
		.amdhsa_float_round_mode_32 0
		.amdhsa_float_round_mode_16_64 0
		.amdhsa_float_denorm_mode_32 3
		.amdhsa_float_denorm_mode_16_64 3
		.amdhsa_dx10_clamp 1
		.amdhsa_ieee_mode 1
		.amdhsa_fp16_overflow 0
		.amdhsa_workgroup_processor_mode 1
		.amdhsa_memory_ordered 1
		.amdhsa_forward_progress 1
		.amdhsa_shared_vgpr_count 0
		.amdhsa_exception_fp_ieee_invalid_op 0
		.amdhsa_exception_fp_denorm_src 0
		.amdhsa_exception_fp_ieee_div_zero 0
		.amdhsa_exception_fp_ieee_overflow 0
		.amdhsa_exception_fp_ieee_underflow 0
		.amdhsa_exception_fp_ieee_inexact 0
		.amdhsa_exception_int_div_zero 0
	.end_amdhsa_kernel
	.section	.text._ZN7rocprim17ROCPRIM_400000_NS6detail17trampoline_kernelINS0_14default_configENS1_21merge_config_selectorINS0_5tupleIJjjEEENS0_10empty_typeEEEZNS1_10merge_implIS3_NS0_12zip_iteratorINS5_IJN6thrust23THRUST_200600_302600_NS6detail15normal_iteratorINSC_10device_ptrIKjEEEESI_EEEEESK_NSA_INS5_IJNSE_INSF_IjEEEESM_EEEEEPS7_SP_SP_NSC_11hip_rocprim7__merge17predicate_wrapperIjjNSC_4lessIjEEEEEE10hipError_tPvRmT0_T1_T2_T3_T4_T5_mmT6_P12ihipStream_tbEUlT_E0_NS1_11comp_targetILNS1_3genE0ELNS1_11target_archE4294967295ELNS1_3gpuE0ELNS1_3repE0EEENS1_30default_config_static_selectorELNS0_4arch9wavefront6targetE0EEEvS10_,"axG",@progbits,_ZN7rocprim17ROCPRIM_400000_NS6detail17trampoline_kernelINS0_14default_configENS1_21merge_config_selectorINS0_5tupleIJjjEEENS0_10empty_typeEEEZNS1_10merge_implIS3_NS0_12zip_iteratorINS5_IJN6thrust23THRUST_200600_302600_NS6detail15normal_iteratorINSC_10device_ptrIKjEEEESI_EEEEESK_NSA_INS5_IJNSE_INSF_IjEEEESM_EEEEEPS7_SP_SP_NSC_11hip_rocprim7__merge17predicate_wrapperIjjNSC_4lessIjEEEEEE10hipError_tPvRmT0_T1_T2_T3_T4_T5_mmT6_P12ihipStream_tbEUlT_E0_NS1_11comp_targetILNS1_3genE0ELNS1_11target_archE4294967295ELNS1_3gpuE0ELNS1_3repE0EEENS1_30default_config_static_selectorELNS0_4arch9wavefront6targetE0EEEvS10_,comdat
.Lfunc_end142:
	.size	_ZN7rocprim17ROCPRIM_400000_NS6detail17trampoline_kernelINS0_14default_configENS1_21merge_config_selectorINS0_5tupleIJjjEEENS0_10empty_typeEEEZNS1_10merge_implIS3_NS0_12zip_iteratorINS5_IJN6thrust23THRUST_200600_302600_NS6detail15normal_iteratorINSC_10device_ptrIKjEEEESI_EEEEESK_NSA_INS5_IJNSE_INSF_IjEEEESM_EEEEEPS7_SP_SP_NSC_11hip_rocprim7__merge17predicate_wrapperIjjNSC_4lessIjEEEEEE10hipError_tPvRmT0_T1_T2_T3_T4_T5_mmT6_P12ihipStream_tbEUlT_E0_NS1_11comp_targetILNS1_3genE0ELNS1_11target_archE4294967295ELNS1_3gpuE0ELNS1_3repE0EEENS1_30default_config_static_selectorELNS0_4arch9wavefront6targetE0EEEvS10_, .Lfunc_end142-_ZN7rocprim17ROCPRIM_400000_NS6detail17trampoline_kernelINS0_14default_configENS1_21merge_config_selectorINS0_5tupleIJjjEEENS0_10empty_typeEEEZNS1_10merge_implIS3_NS0_12zip_iteratorINS5_IJN6thrust23THRUST_200600_302600_NS6detail15normal_iteratorINSC_10device_ptrIKjEEEESI_EEEEESK_NSA_INS5_IJNSE_INSF_IjEEEESM_EEEEEPS7_SP_SP_NSC_11hip_rocprim7__merge17predicate_wrapperIjjNSC_4lessIjEEEEEE10hipError_tPvRmT0_T1_T2_T3_T4_T5_mmT6_P12ihipStream_tbEUlT_E0_NS1_11comp_targetILNS1_3genE0ELNS1_11target_archE4294967295ELNS1_3gpuE0ELNS1_3repE0EEENS1_30default_config_static_selectorELNS0_4arch9wavefront6targetE0EEEvS10_
                                        ; -- End function
	.set _ZN7rocprim17ROCPRIM_400000_NS6detail17trampoline_kernelINS0_14default_configENS1_21merge_config_selectorINS0_5tupleIJjjEEENS0_10empty_typeEEEZNS1_10merge_implIS3_NS0_12zip_iteratorINS5_IJN6thrust23THRUST_200600_302600_NS6detail15normal_iteratorINSC_10device_ptrIKjEEEESI_EEEEESK_NSA_INS5_IJNSE_INSF_IjEEEESM_EEEEEPS7_SP_SP_NSC_11hip_rocprim7__merge17predicate_wrapperIjjNSC_4lessIjEEEEEE10hipError_tPvRmT0_T1_T2_T3_T4_T5_mmT6_P12ihipStream_tbEUlT_E0_NS1_11comp_targetILNS1_3genE0ELNS1_11target_archE4294967295ELNS1_3gpuE0ELNS1_3repE0EEENS1_30default_config_static_selectorELNS0_4arch9wavefront6targetE0EEEvS10_.num_vgpr, 0
	.set _ZN7rocprim17ROCPRIM_400000_NS6detail17trampoline_kernelINS0_14default_configENS1_21merge_config_selectorINS0_5tupleIJjjEEENS0_10empty_typeEEEZNS1_10merge_implIS3_NS0_12zip_iteratorINS5_IJN6thrust23THRUST_200600_302600_NS6detail15normal_iteratorINSC_10device_ptrIKjEEEESI_EEEEESK_NSA_INS5_IJNSE_INSF_IjEEEESM_EEEEEPS7_SP_SP_NSC_11hip_rocprim7__merge17predicate_wrapperIjjNSC_4lessIjEEEEEE10hipError_tPvRmT0_T1_T2_T3_T4_T5_mmT6_P12ihipStream_tbEUlT_E0_NS1_11comp_targetILNS1_3genE0ELNS1_11target_archE4294967295ELNS1_3gpuE0ELNS1_3repE0EEENS1_30default_config_static_selectorELNS0_4arch9wavefront6targetE0EEEvS10_.num_agpr, 0
	.set _ZN7rocprim17ROCPRIM_400000_NS6detail17trampoline_kernelINS0_14default_configENS1_21merge_config_selectorINS0_5tupleIJjjEEENS0_10empty_typeEEEZNS1_10merge_implIS3_NS0_12zip_iteratorINS5_IJN6thrust23THRUST_200600_302600_NS6detail15normal_iteratorINSC_10device_ptrIKjEEEESI_EEEEESK_NSA_INS5_IJNSE_INSF_IjEEEESM_EEEEEPS7_SP_SP_NSC_11hip_rocprim7__merge17predicate_wrapperIjjNSC_4lessIjEEEEEE10hipError_tPvRmT0_T1_T2_T3_T4_T5_mmT6_P12ihipStream_tbEUlT_E0_NS1_11comp_targetILNS1_3genE0ELNS1_11target_archE4294967295ELNS1_3gpuE0ELNS1_3repE0EEENS1_30default_config_static_selectorELNS0_4arch9wavefront6targetE0EEEvS10_.numbered_sgpr, 0
	.set _ZN7rocprim17ROCPRIM_400000_NS6detail17trampoline_kernelINS0_14default_configENS1_21merge_config_selectorINS0_5tupleIJjjEEENS0_10empty_typeEEEZNS1_10merge_implIS3_NS0_12zip_iteratorINS5_IJN6thrust23THRUST_200600_302600_NS6detail15normal_iteratorINSC_10device_ptrIKjEEEESI_EEEEESK_NSA_INS5_IJNSE_INSF_IjEEEESM_EEEEEPS7_SP_SP_NSC_11hip_rocprim7__merge17predicate_wrapperIjjNSC_4lessIjEEEEEE10hipError_tPvRmT0_T1_T2_T3_T4_T5_mmT6_P12ihipStream_tbEUlT_E0_NS1_11comp_targetILNS1_3genE0ELNS1_11target_archE4294967295ELNS1_3gpuE0ELNS1_3repE0EEENS1_30default_config_static_selectorELNS0_4arch9wavefront6targetE0EEEvS10_.num_named_barrier, 0
	.set _ZN7rocprim17ROCPRIM_400000_NS6detail17trampoline_kernelINS0_14default_configENS1_21merge_config_selectorINS0_5tupleIJjjEEENS0_10empty_typeEEEZNS1_10merge_implIS3_NS0_12zip_iteratorINS5_IJN6thrust23THRUST_200600_302600_NS6detail15normal_iteratorINSC_10device_ptrIKjEEEESI_EEEEESK_NSA_INS5_IJNSE_INSF_IjEEEESM_EEEEEPS7_SP_SP_NSC_11hip_rocprim7__merge17predicate_wrapperIjjNSC_4lessIjEEEEEE10hipError_tPvRmT0_T1_T2_T3_T4_T5_mmT6_P12ihipStream_tbEUlT_E0_NS1_11comp_targetILNS1_3genE0ELNS1_11target_archE4294967295ELNS1_3gpuE0ELNS1_3repE0EEENS1_30default_config_static_selectorELNS0_4arch9wavefront6targetE0EEEvS10_.private_seg_size, 0
	.set _ZN7rocprim17ROCPRIM_400000_NS6detail17trampoline_kernelINS0_14default_configENS1_21merge_config_selectorINS0_5tupleIJjjEEENS0_10empty_typeEEEZNS1_10merge_implIS3_NS0_12zip_iteratorINS5_IJN6thrust23THRUST_200600_302600_NS6detail15normal_iteratorINSC_10device_ptrIKjEEEESI_EEEEESK_NSA_INS5_IJNSE_INSF_IjEEEESM_EEEEEPS7_SP_SP_NSC_11hip_rocprim7__merge17predicate_wrapperIjjNSC_4lessIjEEEEEE10hipError_tPvRmT0_T1_T2_T3_T4_T5_mmT6_P12ihipStream_tbEUlT_E0_NS1_11comp_targetILNS1_3genE0ELNS1_11target_archE4294967295ELNS1_3gpuE0ELNS1_3repE0EEENS1_30default_config_static_selectorELNS0_4arch9wavefront6targetE0EEEvS10_.uses_vcc, 0
	.set _ZN7rocprim17ROCPRIM_400000_NS6detail17trampoline_kernelINS0_14default_configENS1_21merge_config_selectorINS0_5tupleIJjjEEENS0_10empty_typeEEEZNS1_10merge_implIS3_NS0_12zip_iteratorINS5_IJN6thrust23THRUST_200600_302600_NS6detail15normal_iteratorINSC_10device_ptrIKjEEEESI_EEEEESK_NSA_INS5_IJNSE_INSF_IjEEEESM_EEEEEPS7_SP_SP_NSC_11hip_rocprim7__merge17predicate_wrapperIjjNSC_4lessIjEEEEEE10hipError_tPvRmT0_T1_T2_T3_T4_T5_mmT6_P12ihipStream_tbEUlT_E0_NS1_11comp_targetILNS1_3genE0ELNS1_11target_archE4294967295ELNS1_3gpuE0ELNS1_3repE0EEENS1_30default_config_static_selectorELNS0_4arch9wavefront6targetE0EEEvS10_.uses_flat_scratch, 0
	.set _ZN7rocprim17ROCPRIM_400000_NS6detail17trampoline_kernelINS0_14default_configENS1_21merge_config_selectorINS0_5tupleIJjjEEENS0_10empty_typeEEEZNS1_10merge_implIS3_NS0_12zip_iteratorINS5_IJN6thrust23THRUST_200600_302600_NS6detail15normal_iteratorINSC_10device_ptrIKjEEEESI_EEEEESK_NSA_INS5_IJNSE_INSF_IjEEEESM_EEEEEPS7_SP_SP_NSC_11hip_rocprim7__merge17predicate_wrapperIjjNSC_4lessIjEEEEEE10hipError_tPvRmT0_T1_T2_T3_T4_T5_mmT6_P12ihipStream_tbEUlT_E0_NS1_11comp_targetILNS1_3genE0ELNS1_11target_archE4294967295ELNS1_3gpuE0ELNS1_3repE0EEENS1_30default_config_static_selectorELNS0_4arch9wavefront6targetE0EEEvS10_.has_dyn_sized_stack, 0
	.set _ZN7rocprim17ROCPRIM_400000_NS6detail17trampoline_kernelINS0_14default_configENS1_21merge_config_selectorINS0_5tupleIJjjEEENS0_10empty_typeEEEZNS1_10merge_implIS3_NS0_12zip_iteratorINS5_IJN6thrust23THRUST_200600_302600_NS6detail15normal_iteratorINSC_10device_ptrIKjEEEESI_EEEEESK_NSA_INS5_IJNSE_INSF_IjEEEESM_EEEEEPS7_SP_SP_NSC_11hip_rocprim7__merge17predicate_wrapperIjjNSC_4lessIjEEEEEE10hipError_tPvRmT0_T1_T2_T3_T4_T5_mmT6_P12ihipStream_tbEUlT_E0_NS1_11comp_targetILNS1_3genE0ELNS1_11target_archE4294967295ELNS1_3gpuE0ELNS1_3repE0EEENS1_30default_config_static_selectorELNS0_4arch9wavefront6targetE0EEEvS10_.has_recursion, 0
	.set _ZN7rocprim17ROCPRIM_400000_NS6detail17trampoline_kernelINS0_14default_configENS1_21merge_config_selectorINS0_5tupleIJjjEEENS0_10empty_typeEEEZNS1_10merge_implIS3_NS0_12zip_iteratorINS5_IJN6thrust23THRUST_200600_302600_NS6detail15normal_iteratorINSC_10device_ptrIKjEEEESI_EEEEESK_NSA_INS5_IJNSE_INSF_IjEEEESM_EEEEEPS7_SP_SP_NSC_11hip_rocprim7__merge17predicate_wrapperIjjNSC_4lessIjEEEEEE10hipError_tPvRmT0_T1_T2_T3_T4_T5_mmT6_P12ihipStream_tbEUlT_E0_NS1_11comp_targetILNS1_3genE0ELNS1_11target_archE4294967295ELNS1_3gpuE0ELNS1_3repE0EEENS1_30default_config_static_selectorELNS0_4arch9wavefront6targetE0EEEvS10_.has_indirect_call, 0
	.section	.AMDGPU.csdata,"",@progbits
; Kernel info:
; codeLenInByte = 0
; TotalNumSgprs: 0
; NumVgprs: 0
; ScratchSize: 0
; MemoryBound: 0
; FloatMode: 240
; IeeeMode: 1
; LDSByteSize: 0 bytes/workgroup (compile time only)
; SGPRBlocks: 0
; VGPRBlocks: 0
; NumSGPRsForWavesPerEU: 1
; NumVGPRsForWavesPerEU: 1
; Occupancy: 16
; WaveLimiterHint : 0
; COMPUTE_PGM_RSRC2:SCRATCH_EN: 0
; COMPUTE_PGM_RSRC2:USER_SGPR: 6
; COMPUTE_PGM_RSRC2:TRAP_HANDLER: 0
; COMPUTE_PGM_RSRC2:TGID_X_EN: 1
; COMPUTE_PGM_RSRC2:TGID_Y_EN: 0
; COMPUTE_PGM_RSRC2:TGID_Z_EN: 0
; COMPUTE_PGM_RSRC2:TIDIG_COMP_CNT: 0
	.section	.text._ZN7rocprim17ROCPRIM_400000_NS6detail17trampoline_kernelINS0_14default_configENS1_21merge_config_selectorINS0_5tupleIJjjEEENS0_10empty_typeEEEZNS1_10merge_implIS3_NS0_12zip_iteratorINS5_IJN6thrust23THRUST_200600_302600_NS6detail15normal_iteratorINSC_10device_ptrIKjEEEESI_EEEEESK_NSA_INS5_IJNSE_INSF_IjEEEESM_EEEEEPS7_SP_SP_NSC_11hip_rocprim7__merge17predicate_wrapperIjjNSC_4lessIjEEEEEE10hipError_tPvRmT0_T1_T2_T3_T4_T5_mmT6_P12ihipStream_tbEUlT_E0_NS1_11comp_targetILNS1_3genE5ELNS1_11target_archE942ELNS1_3gpuE9ELNS1_3repE0EEENS1_30default_config_static_selectorELNS0_4arch9wavefront6targetE0EEEvS10_,"axG",@progbits,_ZN7rocprim17ROCPRIM_400000_NS6detail17trampoline_kernelINS0_14default_configENS1_21merge_config_selectorINS0_5tupleIJjjEEENS0_10empty_typeEEEZNS1_10merge_implIS3_NS0_12zip_iteratorINS5_IJN6thrust23THRUST_200600_302600_NS6detail15normal_iteratorINSC_10device_ptrIKjEEEESI_EEEEESK_NSA_INS5_IJNSE_INSF_IjEEEESM_EEEEEPS7_SP_SP_NSC_11hip_rocprim7__merge17predicate_wrapperIjjNSC_4lessIjEEEEEE10hipError_tPvRmT0_T1_T2_T3_T4_T5_mmT6_P12ihipStream_tbEUlT_E0_NS1_11comp_targetILNS1_3genE5ELNS1_11target_archE942ELNS1_3gpuE9ELNS1_3repE0EEENS1_30default_config_static_selectorELNS0_4arch9wavefront6targetE0EEEvS10_,comdat
	.protected	_ZN7rocprim17ROCPRIM_400000_NS6detail17trampoline_kernelINS0_14default_configENS1_21merge_config_selectorINS0_5tupleIJjjEEENS0_10empty_typeEEEZNS1_10merge_implIS3_NS0_12zip_iteratorINS5_IJN6thrust23THRUST_200600_302600_NS6detail15normal_iteratorINSC_10device_ptrIKjEEEESI_EEEEESK_NSA_INS5_IJNSE_INSF_IjEEEESM_EEEEEPS7_SP_SP_NSC_11hip_rocprim7__merge17predicate_wrapperIjjNSC_4lessIjEEEEEE10hipError_tPvRmT0_T1_T2_T3_T4_T5_mmT6_P12ihipStream_tbEUlT_E0_NS1_11comp_targetILNS1_3genE5ELNS1_11target_archE942ELNS1_3gpuE9ELNS1_3repE0EEENS1_30default_config_static_selectorELNS0_4arch9wavefront6targetE0EEEvS10_ ; -- Begin function _ZN7rocprim17ROCPRIM_400000_NS6detail17trampoline_kernelINS0_14default_configENS1_21merge_config_selectorINS0_5tupleIJjjEEENS0_10empty_typeEEEZNS1_10merge_implIS3_NS0_12zip_iteratorINS5_IJN6thrust23THRUST_200600_302600_NS6detail15normal_iteratorINSC_10device_ptrIKjEEEESI_EEEEESK_NSA_INS5_IJNSE_INSF_IjEEEESM_EEEEEPS7_SP_SP_NSC_11hip_rocprim7__merge17predicate_wrapperIjjNSC_4lessIjEEEEEE10hipError_tPvRmT0_T1_T2_T3_T4_T5_mmT6_P12ihipStream_tbEUlT_E0_NS1_11comp_targetILNS1_3genE5ELNS1_11target_archE942ELNS1_3gpuE9ELNS1_3repE0EEENS1_30default_config_static_selectorELNS0_4arch9wavefront6targetE0EEEvS10_
	.globl	_ZN7rocprim17ROCPRIM_400000_NS6detail17trampoline_kernelINS0_14default_configENS1_21merge_config_selectorINS0_5tupleIJjjEEENS0_10empty_typeEEEZNS1_10merge_implIS3_NS0_12zip_iteratorINS5_IJN6thrust23THRUST_200600_302600_NS6detail15normal_iteratorINSC_10device_ptrIKjEEEESI_EEEEESK_NSA_INS5_IJNSE_INSF_IjEEEESM_EEEEEPS7_SP_SP_NSC_11hip_rocprim7__merge17predicate_wrapperIjjNSC_4lessIjEEEEEE10hipError_tPvRmT0_T1_T2_T3_T4_T5_mmT6_P12ihipStream_tbEUlT_E0_NS1_11comp_targetILNS1_3genE5ELNS1_11target_archE942ELNS1_3gpuE9ELNS1_3repE0EEENS1_30default_config_static_selectorELNS0_4arch9wavefront6targetE0EEEvS10_
	.p2align	8
	.type	_ZN7rocprim17ROCPRIM_400000_NS6detail17trampoline_kernelINS0_14default_configENS1_21merge_config_selectorINS0_5tupleIJjjEEENS0_10empty_typeEEEZNS1_10merge_implIS3_NS0_12zip_iteratorINS5_IJN6thrust23THRUST_200600_302600_NS6detail15normal_iteratorINSC_10device_ptrIKjEEEESI_EEEEESK_NSA_INS5_IJNSE_INSF_IjEEEESM_EEEEEPS7_SP_SP_NSC_11hip_rocprim7__merge17predicate_wrapperIjjNSC_4lessIjEEEEEE10hipError_tPvRmT0_T1_T2_T3_T4_T5_mmT6_P12ihipStream_tbEUlT_E0_NS1_11comp_targetILNS1_3genE5ELNS1_11target_archE942ELNS1_3gpuE9ELNS1_3repE0EEENS1_30default_config_static_selectorELNS0_4arch9wavefront6targetE0EEEvS10_,@function
_ZN7rocprim17ROCPRIM_400000_NS6detail17trampoline_kernelINS0_14default_configENS1_21merge_config_selectorINS0_5tupleIJjjEEENS0_10empty_typeEEEZNS1_10merge_implIS3_NS0_12zip_iteratorINS5_IJN6thrust23THRUST_200600_302600_NS6detail15normal_iteratorINSC_10device_ptrIKjEEEESI_EEEEESK_NSA_INS5_IJNSE_INSF_IjEEEESM_EEEEEPS7_SP_SP_NSC_11hip_rocprim7__merge17predicate_wrapperIjjNSC_4lessIjEEEEEE10hipError_tPvRmT0_T1_T2_T3_T4_T5_mmT6_P12ihipStream_tbEUlT_E0_NS1_11comp_targetILNS1_3genE5ELNS1_11target_archE942ELNS1_3gpuE9ELNS1_3repE0EEENS1_30default_config_static_selectorELNS0_4arch9wavefront6targetE0EEEvS10_: ; @_ZN7rocprim17ROCPRIM_400000_NS6detail17trampoline_kernelINS0_14default_configENS1_21merge_config_selectorINS0_5tupleIJjjEEENS0_10empty_typeEEEZNS1_10merge_implIS3_NS0_12zip_iteratorINS5_IJN6thrust23THRUST_200600_302600_NS6detail15normal_iteratorINSC_10device_ptrIKjEEEESI_EEEEESK_NSA_INS5_IJNSE_INSF_IjEEEESM_EEEEEPS7_SP_SP_NSC_11hip_rocprim7__merge17predicate_wrapperIjjNSC_4lessIjEEEEEE10hipError_tPvRmT0_T1_T2_T3_T4_T5_mmT6_P12ihipStream_tbEUlT_E0_NS1_11comp_targetILNS1_3genE5ELNS1_11target_archE942ELNS1_3gpuE9ELNS1_3repE0EEENS1_30default_config_static_selectorELNS0_4arch9wavefront6targetE0EEEvS10_
; %bb.0:
	.section	.rodata,"a",@progbits
	.p2align	6, 0x0
	.amdhsa_kernel _ZN7rocprim17ROCPRIM_400000_NS6detail17trampoline_kernelINS0_14default_configENS1_21merge_config_selectorINS0_5tupleIJjjEEENS0_10empty_typeEEEZNS1_10merge_implIS3_NS0_12zip_iteratorINS5_IJN6thrust23THRUST_200600_302600_NS6detail15normal_iteratorINSC_10device_ptrIKjEEEESI_EEEEESK_NSA_INS5_IJNSE_INSF_IjEEEESM_EEEEEPS7_SP_SP_NSC_11hip_rocprim7__merge17predicate_wrapperIjjNSC_4lessIjEEEEEE10hipError_tPvRmT0_T1_T2_T3_T4_T5_mmT6_P12ihipStream_tbEUlT_E0_NS1_11comp_targetILNS1_3genE5ELNS1_11target_archE942ELNS1_3gpuE9ELNS1_3repE0EEENS1_30default_config_static_selectorELNS0_4arch9wavefront6targetE0EEEvS10_
		.amdhsa_group_segment_fixed_size 0
		.amdhsa_private_segment_fixed_size 0
		.amdhsa_kernarg_size 112
		.amdhsa_user_sgpr_count 6
		.amdhsa_user_sgpr_private_segment_buffer 1
		.amdhsa_user_sgpr_dispatch_ptr 0
		.amdhsa_user_sgpr_queue_ptr 0
		.amdhsa_user_sgpr_kernarg_segment_ptr 1
		.amdhsa_user_sgpr_dispatch_id 0
		.amdhsa_user_sgpr_flat_scratch_init 0
		.amdhsa_user_sgpr_private_segment_size 0
		.amdhsa_wavefront_size32 1
		.amdhsa_uses_dynamic_stack 0
		.amdhsa_system_sgpr_private_segment_wavefront_offset 0
		.amdhsa_system_sgpr_workgroup_id_x 1
		.amdhsa_system_sgpr_workgroup_id_y 0
		.amdhsa_system_sgpr_workgroup_id_z 0
		.amdhsa_system_sgpr_workgroup_info 0
		.amdhsa_system_vgpr_workitem_id 0
		.amdhsa_next_free_vgpr 1
		.amdhsa_next_free_sgpr 1
		.amdhsa_reserve_vcc 0
		.amdhsa_reserve_flat_scratch 0
		.amdhsa_float_round_mode_32 0
		.amdhsa_float_round_mode_16_64 0
		.amdhsa_float_denorm_mode_32 3
		.amdhsa_float_denorm_mode_16_64 3
		.amdhsa_dx10_clamp 1
		.amdhsa_ieee_mode 1
		.amdhsa_fp16_overflow 0
		.amdhsa_workgroup_processor_mode 1
		.amdhsa_memory_ordered 1
		.amdhsa_forward_progress 1
		.amdhsa_shared_vgpr_count 0
		.amdhsa_exception_fp_ieee_invalid_op 0
		.amdhsa_exception_fp_denorm_src 0
		.amdhsa_exception_fp_ieee_div_zero 0
		.amdhsa_exception_fp_ieee_overflow 0
		.amdhsa_exception_fp_ieee_underflow 0
		.amdhsa_exception_fp_ieee_inexact 0
		.amdhsa_exception_int_div_zero 0
	.end_amdhsa_kernel
	.section	.text._ZN7rocprim17ROCPRIM_400000_NS6detail17trampoline_kernelINS0_14default_configENS1_21merge_config_selectorINS0_5tupleIJjjEEENS0_10empty_typeEEEZNS1_10merge_implIS3_NS0_12zip_iteratorINS5_IJN6thrust23THRUST_200600_302600_NS6detail15normal_iteratorINSC_10device_ptrIKjEEEESI_EEEEESK_NSA_INS5_IJNSE_INSF_IjEEEESM_EEEEEPS7_SP_SP_NSC_11hip_rocprim7__merge17predicate_wrapperIjjNSC_4lessIjEEEEEE10hipError_tPvRmT0_T1_T2_T3_T4_T5_mmT6_P12ihipStream_tbEUlT_E0_NS1_11comp_targetILNS1_3genE5ELNS1_11target_archE942ELNS1_3gpuE9ELNS1_3repE0EEENS1_30default_config_static_selectorELNS0_4arch9wavefront6targetE0EEEvS10_,"axG",@progbits,_ZN7rocprim17ROCPRIM_400000_NS6detail17trampoline_kernelINS0_14default_configENS1_21merge_config_selectorINS0_5tupleIJjjEEENS0_10empty_typeEEEZNS1_10merge_implIS3_NS0_12zip_iteratorINS5_IJN6thrust23THRUST_200600_302600_NS6detail15normal_iteratorINSC_10device_ptrIKjEEEESI_EEEEESK_NSA_INS5_IJNSE_INSF_IjEEEESM_EEEEEPS7_SP_SP_NSC_11hip_rocprim7__merge17predicate_wrapperIjjNSC_4lessIjEEEEEE10hipError_tPvRmT0_T1_T2_T3_T4_T5_mmT6_P12ihipStream_tbEUlT_E0_NS1_11comp_targetILNS1_3genE5ELNS1_11target_archE942ELNS1_3gpuE9ELNS1_3repE0EEENS1_30default_config_static_selectorELNS0_4arch9wavefront6targetE0EEEvS10_,comdat
.Lfunc_end143:
	.size	_ZN7rocprim17ROCPRIM_400000_NS6detail17trampoline_kernelINS0_14default_configENS1_21merge_config_selectorINS0_5tupleIJjjEEENS0_10empty_typeEEEZNS1_10merge_implIS3_NS0_12zip_iteratorINS5_IJN6thrust23THRUST_200600_302600_NS6detail15normal_iteratorINSC_10device_ptrIKjEEEESI_EEEEESK_NSA_INS5_IJNSE_INSF_IjEEEESM_EEEEEPS7_SP_SP_NSC_11hip_rocprim7__merge17predicate_wrapperIjjNSC_4lessIjEEEEEE10hipError_tPvRmT0_T1_T2_T3_T4_T5_mmT6_P12ihipStream_tbEUlT_E0_NS1_11comp_targetILNS1_3genE5ELNS1_11target_archE942ELNS1_3gpuE9ELNS1_3repE0EEENS1_30default_config_static_selectorELNS0_4arch9wavefront6targetE0EEEvS10_, .Lfunc_end143-_ZN7rocprim17ROCPRIM_400000_NS6detail17trampoline_kernelINS0_14default_configENS1_21merge_config_selectorINS0_5tupleIJjjEEENS0_10empty_typeEEEZNS1_10merge_implIS3_NS0_12zip_iteratorINS5_IJN6thrust23THRUST_200600_302600_NS6detail15normal_iteratorINSC_10device_ptrIKjEEEESI_EEEEESK_NSA_INS5_IJNSE_INSF_IjEEEESM_EEEEEPS7_SP_SP_NSC_11hip_rocprim7__merge17predicate_wrapperIjjNSC_4lessIjEEEEEE10hipError_tPvRmT0_T1_T2_T3_T4_T5_mmT6_P12ihipStream_tbEUlT_E0_NS1_11comp_targetILNS1_3genE5ELNS1_11target_archE942ELNS1_3gpuE9ELNS1_3repE0EEENS1_30default_config_static_selectorELNS0_4arch9wavefront6targetE0EEEvS10_
                                        ; -- End function
	.set _ZN7rocprim17ROCPRIM_400000_NS6detail17trampoline_kernelINS0_14default_configENS1_21merge_config_selectorINS0_5tupleIJjjEEENS0_10empty_typeEEEZNS1_10merge_implIS3_NS0_12zip_iteratorINS5_IJN6thrust23THRUST_200600_302600_NS6detail15normal_iteratorINSC_10device_ptrIKjEEEESI_EEEEESK_NSA_INS5_IJNSE_INSF_IjEEEESM_EEEEEPS7_SP_SP_NSC_11hip_rocprim7__merge17predicate_wrapperIjjNSC_4lessIjEEEEEE10hipError_tPvRmT0_T1_T2_T3_T4_T5_mmT6_P12ihipStream_tbEUlT_E0_NS1_11comp_targetILNS1_3genE5ELNS1_11target_archE942ELNS1_3gpuE9ELNS1_3repE0EEENS1_30default_config_static_selectorELNS0_4arch9wavefront6targetE0EEEvS10_.num_vgpr, 0
	.set _ZN7rocprim17ROCPRIM_400000_NS6detail17trampoline_kernelINS0_14default_configENS1_21merge_config_selectorINS0_5tupleIJjjEEENS0_10empty_typeEEEZNS1_10merge_implIS3_NS0_12zip_iteratorINS5_IJN6thrust23THRUST_200600_302600_NS6detail15normal_iteratorINSC_10device_ptrIKjEEEESI_EEEEESK_NSA_INS5_IJNSE_INSF_IjEEEESM_EEEEEPS7_SP_SP_NSC_11hip_rocprim7__merge17predicate_wrapperIjjNSC_4lessIjEEEEEE10hipError_tPvRmT0_T1_T2_T3_T4_T5_mmT6_P12ihipStream_tbEUlT_E0_NS1_11comp_targetILNS1_3genE5ELNS1_11target_archE942ELNS1_3gpuE9ELNS1_3repE0EEENS1_30default_config_static_selectorELNS0_4arch9wavefront6targetE0EEEvS10_.num_agpr, 0
	.set _ZN7rocprim17ROCPRIM_400000_NS6detail17trampoline_kernelINS0_14default_configENS1_21merge_config_selectorINS0_5tupleIJjjEEENS0_10empty_typeEEEZNS1_10merge_implIS3_NS0_12zip_iteratorINS5_IJN6thrust23THRUST_200600_302600_NS6detail15normal_iteratorINSC_10device_ptrIKjEEEESI_EEEEESK_NSA_INS5_IJNSE_INSF_IjEEEESM_EEEEEPS7_SP_SP_NSC_11hip_rocprim7__merge17predicate_wrapperIjjNSC_4lessIjEEEEEE10hipError_tPvRmT0_T1_T2_T3_T4_T5_mmT6_P12ihipStream_tbEUlT_E0_NS1_11comp_targetILNS1_3genE5ELNS1_11target_archE942ELNS1_3gpuE9ELNS1_3repE0EEENS1_30default_config_static_selectorELNS0_4arch9wavefront6targetE0EEEvS10_.numbered_sgpr, 0
	.set _ZN7rocprim17ROCPRIM_400000_NS6detail17trampoline_kernelINS0_14default_configENS1_21merge_config_selectorINS0_5tupleIJjjEEENS0_10empty_typeEEEZNS1_10merge_implIS3_NS0_12zip_iteratorINS5_IJN6thrust23THRUST_200600_302600_NS6detail15normal_iteratorINSC_10device_ptrIKjEEEESI_EEEEESK_NSA_INS5_IJNSE_INSF_IjEEEESM_EEEEEPS7_SP_SP_NSC_11hip_rocprim7__merge17predicate_wrapperIjjNSC_4lessIjEEEEEE10hipError_tPvRmT0_T1_T2_T3_T4_T5_mmT6_P12ihipStream_tbEUlT_E0_NS1_11comp_targetILNS1_3genE5ELNS1_11target_archE942ELNS1_3gpuE9ELNS1_3repE0EEENS1_30default_config_static_selectorELNS0_4arch9wavefront6targetE0EEEvS10_.num_named_barrier, 0
	.set _ZN7rocprim17ROCPRIM_400000_NS6detail17trampoline_kernelINS0_14default_configENS1_21merge_config_selectorINS0_5tupleIJjjEEENS0_10empty_typeEEEZNS1_10merge_implIS3_NS0_12zip_iteratorINS5_IJN6thrust23THRUST_200600_302600_NS6detail15normal_iteratorINSC_10device_ptrIKjEEEESI_EEEEESK_NSA_INS5_IJNSE_INSF_IjEEEESM_EEEEEPS7_SP_SP_NSC_11hip_rocprim7__merge17predicate_wrapperIjjNSC_4lessIjEEEEEE10hipError_tPvRmT0_T1_T2_T3_T4_T5_mmT6_P12ihipStream_tbEUlT_E0_NS1_11comp_targetILNS1_3genE5ELNS1_11target_archE942ELNS1_3gpuE9ELNS1_3repE0EEENS1_30default_config_static_selectorELNS0_4arch9wavefront6targetE0EEEvS10_.private_seg_size, 0
	.set _ZN7rocprim17ROCPRIM_400000_NS6detail17trampoline_kernelINS0_14default_configENS1_21merge_config_selectorINS0_5tupleIJjjEEENS0_10empty_typeEEEZNS1_10merge_implIS3_NS0_12zip_iteratorINS5_IJN6thrust23THRUST_200600_302600_NS6detail15normal_iteratorINSC_10device_ptrIKjEEEESI_EEEEESK_NSA_INS5_IJNSE_INSF_IjEEEESM_EEEEEPS7_SP_SP_NSC_11hip_rocprim7__merge17predicate_wrapperIjjNSC_4lessIjEEEEEE10hipError_tPvRmT0_T1_T2_T3_T4_T5_mmT6_P12ihipStream_tbEUlT_E0_NS1_11comp_targetILNS1_3genE5ELNS1_11target_archE942ELNS1_3gpuE9ELNS1_3repE0EEENS1_30default_config_static_selectorELNS0_4arch9wavefront6targetE0EEEvS10_.uses_vcc, 0
	.set _ZN7rocprim17ROCPRIM_400000_NS6detail17trampoline_kernelINS0_14default_configENS1_21merge_config_selectorINS0_5tupleIJjjEEENS0_10empty_typeEEEZNS1_10merge_implIS3_NS0_12zip_iteratorINS5_IJN6thrust23THRUST_200600_302600_NS6detail15normal_iteratorINSC_10device_ptrIKjEEEESI_EEEEESK_NSA_INS5_IJNSE_INSF_IjEEEESM_EEEEEPS7_SP_SP_NSC_11hip_rocprim7__merge17predicate_wrapperIjjNSC_4lessIjEEEEEE10hipError_tPvRmT0_T1_T2_T3_T4_T5_mmT6_P12ihipStream_tbEUlT_E0_NS1_11comp_targetILNS1_3genE5ELNS1_11target_archE942ELNS1_3gpuE9ELNS1_3repE0EEENS1_30default_config_static_selectorELNS0_4arch9wavefront6targetE0EEEvS10_.uses_flat_scratch, 0
	.set _ZN7rocprim17ROCPRIM_400000_NS6detail17trampoline_kernelINS0_14default_configENS1_21merge_config_selectorINS0_5tupleIJjjEEENS0_10empty_typeEEEZNS1_10merge_implIS3_NS0_12zip_iteratorINS5_IJN6thrust23THRUST_200600_302600_NS6detail15normal_iteratorINSC_10device_ptrIKjEEEESI_EEEEESK_NSA_INS5_IJNSE_INSF_IjEEEESM_EEEEEPS7_SP_SP_NSC_11hip_rocprim7__merge17predicate_wrapperIjjNSC_4lessIjEEEEEE10hipError_tPvRmT0_T1_T2_T3_T4_T5_mmT6_P12ihipStream_tbEUlT_E0_NS1_11comp_targetILNS1_3genE5ELNS1_11target_archE942ELNS1_3gpuE9ELNS1_3repE0EEENS1_30default_config_static_selectorELNS0_4arch9wavefront6targetE0EEEvS10_.has_dyn_sized_stack, 0
	.set _ZN7rocprim17ROCPRIM_400000_NS6detail17trampoline_kernelINS0_14default_configENS1_21merge_config_selectorINS0_5tupleIJjjEEENS0_10empty_typeEEEZNS1_10merge_implIS3_NS0_12zip_iteratorINS5_IJN6thrust23THRUST_200600_302600_NS6detail15normal_iteratorINSC_10device_ptrIKjEEEESI_EEEEESK_NSA_INS5_IJNSE_INSF_IjEEEESM_EEEEEPS7_SP_SP_NSC_11hip_rocprim7__merge17predicate_wrapperIjjNSC_4lessIjEEEEEE10hipError_tPvRmT0_T1_T2_T3_T4_T5_mmT6_P12ihipStream_tbEUlT_E0_NS1_11comp_targetILNS1_3genE5ELNS1_11target_archE942ELNS1_3gpuE9ELNS1_3repE0EEENS1_30default_config_static_selectorELNS0_4arch9wavefront6targetE0EEEvS10_.has_recursion, 0
	.set _ZN7rocprim17ROCPRIM_400000_NS6detail17trampoline_kernelINS0_14default_configENS1_21merge_config_selectorINS0_5tupleIJjjEEENS0_10empty_typeEEEZNS1_10merge_implIS3_NS0_12zip_iteratorINS5_IJN6thrust23THRUST_200600_302600_NS6detail15normal_iteratorINSC_10device_ptrIKjEEEESI_EEEEESK_NSA_INS5_IJNSE_INSF_IjEEEESM_EEEEEPS7_SP_SP_NSC_11hip_rocprim7__merge17predicate_wrapperIjjNSC_4lessIjEEEEEE10hipError_tPvRmT0_T1_T2_T3_T4_T5_mmT6_P12ihipStream_tbEUlT_E0_NS1_11comp_targetILNS1_3genE5ELNS1_11target_archE942ELNS1_3gpuE9ELNS1_3repE0EEENS1_30default_config_static_selectorELNS0_4arch9wavefront6targetE0EEEvS10_.has_indirect_call, 0
	.section	.AMDGPU.csdata,"",@progbits
; Kernel info:
; codeLenInByte = 0
; TotalNumSgprs: 0
; NumVgprs: 0
; ScratchSize: 0
; MemoryBound: 0
; FloatMode: 240
; IeeeMode: 1
; LDSByteSize: 0 bytes/workgroup (compile time only)
; SGPRBlocks: 0
; VGPRBlocks: 0
; NumSGPRsForWavesPerEU: 1
; NumVGPRsForWavesPerEU: 1
; Occupancy: 16
; WaveLimiterHint : 0
; COMPUTE_PGM_RSRC2:SCRATCH_EN: 0
; COMPUTE_PGM_RSRC2:USER_SGPR: 6
; COMPUTE_PGM_RSRC2:TRAP_HANDLER: 0
; COMPUTE_PGM_RSRC2:TGID_X_EN: 1
; COMPUTE_PGM_RSRC2:TGID_Y_EN: 0
; COMPUTE_PGM_RSRC2:TGID_Z_EN: 0
; COMPUTE_PGM_RSRC2:TIDIG_COMP_CNT: 0
	.section	.text._ZN7rocprim17ROCPRIM_400000_NS6detail17trampoline_kernelINS0_14default_configENS1_21merge_config_selectorINS0_5tupleIJjjEEENS0_10empty_typeEEEZNS1_10merge_implIS3_NS0_12zip_iteratorINS5_IJN6thrust23THRUST_200600_302600_NS6detail15normal_iteratorINSC_10device_ptrIKjEEEESI_EEEEESK_NSA_INS5_IJNSE_INSF_IjEEEESM_EEEEEPS7_SP_SP_NSC_11hip_rocprim7__merge17predicate_wrapperIjjNSC_4lessIjEEEEEE10hipError_tPvRmT0_T1_T2_T3_T4_T5_mmT6_P12ihipStream_tbEUlT_E0_NS1_11comp_targetILNS1_3genE4ELNS1_11target_archE910ELNS1_3gpuE8ELNS1_3repE0EEENS1_30default_config_static_selectorELNS0_4arch9wavefront6targetE0EEEvS10_,"axG",@progbits,_ZN7rocprim17ROCPRIM_400000_NS6detail17trampoline_kernelINS0_14default_configENS1_21merge_config_selectorINS0_5tupleIJjjEEENS0_10empty_typeEEEZNS1_10merge_implIS3_NS0_12zip_iteratorINS5_IJN6thrust23THRUST_200600_302600_NS6detail15normal_iteratorINSC_10device_ptrIKjEEEESI_EEEEESK_NSA_INS5_IJNSE_INSF_IjEEEESM_EEEEEPS7_SP_SP_NSC_11hip_rocprim7__merge17predicate_wrapperIjjNSC_4lessIjEEEEEE10hipError_tPvRmT0_T1_T2_T3_T4_T5_mmT6_P12ihipStream_tbEUlT_E0_NS1_11comp_targetILNS1_3genE4ELNS1_11target_archE910ELNS1_3gpuE8ELNS1_3repE0EEENS1_30default_config_static_selectorELNS0_4arch9wavefront6targetE0EEEvS10_,comdat
	.protected	_ZN7rocprim17ROCPRIM_400000_NS6detail17trampoline_kernelINS0_14default_configENS1_21merge_config_selectorINS0_5tupleIJjjEEENS0_10empty_typeEEEZNS1_10merge_implIS3_NS0_12zip_iteratorINS5_IJN6thrust23THRUST_200600_302600_NS6detail15normal_iteratorINSC_10device_ptrIKjEEEESI_EEEEESK_NSA_INS5_IJNSE_INSF_IjEEEESM_EEEEEPS7_SP_SP_NSC_11hip_rocprim7__merge17predicate_wrapperIjjNSC_4lessIjEEEEEE10hipError_tPvRmT0_T1_T2_T3_T4_T5_mmT6_P12ihipStream_tbEUlT_E0_NS1_11comp_targetILNS1_3genE4ELNS1_11target_archE910ELNS1_3gpuE8ELNS1_3repE0EEENS1_30default_config_static_selectorELNS0_4arch9wavefront6targetE0EEEvS10_ ; -- Begin function _ZN7rocprim17ROCPRIM_400000_NS6detail17trampoline_kernelINS0_14default_configENS1_21merge_config_selectorINS0_5tupleIJjjEEENS0_10empty_typeEEEZNS1_10merge_implIS3_NS0_12zip_iteratorINS5_IJN6thrust23THRUST_200600_302600_NS6detail15normal_iteratorINSC_10device_ptrIKjEEEESI_EEEEESK_NSA_INS5_IJNSE_INSF_IjEEEESM_EEEEEPS7_SP_SP_NSC_11hip_rocprim7__merge17predicate_wrapperIjjNSC_4lessIjEEEEEE10hipError_tPvRmT0_T1_T2_T3_T4_T5_mmT6_P12ihipStream_tbEUlT_E0_NS1_11comp_targetILNS1_3genE4ELNS1_11target_archE910ELNS1_3gpuE8ELNS1_3repE0EEENS1_30default_config_static_selectorELNS0_4arch9wavefront6targetE0EEEvS10_
	.globl	_ZN7rocprim17ROCPRIM_400000_NS6detail17trampoline_kernelINS0_14default_configENS1_21merge_config_selectorINS0_5tupleIJjjEEENS0_10empty_typeEEEZNS1_10merge_implIS3_NS0_12zip_iteratorINS5_IJN6thrust23THRUST_200600_302600_NS6detail15normal_iteratorINSC_10device_ptrIKjEEEESI_EEEEESK_NSA_INS5_IJNSE_INSF_IjEEEESM_EEEEEPS7_SP_SP_NSC_11hip_rocprim7__merge17predicate_wrapperIjjNSC_4lessIjEEEEEE10hipError_tPvRmT0_T1_T2_T3_T4_T5_mmT6_P12ihipStream_tbEUlT_E0_NS1_11comp_targetILNS1_3genE4ELNS1_11target_archE910ELNS1_3gpuE8ELNS1_3repE0EEENS1_30default_config_static_selectorELNS0_4arch9wavefront6targetE0EEEvS10_
	.p2align	8
	.type	_ZN7rocprim17ROCPRIM_400000_NS6detail17trampoline_kernelINS0_14default_configENS1_21merge_config_selectorINS0_5tupleIJjjEEENS0_10empty_typeEEEZNS1_10merge_implIS3_NS0_12zip_iteratorINS5_IJN6thrust23THRUST_200600_302600_NS6detail15normal_iteratorINSC_10device_ptrIKjEEEESI_EEEEESK_NSA_INS5_IJNSE_INSF_IjEEEESM_EEEEEPS7_SP_SP_NSC_11hip_rocprim7__merge17predicate_wrapperIjjNSC_4lessIjEEEEEE10hipError_tPvRmT0_T1_T2_T3_T4_T5_mmT6_P12ihipStream_tbEUlT_E0_NS1_11comp_targetILNS1_3genE4ELNS1_11target_archE910ELNS1_3gpuE8ELNS1_3repE0EEENS1_30default_config_static_selectorELNS0_4arch9wavefront6targetE0EEEvS10_,@function
_ZN7rocprim17ROCPRIM_400000_NS6detail17trampoline_kernelINS0_14default_configENS1_21merge_config_selectorINS0_5tupleIJjjEEENS0_10empty_typeEEEZNS1_10merge_implIS3_NS0_12zip_iteratorINS5_IJN6thrust23THRUST_200600_302600_NS6detail15normal_iteratorINSC_10device_ptrIKjEEEESI_EEEEESK_NSA_INS5_IJNSE_INSF_IjEEEESM_EEEEEPS7_SP_SP_NSC_11hip_rocprim7__merge17predicate_wrapperIjjNSC_4lessIjEEEEEE10hipError_tPvRmT0_T1_T2_T3_T4_T5_mmT6_P12ihipStream_tbEUlT_E0_NS1_11comp_targetILNS1_3genE4ELNS1_11target_archE910ELNS1_3gpuE8ELNS1_3repE0EEENS1_30default_config_static_selectorELNS0_4arch9wavefront6targetE0EEEvS10_: ; @_ZN7rocprim17ROCPRIM_400000_NS6detail17trampoline_kernelINS0_14default_configENS1_21merge_config_selectorINS0_5tupleIJjjEEENS0_10empty_typeEEEZNS1_10merge_implIS3_NS0_12zip_iteratorINS5_IJN6thrust23THRUST_200600_302600_NS6detail15normal_iteratorINSC_10device_ptrIKjEEEESI_EEEEESK_NSA_INS5_IJNSE_INSF_IjEEEESM_EEEEEPS7_SP_SP_NSC_11hip_rocprim7__merge17predicate_wrapperIjjNSC_4lessIjEEEEEE10hipError_tPvRmT0_T1_T2_T3_T4_T5_mmT6_P12ihipStream_tbEUlT_E0_NS1_11comp_targetILNS1_3genE4ELNS1_11target_archE910ELNS1_3gpuE8ELNS1_3repE0EEENS1_30default_config_static_selectorELNS0_4arch9wavefront6targetE0EEEvS10_
; %bb.0:
	.section	.rodata,"a",@progbits
	.p2align	6, 0x0
	.amdhsa_kernel _ZN7rocprim17ROCPRIM_400000_NS6detail17trampoline_kernelINS0_14default_configENS1_21merge_config_selectorINS0_5tupleIJjjEEENS0_10empty_typeEEEZNS1_10merge_implIS3_NS0_12zip_iteratorINS5_IJN6thrust23THRUST_200600_302600_NS6detail15normal_iteratorINSC_10device_ptrIKjEEEESI_EEEEESK_NSA_INS5_IJNSE_INSF_IjEEEESM_EEEEEPS7_SP_SP_NSC_11hip_rocprim7__merge17predicate_wrapperIjjNSC_4lessIjEEEEEE10hipError_tPvRmT0_T1_T2_T3_T4_T5_mmT6_P12ihipStream_tbEUlT_E0_NS1_11comp_targetILNS1_3genE4ELNS1_11target_archE910ELNS1_3gpuE8ELNS1_3repE0EEENS1_30default_config_static_selectorELNS0_4arch9wavefront6targetE0EEEvS10_
		.amdhsa_group_segment_fixed_size 0
		.amdhsa_private_segment_fixed_size 0
		.amdhsa_kernarg_size 112
		.amdhsa_user_sgpr_count 6
		.amdhsa_user_sgpr_private_segment_buffer 1
		.amdhsa_user_sgpr_dispatch_ptr 0
		.amdhsa_user_sgpr_queue_ptr 0
		.amdhsa_user_sgpr_kernarg_segment_ptr 1
		.amdhsa_user_sgpr_dispatch_id 0
		.amdhsa_user_sgpr_flat_scratch_init 0
		.amdhsa_user_sgpr_private_segment_size 0
		.amdhsa_wavefront_size32 1
		.amdhsa_uses_dynamic_stack 0
		.amdhsa_system_sgpr_private_segment_wavefront_offset 0
		.amdhsa_system_sgpr_workgroup_id_x 1
		.amdhsa_system_sgpr_workgroup_id_y 0
		.amdhsa_system_sgpr_workgroup_id_z 0
		.amdhsa_system_sgpr_workgroup_info 0
		.amdhsa_system_vgpr_workitem_id 0
		.amdhsa_next_free_vgpr 1
		.amdhsa_next_free_sgpr 1
		.amdhsa_reserve_vcc 0
		.amdhsa_reserve_flat_scratch 0
		.amdhsa_float_round_mode_32 0
		.amdhsa_float_round_mode_16_64 0
		.amdhsa_float_denorm_mode_32 3
		.amdhsa_float_denorm_mode_16_64 3
		.amdhsa_dx10_clamp 1
		.amdhsa_ieee_mode 1
		.amdhsa_fp16_overflow 0
		.amdhsa_workgroup_processor_mode 1
		.amdhsa_memory_ordered 1
		.amdhsa_forward_progress 1
		.amdhsa_shared_vgpr_count 0
		.amdhsa_exception_fp_ieee_invalid_op 0
		.amdhsa_exception_fp_denorm_src 0
		.amdhsa_exception_fp_ieee_div_zero 0
		.amdhsa_exception_fp_ieee_overflow 0
		.amdhsa_exception_fp_ieee_underflow 0
		.amdhsa_exception_fp_ieee_inexact 0
		.amdhsa_exception_int_div_zero 0
	.end_amdhsa_kernel
	.section	.text._ZN7rocprim17ROCPRIM_400000_NS6detail17trampoline_kernelINS0_14default_configENS1_21merge_config_selectorINS0_5tupleIJjjEEENS0_10empty_typeEEEZNS1_10merge_implIS3_NS0_12zip_iteratorINS5_IJN6thrust23THRUST_200600_302600_NS6detail15normal_iteratorINSC_10device_ptrIKjEEEESI_EEEEESK_NSA_INS5_IJNSE_INSF_IjEEEESM_EEEEEPS7_SP_SP_NSC_11hip_rocprim7__merge17predicate_wrapperIjjNSC_4lessIjEEEEEE10hipError_tPvRmT0_T1_T2_T3_T4_T5_mmT6_P12ihipStream_tbEUlT_E0_NS1_11comp_targetILNS1_3genE4ELNS1_11target_archE910ELNS1_3gpuE8ELNS1_3repE0EEENS1_30default_config_static_selectorELNS0_4arch9wavefront6targetE0EEEvS10_,"axG",@progbits,_ZN7rocprim17ROCPRIM_400000_NS6detail17trampoline_kernelINS0_14default_configENS1_21merge_config_selectorINS0_5tupleIJjjEEENS0_10empty_typeEEEZNS1_10merge_implIS3_NS0_12zip_iteratorINS5_IJN6thrust23THRUST_200600_302600_NS6detail15normal_iteratorINSC_10device_ptrIKjEEEESI_EEEEESK_NSA_INS5_IJNSE_INSF_IjEEEESM_EEEEEPS7_SP_SP_NSC_11hip_rocprim7__merge17predicate_wrapperIjjNSC_4lessIjEEEEEE10hipError_tPvRmT0_T1_T2_T3_T4_T5_mmT6_P12ihipStream_tbEUlT_E0_NS1_11comp_targetILNS1_3genE4ELNS1_11target_archE910ELNS1_3gpuE8ELNS1_3repE0EEENS1_30default_config_static_selectorELNS0_4arch9wavefront6targetE0EEEvS10_,comdat
.Lfunc_end144:
	.size	_ZN7rocprim17ROCPRIM_400000_NS6detail17trampoline_kernelINS0_14default_configENS1_21merge_config_selectorINS0_5tupleIJjjEEENS0_10empty_typeEEEZNS1_10merge_implIS3_NS0_12zip_iteratorINS5_IJN6thrust23THRUST_200600_302600_NS6detail15normal_iteratorINSC_10device_ptrIKjEEEESI_EEEEESK_NSA_INS5_IJNSE_INSF_IjEEEESM_EEEEEPS7_SP_SP_NSC_11hip_rocprim7__merge17predicate_wrapperIjjNSC_4lessIjEEEEEE10hipError_tPvRmT0_T1_T2_T3_T4_T5_mmT6_P12ihipStream_tbEUlT_E0_NS1_11comp_targetILNS1_3genE4ELNS1_11target_archE910ELNS1_3gpuE8ELNS1_3repE0EEENS1_30default_config_static_selectorELNS0_4arch9wavefront6targetE0EEEvS10_, .Lfunc_end144-_ZN7rocprim17ROCPRIM_400000_NS6detail17trampoline_kernelINS0_14default_configENS1_21merge_config_selectorINS0_5tupleIJjjEEENS0_10empty_typeEEEZNS1_10merge_implIS3_NS0_12zip_iteratorINS5_IJN6thrust23THRUST_200600_302600_NS6detail15normal_iteratorINSC_10device_ptrIKjEEEESI_EEEEESK_NSA_INS5_IJNSE_INSF_IjEEEESM_EEEEEPS7_SP_SP_NSC_11hip_rocprim7__merge17predicate_wrapperIjjNSC_4lessIjEEEEEE10hipError_tPvRmT0_T1_T2_T3_T4_T5_mmT6_P12ihipStream_tbEUlT_E0_NS1_11comp_targetILNS1_3genE4ELNS1_11target_archE910ELNS1_3gpuE8ELNS1_3repE0EEENS1_30default_config_static_selectorELNS0_4arch9wavefront6targetE0EEEvS10_
                                        ; -- End function
	.set _ZN7rocprim17ROCPRIM_400000_NS6detail17trampoline_kernelINS0_14default_configENS1_21merge_config_selectorINS0_5tupleIJjjEEENS0_10empty_typeEEEZNS1_10merge_implIS3_NS0_12zip_iteratorINS5_IJN6thrust23THRUST_200600_302600_NS6detail15normal_iteratorINSC_10device_ptrIKjEEEESI_EEEEESK_NSA_INS5_IJNSE_INSF_IjEEEESM_EEEEEPS7_SP_SP_NSC_11hip_rocprim7__merge17predicate_wrapperIjjNSC_4lessIjEEEEEE10hipError_tPvRmT0_T1_T2_T3_T4_T5_mmT6_P12ihipStream_tbEUlT_E0_NS1_11comp_targetILNS1_3genE4ELNS1_11target_archE910ELNS1_3gpuE8ELNS1_3repE0EEENS1_30default_config_static_selectorELNS0_4arch9wavefront6targetE0EEEvS10_.num_vgpr, 0
	.set _ZN7rocprim17ROCPRIM_400000_NS6detail17trampoline_kernelINS0_14default_configENS1_21merge_config_selectorINS0_5tupleIJjjEEENS0_10empty_typeEEEZNS1_10merge_implIS3_NS0_12zip_iteratorINS5_IJN6thrust23THRUST_200600_302600_NS6detail15normal_iteratorINSC_10device_ptrIKjEEEESI_EEEEESK_NSA_INS5_IJNSE_INSF_IjEEEESM_EEEEEPS7_SP_SP_NSC_11hip_rocprim7__merge17predicate_wrapperIjjNSC_4lessIjEEEEEE10hipError_tPvRmT0_T1_T2_T3_T4_T5_mmT6_P12ihipStream_tbEUlT_E0_NS1_11comp_targetILNS1_3genE4ELNS1_11target_archE910ELNS1_3gpuE8ELNS1_3repE0EEENS1_30default_config_static_selectorELNS0_4arch9wavefront6targetE0EEEvS10_.num_agpr, 0
	.set _ZN7rocprim17ROCPRIM_400000_NS6detail17trampoline_kernelINS0_14default_configENS1_21merge_config_selectorINS0_5tupleIJjjEEENS0_10empty_typeEEEZNS1_10merge_implIS3_NS0_12zip_iteratorINS5_IJN6thrust23THRUST_200600_302600_NS6detail15normal_iteratorINSC_10device_ptrIKjEEEESI_EEEEESK_NSA_INS5_IJNSE_INSF_IjEEEESM_EEEEEPS7_SP_SP_NSC_11hip_rocprim7__merge17predicate_wrapperIjjNSC_4lessIjEEEEEE10hipError_tPvRmT0_T1_T2_T3_T4_T5_mmT6_P12ihipStream_tbEUlT_E0_NS1_11comp_targetILNS1_3genE4ELNS1_11target_archE910ELNS1_3gpuE8ELNS1_3repE0EEENS1_30default_config_static_selectorELNS0_4arch9wavefront6targetE0EEEvS10_.numbered_sgpr, 0
	.set _ZN7rocprim17ROCPRIM_400000_NS6detail17trampoline_kernelINS0_14default_configENS1_21merge_config_selectorINS0_5tupleIJjjEEENS0_10empty_typeEEEZNS1_10merge_implIS3_NS0_12zip_iteratorINS5_IJN6thrust23THRUST_200600_302600_NS6detail15normal_iteratorINSC_10device_ptrIKjEEEESI_EEEEESK_NSA_INS5_IJNSE_INSF_IjEEEESM_EEEEEPS7_SP_SP_NSC_11hip_rocprim7__merge17predicate_wrapperIjjNSC_4lessIjEEEEEE10hipError_tPvRmT0_T1_T2_T3_T4_T5_mmT6_P12ihipStream_tbEUlT_E0_NS1_11comp_targetILNS1_3genE4ELNS1_11target_archE910ELNS1_3gpuE8ELNS1_3repE0EEENS1_30default_config_static_selectorELNS0_4arch9wavefront6targetE0EEEvS10_.num_named_barrier, 0
	.set _ZN7rocprim17ROCPRIM_400000_NS6detail17trampoline_kernelINS0_14default_configENS1_21merge_config_selectorINS0_5tupleIJjjEEENS0_10empty_typeEEEZNS1_10merge_implIS3_NS0_12zip_iteratorINS5_IJN6thrust23THRUST_200600_302600_NS6detail15normal_iteratorINSC_10device_ptrIKjEEEESI_EEEEESK_NSA_INS5_IJNSE_INSF_IjEEEESM_EEEEEPS7_SP_SP_NSC_11hip_rocprim7__merge17predicate_wrapperIjjNSC_4lessIjEEEEEE10hipError_tPvRmT0_T1_T2_T3_T4_T5_mmT6_P12ihipStream_tbEUlT_E0_NS1_11comp_targetILNS1_3genE4ELNS1_11target_archE910ELNS1_3gpuE8ELNS1_3repE0EEENS1_30default_config_static_selectorELNS0_4arch9wavefront6targetE0EEEvS10_.private_seg_size, 0
	.set _ZN7rocprim17ROCPRIM_400000_NS6detail17trampoline_kernelINS0_14default_configENS1_21merge_config_selectorINS0_5tupleIJjjEEENS0_10empty_typeEEEZNS1_10merge_implIS3_NS0_12zip_iteratorINS5_IJN6thrust23THRUST_200600_302600_NS6detail15normal_iteratorINSC_10device_ptrIKjEEEESI_EEEEESK_NSA_INS5_IJNSE_INSF_IjEEEESM_EEEEEPS7_SP_SP_NSC_11hip_rocprim7__merge17predicate_wrapperIjjNSC_4lessIjEEEEEE10hipError_tPvRmT0_T1_T2_T3_T4_T5_mmT6_P12ihipStream_tbEUlT_E0_NS1_11comp_targetILNS1_3genE4ELNS1_11target_archE910ELNS1_3gpuE8ELNS1_3repE0EEENS1_30default_config_static_selectorELNS0_4arch9wavefront6targetE0EEEvS10_.uses_vcc, 0
	.set _ZN7rocprim17ROCPRIM_400000_NS6detail17trampoline_kernelINS0_14default_configENS1_21merge_config_selectorINS0_5tupleIJjjEEENS0_10empty_typeEEEZNS1_10merge_implIS3_NS0_12zip_iteratorINS5_IJN6thrust23THRUST_200600_302600_NS6detail15normal_iteratorINSC_10device_ptrIKjEEEESI_EEEEESK_NSA_INS5_IJNSE_INSF_IjEEEESM_EEEEEPS7_SP_SP_NSC_11hip_rocprim7__merge17predicate_wrapperIjjNSC_4lessIjEEEEEE10hipError_tPvRmT0_T1_T2_T3_T4_T5_mmT6_P12ihipStream_tbEUlT_E0_NS1_11comp_targetILNS1_3genE4ELNS1_11target_archE910ELNS1_3gpuE8ELNS1_3repE0EEENS1_30default_config_static_selectorELNS0_4arch9wavefront6targetE0EEEvS10_.uses_flat_scratch, 0
	.set _ZN7rocprim17ROCPRIM_400000_NS6detail17trampoline_kernelINS0_14default_configENS1_21merge_config_selectorINS0_5tupleIJjjEEENS0_10empty_typeEEEZNS1_10merge_implIS3_NS0_12zip_iteratorINS5_IJN6thrust23THRUST_200600_302600_NS6detail15normal_iteratorINSC_10device_ptrIKjEEEESI_EEEEESK_NSA_INS5_IJNSE_INSF_IjEEEESM_EEEEEPS7_SP_SP_NSC_11hip_rocprim7__merge17predicate_wrapperIjjNSC_4lessIjEEEEEE10hipError_tPvRmT0_T1_T2_T3_T4_T5_mmT6_P12ihipStream_tbEUlT_E0_NS1_11comp_targetILNS1_3genE4ELNS1_11target_archE910ELNS1_3gpuE8ELNS1_3repE0EEENS1_30default_config_static_selectorELNS0_4arch9wavefront6targetE0EEEvS10_.has_dyn_sized_stack, 0
	.set _ZN7rocprim17ROCPRIM_400000_NS6detail17trampoline_kernelINS0_14default_configENS1_21merge_config_selectorINS0_5tupleIJjjEEENS0_10empty_typeEEEZNS1_10merge_implIS3_NS0_12zip_iteratorINS5_IJN6thrust23THRUST_200600_302600_NS6detail15normal_iteratorINSC_10device_ptrIKjEEEESI_EEEEESK_NSA_INS5_IJNSE_INSF_IjEEEESM_EEEEEPS7_SP_SP_NSC_11hip_rocprim7__merge17predicate_wrapperIjjNSC_4lessIjEEEEEE10hipError_tPvRmT0_T1_T2_T3_T4_T5_mmT6_P12ihipStream_tbEUlT_E0_NS1_11comp_targetILNS1_3genE4ELNS1_11target_archE910ELNS1_3gpuE8ELNS1_3repE0EEENS1_30default_config_static_selectorELNS0_4arch9wavefront6targetE0EEEvS10_.has_recursion, 0
	.set _ZN7rocprim17ROCPRIM_400000_NS6detail17trampoline_kernelINS0_14default_configENS1_21merge_config_selectorINS0_5tupleIJjjEEENS0_10empty_typeEEEZNS1_10merge_implIS3_NS0_12zip_iteratorINS5_IJN6thrust23THRUST_200600_302600_NS6detail15normal_iteratorINSC_10device_ptrIKjEEEESI_EEEEESK_NSA_INS5_IJNSE_INSF_IjEEEESM_EEEEEPS7_SP_SP_NSC_11hip_rocprim7__merge17predicate_wrapperIjjNSC_4lessIjEEEEEE10hipError_tPvRmT0_T1_T2_T3_T4_T5_mmT6_P12ihipStream_tbEUlT_E0_NS1_11comp_targetILNS1_3genE4ELNS1_11target_archE910ELNS1_3gpuE8ELNS1_3repE0EEENS1_30default_config_static_selectorELNS0_4arch9wavefront6targetE0EEEvS10_.has_indirect_call, 0
	.section	.AMDGPU.csdata,"",@progbits
; Kernel info:
; codeLenInByte = 0
; TotalNumSgprs: 0
; NumVgprs: 0
; ScratchSize: 0
; MemoryBound: 0
; FloatMode: 240
; IeeeMode: 1
; LDSByteSize: 0 bytes/workgroup (compile time only)
; SGPRBlocks: 0
; VGPRBlocks: 0
; NumSGPRsForWavesPerEU: 1
; NumVGPRsForWavesPerEU: 1
; Occupancy: 16
; WaveLimiterHint : 0
; COMPUTE_PGM_RSRC2:SCRATCH_EN: 0
; COMPUTE_PGM_RSRC2:USER_SGPR: 6
; COMPUTE_PGM_RSRC2:TRAP_HANDLER: 0
; COMPUTE_PGM_RSRC2:TGID_X_EN: 1
; COMPUTE_PGM_RSRC2:TGID_Y_EN: 0
; COMPUTE_PGM_RSRC2:TGID_Z_EN: 0
; COMPUTE_PGM_RSRC2:TIDIG_COMP_CNT: 0
	.section	.text._ZN7rocprim17ROCPRIM_400000_NS6detail17trampoline_kernelINS0_14default_configENS1_21merge_config_selectorINS0_5tupleIJjjEEENS0_10empty_typeEEEZNS1_10merge_implIS3_NS0_12zip_iteratorINS5_IJN6thrust23THRUST_200600_302600_NS6detail15normal_iteratorINSC_10device_ptrIKjEEEESI_EEEEESK_NSA_INS5_IJNSE_INSF_IjEEEESM_EEEEEPS7_SP_SP_NSC_11hip_rocprim7__merge17predicate_wrapperIjjNSC_4lessIjEEEEEE10hipError_tPvRmT0_T1_T2_T3_T4_T5_mmT6_P12ihipStream_tbEUlT_E0_NS1_11comp_targetILNS1_3genE3ELNS1_11target_archE908ELNS1_3gpuE7ELNS1_3repE0EEENS1_30default_config_static_selectorELNS0_4arch9wavefront6targetE0EEEvS10_,"axG",@progbits,_ZN7rocprim17ROCPRIM_400000_NS6detail17trampoline_kernelINS0_14default_configENS1_21merge_config_selectorINS0_5tupleIJjjEEENS0_10empty_typeEEEZNS1_10merge_implIS3_NS0_12zip_iteratorINS5_IJN6thrust23THRUST_200600_302600_NS6detail15normal_iteratorINSC_10device_ptrIKjEEEESI_EEEEESK_NSA_INS5_IJNSE_INSF_IjEEEESM_EEEEEPS7_SP_SP_NSC_11hip_rocprim7__merge17predicate_wrapperIjjNSC_4lessIjEEEEEE10hipError_tPvRmT0_T1_T2_T3_T4_T5_mmT6_P12ihipStream_tbEUlT_E0_NS1_11comp_targetILNS1_3genE3ELNS1_11target_archE908ELNS1_3gpuE7ELNS1_3repE0EEENS1_30default_config_static_selectorELNS0_4arch9wavefront6targetE0EEEvS10_,comdat
	.protected	_ZN7rocprim17ROCPRIM_400000_NS6detail17trampoline_kernelINS0_14default_configENS1_21merge_config_selectorINS0_5tupleIJjjEEENS0_10empty_typeEEEZNS1_10merge_implIS3_NS0_12zip_iteratorINS5_IJN6thrust23THRUST_200600_302600_NS6detail15normal_iteratorINSC_10device_ptrIKjEEEESI_EEEEESK_NSA_INS5_IJNSE_INSF_IjEEEESM_EEEEEPS7_SP_SP_NSC_11hip_rocprim7__merge17predicate_wrapperIjjNSC_4lessIjEEEEEE10hipError_tPvRmT0_T1_T2_T3_T4_T5_mmT6_P12ihipStream_tbEUlT_E0_NS1_11comp_targetILNS1_3genE3ELNS1_11target_archE908ELNS1_3gpuE7ELNS1_3repE0EEENS1_30default_config_static_selectorELNS0_4arch9wavefront6targetE0EEEvS10_ ; -- Begin function _ZN7rocprim17ROCPRIM_400000_NS6detail17trampoline_kernelINS0_14default_configENS1_21merge_config_selectorINS0_5tupleIJjjEEENS0_10empty_typeEEEZNS1_10merge_implIS3_NS0_12zip_iteratorINS5_IJN6thrust23THRUST_200600_302600_NS6detail15normal_iteratorINSC_10device_ptrIKjEEEESI_EEEEESK_NSA_INS5_IJNSE_INSF_IjEEEESM_EEEEEPS7_SP_SP_NSC_11hip_rocprim7__merge17predicate_wrapperIjjNSC_4lessIjEEEEEE10hipError_tPvRmT0_T1_T2_T3_T4_T5_mmT6_P12ihipStream_tbEUlT_E0_NS1_11comp_targetILNS1_3genE3ELNS1_11target_archE908ELNS1_3gpuE7ELNS1_3repE0EEENS1_30default_config_static_selectorELNS0_4arch9wavefront6targetE0EEEvS10_
	.globl	_ZN7rocprim17ROCPRIM_400000_NS6detail17trampoline_kernelINS0_14default_configENS1_21merge_config_selectorINS0_5tupleIJjjEEENS0_10empty_typeEEEZNS1_10merge_implIS3_NS0_12zip_iteratorINS5_IJN6thrust23THRUST_200600_302600_NS6detail15normal_iteratorINSC_10device_ptrIKjEEEESI_EEEEESK_NSA_INS5_IJNSE_INSF_IjEEEESM_EEEEEPS7_SP_SP_NSC_11hip_rocprim7__merge17predicate_wrapperIjjNSC_4lessIjEEEEEE10hipError_tPvRmT0_T1_T2_T3_T4_T5_mmT6_P12ihipStream_tbEUlT_E0_NS1_11comp_targetILNS1_3genE3ELNS1_11target_archE908ELNS1_3gpuE7ELNS1_3repE0EEENS1_30default_config_static_selectorELNS0_4arch9wavefront6targetE0EEEvS10_
	.p2align	8
	.type	_ZN7rocprim17ROCPRIM_400000_NS6detail17trampoline_kernelINS0_14default_configENS1_21merge_config_selectorINS0_5tupleIJjjEEENS0_10empty_typeEEEZNS1_10merge_implIS3_NS0_12zip_iteratorINS5_IJN6thrust23THRUST_200600_302600_NS6detail15normal_iteratorINSC_10device_ptrIKjEEEESI_EEEEESK_NSA_INS5_IJNSE_INSF_IjEEEESM_EEEEEPS7_SP_SP_NSC_11hip_rocprim7__merge17predicate_wrapperIjjNSC_4lessIjEEEEEE10hipError_tPvRmT0_T1_T2_T3_T4_T5_mmT6_P12ihipStream_tbEUlT_E0_NS1_11comp_targetILNS1_3genE3ELNS1_11target_archE908ELNS1_3gpuE7ELNS1_3repE0EEENS1_30default_config_static_selectorELNS0_4arch9wavefront6targetE0EEEvS10_,@function
_ZN7rocprim17ROCPRIM_400000_NS6detail17trampoline_kernelINS0_14default_configENS1_21merge_config_selectorINS0_5tupleIJjjEEENS0_10empty_typeEEEZNS1_10merge_implIS3_NS0_12zip_iteratorINS5_IJN6thrust23THRUST_200600_302600_NS6detail15normal_iteratorINSC_10device_ptrIKjEEEESI_EEEEESK_NSA_INS5_IJNSE_INSF_IjEEEESM_EEEEEPS7_SP_SP_NSC_11hip_rocprim7__merge17predicate_wrapperIjjNSC_4lessIjEEEEEE10hipError_tPvRmT0_T1_T2_T3_T4_T5_mmT6_P12ihipStream_tbEUlT_E0_NS1_11comp_targetILNS1_3genE3ELNS1_11target_archE908ELNS1_3gpuE7ELNS1_3repE0EEENS1_30default_config_static_selectorELNS0_4arch9wavefront6targetE0EEEvS10_: ; @_ZN7rocprim17ROCPRIM_400000_NS6detail17trampoline_kernelINS0_14default_configENS1_21merge_config_selectorINS0_5tupleIJjjEEENS0_10empty_typeEEEZNS1_10merge_implIS3_NS0_12zip_iteratorINS5_IJN6thrust23THRUST_200600_302600_NS6detail15normal_iteratorINSC_10device_ptrIKjEEEESI_EEEEESK_NSA_INS5_IJNSE_INSF_IjEEEESM_EEEEEPS7_SP_SP_NSC_11hip_rocprim7__merge17predicate_wrapperIjjNSC_4lessIjEEEEEE10hipError_tPvRmT0_T1_T2_T3_T4_T5_mmT6_P12ihipStream_tbEUlT_E0_NS1_11comp_targetILNS1_3genE3ELNS1_11target_archE908ELNS1_3gpuE7ELNS1_3repE0EEENS1_30default_config_static_selectorELNS0_4arch9wavefront6targetE0EEEvS10_
; %bb.0:
	.section	.rodata,"a",@progbits
	.p2align	6, 0x0
	.amdhsa_kernel _ZN7rocprim17ROCPRIM_400000_NS6detail17trampoline_kernelINS0_14default_configENS1_21merge_config_selectorINS0_5tupleIJjjEEENS0_10empty_typeEEEZNS1_10merge_implIS3_NS0_12zip_iteratorINS5_IJN6thrust23THRUST_200600_302600_NS6detail15normal_iteratorINSC_10device_ptrIKjEEEESI_EEEEESK_NSA_INS5_IJNSE_INSF_IjEEEESM_EEEEEPS7_SP_SP_NSC_11hip_rocprim7__merge17predicate_wrapperIjjNSC_4lessIjEEEEEE10hipError_tPvRmT0_T1_T2_T3_T4_T5_mmT6_P12ihipStream_tbEUlT_E0_NS1_11comp_targetILNS1_3genE3ELNS1_11target_archE908ELNS1_3gpuE7ELNS1_3repE0EEENS1_30default_config_static_selectorELNS0_4arch9wavefront6targetE0EEEvS10_
		.amdhsa_group_segment_fixed_size 0
		.amdhsa_private_segment_fixed_size 0
		.amdhsa_kernarg_size 112
		.amdhsa_user_sgpr_count 6
		.amdhsa_user_sgpr_private_segment_buffer 1
		.amdhsa_user_sgpr_dispatch_ptr 0
		.amdhsa_user_sgpr_queue_ptr 0
		.amdhsa_user_sgpr_kernarg_segment_ptr 1
		.amdhsa_user_sgpr_dispatch_id 0
		.amdhsa_user_sgpr_flat_scratch_init 0
		.amdhsa_user_sgpr_private_segment_size 0
		.amdhsa_wavefront_size32 1
		.amdhsa_uses_dynamic_stack 0
		.amdhsa_system_sgpr_private_segment_wavefront_offset 0
		.amdhsa_system_sgpr_workgroup_id_x 1
		.amdhsa_system_sgpr_workgroup_id_y 0
		.amdhsa_system_sgpr_workgroup_id_z 0
		.amdhsa_system_sgpr_workgroup_info 0
		.amdhsa_system_vgpr_workitem_id 0
		.amdhsa_next_free_vgpr 1
		.amdhsa_next_free_sgpr 1
		.amdhsa_reserve_vcc 0
		.amdhsa_reserve_flat_scratch 0
		.amdhsa_float_round_mode_32 0
		.amdhsa_float_round_mode_16_64 0
		.amdhsa_float_denorm_mode_32 3
		.amdhsa_float_denorm_mode_16_64 3
		.amdhsa_dx10_clamp 1
		.amdhsa_ieee_mode 1
		.amdhsa_fp16_overflow 0
		.amdhsa_workgroup_processor_mode 1
		.amdhsa_memory_ordered 1
		.amdhsa_forward_progress 1
		.amdhsa_shared_vgpr_count 0
		.amdhsa_exception_fp_ieee_invalid_op 0
		.amdhsa_exception_fp_denorm_src 0
		.amdhsa_exception_fp_ieee_div_zero 0
		.amdhsa_exception_fp_ieee_overflow 0
		.amdhsa_exception_fp_ieee_underflow 0
		.amdhsa_exception_fp_ieee_inexact 0
		.amdhsa_exception_int_div_zero 0
	.end_amdhsa_kernel
	.section	.text._ZN7rocprim17ROCPRIM_400000_NS6detail17trampoline_kernelINS0_14default_configENS1_21merge_config_selectorINS0_5tupleIJjjEEENS0_10empty_typeEEEZNS1_10merge_implIS3_NS0_12zip_iteratorINS5_IJN6thrust23THRUST_200600_302600_NS6detail15normal_iteratorINSC_10device_ptrIKjEEEESI_EEEEESK_NSA_INS5_IJNSE_INSF_IjEEEESM_EEEEEPS7_SP_SP_NSC_11hip_rocprim7__merge17predicate_wrapperIjjNSC_4lessIjEEEEEE10hipError_tPvRmT0_T1_T2_T3_T4_T5_mmT6_P12ihipStream_tbEUlT_E0_NS1_11comp_targetILNS1_3genE3ELNS1_11target_archE908ELNS1_3gpuE7ELNS1_3repE0EEENS1_30default_config_static_selectorELNS0_4arch9wavefront6targetE0EEEvS10_,"axG",@progbits,_ZN7rocprim17ROCPRIM_400000_NS6detail17trampoline_kernelINS0_14default_configENS1_21merge_config_selectorINS0_5tupleIJjjEEENS0_10empty_typeEEEZNS1_10merge_implIS3_NS0_12zip_iteratorINS5_IJN6thrust23THRUST_200600_302600_NS6detail15normal_iteratorINSC_10device_ptrIKjEEEESI_EEEEESK_NSA_INS5_IJNSE_INSF_IjEEEESM_EEEEEPS7_SP_SP_NSC_11hip_rocprim7__merge17predicate_wrapperIjjNSC_4lessIjEEEEEE10hipError_tPvRmT0_T1_T2_T3_T4_T5_mmT6_P12ihipStream_tbEUlT_E0_NS1_11comp_targetILNS1_3genE3ELNS1_11target_archE908ELNS1_3gpuE7ELNS1_3repE0EEENS1_30default_config_static_selectorELNS0_4arch9wavefront6targetE0EEEvS10_,comdat
.Lfunc_end145:
	.size	_ZN7rocprim17ROCPRIM_400000_NS6detail17trampoline_kernelINS0_14default_configENS1_21merge_config_selectorINS0_5tupleIJjjEEENS0_10empty_typeEEEZNS1_10merge_implIS3_NS0_12zip_iteratorINS5_IJN6thrust23THRUST_200600_302600_NS6detail15normal_iteratorINSC_10device_ptrIKjEEEESI_EEEEESK_NSA_INS5_IJNSE_INSF_IjEEEESM_EEEEEPS7_SP_SP_NSC_11hip_rocprim7__merge17predicate_wrapperIjjNSC_4lessIjEEEEEE10hipError_tPvRmT0_T1_T2_T3_T4_T5_mmT6_P12ihipStream_tbEUlT_E0_NS1_11comp_targetILNS1_3genE3ELNS1_11target_archE908ELNS1_3gpuE7ELNS1_3repE0EEENS1_30default_config_static_selectorELNS0_4arch9wavefront6targetE0EEEvS10_, .Lfunc_end145-_ZN7rocprim17ROCPRIM_400000_NS6detail17trampoline_kernelINS0_14default_configENS1_21merge_config_selectorINS0_5tupleIJjjEEENS0_10empty_typeEEEZNS1_10merge_implIS3_NS0_12zip_iteratorINS5_IJN6thrust23THRUST_200600_302600_NS6detail15normal_iteratorINSC_10device_ptrIKjEEEESI_EEEEESK_NSA_INS5_IJNSE_INSF_IjEEEESM_EEEEEPS7_SP_SP_NSC_11hip_rocprim7__merge17predicate_wrapperIjjNSC_4lessIjEEEEEE10hipError_tPvRmT0_T1_T2_T3_T4_T5_mmT6_P12ihipStream_tbEUlT_E0_NS1_11comp_targetILNS1_3genE3ELNS1_11target_archE908ELNS1_3gpuE7ELNS1_3repE0EEENS1_30default_config_static_selectorELNS0_4arch9wavefront6targetE0EEEvS10_
                                        ; -- End function
	.set _ZN7rocprim17ROCPRIM_400000_NS6detail17trampoline_kernelINS0_14default_configENS1_21merge_config_selectorINS0_5tupleIJjjEEENS0_10empty_typeEEEZNS1_10merge_implIS3_NS0_12zip_iteratorINS5_IJN6thrust23THRUST_200600_302600_NS6detail15normal_iteratorINSC_10device_ptrIKjEEEESI_EEEEESK_NSA_INS5_IJNSE_INSF_IjEEEESM_EEEEEPS7_SP_SP_NSC_11hip_rocprim7__merge17predicate_wrapperIjjNSC_4lessIjEEEEEE10hipError_tPvRmT0_T1_T2_T3_T4_T5_mmT6_P12ihipStream_tbEUlT_E0_NS1_11comp_targetILNS1_3genE3ELNS1_11target_archE908ELNS1_3gpuE7ELNS1_3repE0EEENS1_30default_config_static_selectorELNS0_4arch9wavefront6targetE0EEEvS10_.num_vgpr, 0
	.set _ZN7rocprim17ROCPRIM_400000_NS6detail17trampoline_kernelINS0_14default_configENS1_21merge_config_selectorINS0_5tupleIJjjEEENS0_10empty_typeEEEZNS1_10merge_implIS3_NS0_12zip_iteratorINS5_IJN6thrust23THRUST_200600_302600_NS6detail15normal_iteratorINSC_10device_ptrIKjEEEESI_EEEEESK_NSA_INS5_IJNSE_INSF_IjEEEESM_EEEEEPS7_SP_SP_NSC_11hip_rocprim7__merge17predicate_wrapperIjjNSC_4lessIjEEEEEE10hipError_tPvRmT0_T1_T2_T3_T4_T5_mmT6_P12ihipStream_tbEUlT_E0_NS1_11comp_targetILNS1_3genE3ELNS1_11target_archE908ELNS1_3gpuE7ELNS1_3repE0EEENS1_30default_config_static_selectorELNS0_4arch9wavefront6targetE0EEEvS10_.num_agpr, 0
	.set _ZN7rocprim17ROCPRIM_400000_NS6detail17trampoline_kernelINS0_14default_configENS1_21merge_config_selectorINS0_5tupleIJjjEEENS0_10empty_typeEEEZNS1_10merge_implIS3_NS0_12zip_iteratorINS5_IJN6thrust23THRUST_200600_302600_NS6detail15normal_iteratorINSC_10device_ptrIKjEEEESI_EEEEESK_NSA_INS5_IJNSE_INSF_IjEEEESM_EEEEEPS7_SP_SP_NSC_11hip_rocprim7__merge17predicate_wrapperIjjNSC_4lessIjEEEEEE10hipError_tPvRmT0_T1_T2_T3_T4_T5_mmT6_P12ihipStream_tbEUlT_E0_NS1_11comp_targetILNS1_3genE3ELNS1_11target_archE908ELNS1_3gpuE7ELNS1_3repE0EEENS1_30default_config_static_selectorELNS0_4arch9wavefront6targetE0EEEvS10_.numbered_sgpr, 0
	.set _ZN7rocprim17ROCPRIM_400000_NS6detail17trampoline_kernelINS0_14default_configENS1_21merge_config_selectorINS0_5tupleIJjjEEENS0_10empty_typeEEEZNS1_10merge_implIS3_NS0_12zip_iteratorINS5_IJN6thrust23THRUST_200600_302600_NS6detail15normal_iteratorINSC_10device_ptrIKjEEEESI_EEEEESK_NSA_INS5_IJNSE_INSF_IjEEEESM_EEEEEPS7_SP_SP_NSC_11hip_rocprim7__merge17predicate_wrapperIjjNSC_4lessIjEEEEEE10hipError_tPvRmT0_T1_T2_T3_T4_T5_mmT6_P12ihipStream_tbEUlT_E0_NS1_11comp_targetILNS1_3genE3ELNS1_11target_archE908ELNS1_3gpuE7ELNS1_3repE0EEENS1_30default_config_static_selectorELNS0_4arch9wavefront6targetE0EEEvS10_.num_named_barrier, 0
	.set _ZN7rocprim17ROCPRIM_400000_NS6detail17trampoline_kernelINS0_14default_configENS1_21merge_config_selectorINS0_5tupleIJjjEEENS0_10empty_typeEEEZNS1_10merge_implIS3_NS0_12zip_iteratorINS5_IJN6thrust23THRUST_200600_302600_NS6detail15normal_iteratorINSC_10device_ptrIKjEEEESI_EEEEESK_NSA_INS5_IJNSE_INSF_IjEEEESM_EEEEEPS7_SP_SP_NSC_11hip_rocprim7__merge17predicate_wrapperIjjNSC_4lessIjEEEEEE10hipError_tPvRmT0_T1_T2_T3_T4_T5_mmT6_P12ihipStream_tbEUlT_E0_NS1_11comp_targetILNS1_3genE3ELNS1_11target_archE908ELNS1_3gpuE7ELNS1_3repE0EEENS1_30default_config_static_selectorELNS0_4arch9wavefront6targetE0EEEvS10_.private_seg_size, 0
	.set _ZN7rocprim17ROCPRIM_400000_NS6detail17trampoline_kernelINS0_14default_configENS1_21merge_config_selectorINS0_5tupleIJjjEEENS0_10empty_typeEEEZNS1_10merge_implIS3_NS0_12zip_iteratorINS5_IJN6thrust23THRUST_200600_302600_NS6detail15normal_iteratorINSC_10device_ptrIKjEEEESI_EEEEESK_NSA_INS5_IJNSE_INSF_IjEEEESM_EEEEEPS7_SP_SP_NSC_11hip_rocprim7__merge17predicate_wrapperIjjNSC_4lessIjEEEEEE10hipError_tPvRmT0_T1_T2_T3_T4_T5_mmT6_P12ihipStream_tbEUlT_E0_NS1_11comp_targetILNS1_3genE3ELNS1_11target_archE908ELNS1_3gpuE7ELNS1_3repE0EEENS1_30default_config_static_selectorELNS0_4arch9wavefront6targetE0EEEvS10_.uses_vcc, 0
	.set _ZN7rocprim17ROCPRIM_400000_NS6detail17trampoline_kernelINS0_14default_configENS1_21merge_config_selectorINS0_5tupleIJjjEEENS0_10empty_typeEEEZNS1_10merge_implIS3_NS0_12zip_iteratorINS5_IJN6thrust23THRUST_200600_302600_NS6detail15normal_iteratorINSC_10device_ptrIKjEEEESI_EEEEESK_NSA_INS5_IJNSE_INSF_IjEEEESM_EEEEEPS7_SP_SP_NSC_11hip_rocprim7__merge17predicate_wrapperIjjNSC_4lessIjEEEEEE10hipError_tPvRmT0_T1_T2_T3_T4_T5_mmT6_P12ihipStream_tbEUlT_E0_NS1_11comp_targetILNS1_3genE3ELNS1_11target_archE908ELNS1_3gpuE7ELNS1_3repE0EEENS1_30default_config_static_selectorELNS0_4arch9wavefront6targetE0EEEvS10_.uses_flat_scratch, 0
	.set _ZN7rocprim17ROCPRIM_400000_NS6detail17trampoline_kernelINS0_14default_configENS1_21merge_config_selectorINS0_5tupleIJjjEEENS0_10empty_typeEEEZNS1_10merge_implIS3_NS0_12zip_iteratorINS5_IJN6thrust23THRUST_200600_302600_NS6detail15normal_iteratorINSC_10device_ptrIKjEEEESI_EEEEESK_NSA_INS5_IJNSE_INSF_IjEEEESM_EEEEEPS7_SP_SP_NSC_11hip_rocprim7__merge17predicate_wrapperIjjNSC_4lessIjEEEEEE10hipError_tPvRmT0_T1_T2_T3_T4_T5_mmT6_P12ihipStream_tbEUlT_E0_NS1_11comp_targetILNS1_3genE3ELNS1_11target_archE908ELNS1_3gpuE7ELNS1_3repE0EEENS1_30default_config_static_selectorELNS0_4arch9wavefront6targetE0EEEvS10_.has_dyn_sized_stack, 0
	.set _ZN7rocprim17ROCPRIM_400000_NS6detail17trampoline_kernelINS0_14default_configENS1_21merge_config_selectorINS0_5tupleIJjjEEENS0_10empty_typeEEEZNS1_10merge_implIS3_NS0_12zip_iteratorINS5_IJN6thrust23THRUST_200600_302600_NS6detail15normal_iteratorINSC_10device_ptrIKjEEEESI_EEEEESK_NSA_INS5_IJNSE_INSF_IjEEEESM_EEEEEPS7_SP_SP_NSC_11hip_rocprim7__merge17predicate_wrapperIjjNSC_4lessIjEEEEEE10hipError_tPvRmT0_T1_T2_T3_T4_T5_mmT6_P12ihipStream_tbEUlT_E0_NS1_11comp_targetILNS1_3genE3ELNS1_11target_archE908ELNS1_3gpuE7ELNS1_3repE0EEENS1_30default_config_static_selectorELNS0_4arch9wavefront6targetE0EEEvS10_.has_recursion, 0
	.set _ZN7rocprim17ROCPRIM_400000_NS6detail17trampoline_kernelINS0_14default_configENS1_21merge_config_selectorINS0_5tupleIJjjEEENS0_10empty_typeEEEZNS1_10merge_implIS3_NS0_12zip_iteratorINS5_IJN6thrust23THRUST_200600_302600_NS6detail15normal_iteratorINSC_10device_ptrIKjEEEESI_EEEEESK_NSA_INS5_IJNSE_INSF_IjEEEESM_EEEEEPS7_SP_SP_NSC_11hip_rocprim7__merge17predicate_wrapperIjjNSC_4lessIjEEEEEE10hipError_tPvRmT0_T1_T2_T3_T4_T5_mmT6_P12ihipStream_tbEUlT_E0_NS1_11comp_targetILNS1_3genE3ELNS1_11target_archE908ELNS1_3gpuE7ELNS1_3repE0EEENS1_30default_config_static_selectorELNS0_4arch9wavefront6targetE0EEEvS10_.has_indirect_call, 0
	.section	.AMDGPU.csdata,"",@progbits
; Kernel info:
; codeLenInByte = 0
; TotalNumSgprs: 0
; NumVgprs: 0
; ScratchSize: 0
; MemoryBound: 0
; FloatMode: 240
; IeeeMode: 1
; LDSByteSize: 0 bytes/workgroup (compile time only)
; SGPRBlocks: 0
; VGPRBlocks: 0
; NumSGPRsForWavesPerEU: 1
; NumVGPRsForWavesPerEU: 1
; Occupancy: 16
; WaveLimiterHint : 0
; COMPUTE_PGM_RSRC2:SCRATCH_EN: 0
; COMPUTE_PGM_RSRC2:USER_SGPR: 6
; COMPUTE_PGM_RSRC2:TRAP_HANDLER: 0
; COMPUTE_PGM_RSRC2:TGID_X_EN: 1
; COMPUTE_PGM_RSRC2:TGID_Y_EN: 0
; COMPUTE_PGM_RSRC2:TGID_Z_EN: 0
; COMPUTE_PGM_RSRC2:TIDIG_COMP_CNT: 0
	.section	.text._ZN7rocprim17ROCPRIM_400000_NS6detail17trampoline_kernelINS0_14default_configENS1_21merge_config_selectorINS0_5tupleIJjjEEENS0_10empty_typeEEEZNS1_10merge_implIS3_NS0_12zip_iteratorINS5_IJN6thrust23THRUST_200600_302600_NS6detail15normal_iteratorINSC_10device_ptrIKjEEEESI_EEEEESK_NSA_INS5_IJNSE_INSF_IjEEEESM_EEEEEPS7_SP_SP_NSC_11hip_rocprim7__merge17predicate_wrapperIjjNSC_4lessIjEEEEEE10hipError_tPvRmT0_T1_T2_T3_T4_T5_mmT6_P12ihipStream_tbEUlT_E0_NS1_11comp_targetILNS1_3genE2ELNS1_11target_archE906ELNS1_3gpuE6ELNS1_3repE0EEENS1_30default_config_static_selectorELNS0_4arch9wavefront6targetE0EEEvS10_,"axG",@progbits,_ZN7rocprim17ROCPRIM_400000_NS6detail17trampoline_kernelINS0_14default_configENS1_21merge_config_selectorINS0_5tupleIJjjEEENS0_10empty_typeEEEZNS1_10merge_implIS3_NS0_12zip_iteratorINS5_IJN6thrust23THRUST_200600_302600_NS6detail15normal_iteratorINSC_10device_ptrIKjEEEESI_EEEEESK_NSA_INS5_IJNSE_INSF_IjEEEESM_EEEEEPS7_SP_SP_NSC_11hip_rocprim7__merge17predicate_wrapperIjjNSC_4lessIjEEEEEE10hipError_tPvRmT0_T1_T2_T3_T4_T5_mmT6_P12ihipStream_tbEUlT_E0_NS1_11comp_targetILNS1_3genE2ELNS1_11target_archE906ELNS1_3gpuE6ELNS1_3repE0EEENS1_30default_config_static_selectorELNS0_4arch9wavefront6targetE0EEEvS10_,comdat
	.protected	_ZN7rocprim17ROCPRIM_400000_NS6detail17trampoline_kernelINS0_14default_configENS1_21merge_config_selectorINS0_5tupleIJjjEEENS0_10empty_typeEEEZNS1_10merge_implIS3_NS0_12zip_iteratorINS5_IJN6thrust23THRUST_200600_302600_NS6detail15normal_iteratorINSC_10device_ptrIKjEEEESI_EEEEESK_NSA_INS5_IJNSE_INSF_IjEEEESM_EEEEEPS7_SP_SP_NSC_11hip_rocprim7__merge17predicate_wrapperIjjNSC_4lessIjEEEEEE10hipError_tPvRmT0_T1_T2_T3_T4_T5_mmT6_P12ihipStream_tbEUlT_E0_NS1_11comp_targetILNS1_3genE2ELNS1_11target_archE906ELNS1_3gpuE6ELNS1_3repE0EEENS1_30default_config_static_selectorELNS0_4arch9wavefront6targetE0EEEvS10_ ; -- Begin function _ZN7rocprim17ROCPRIM_400000_NS6detail17trampoline_kernelINS0_14default_configENS1_21merge_config_selectorINS0_5tupleIJjjEEENS0_10empty_typeEEEZNS1_10merge_implIS3_NS0_12zip_iteratorINS5_IJN6thrust23THRUST_200600_302600_NS6detail15normal_iteratorINSC_10device_ptrIKjEEEESI_EEEEESK_NSA_INS5_IJNSE_INSF_IjEEEESM_EEEEEPS7_SP_SP_NSC_11hip_rocprim7__merge17predicate_wrapperIjjNSC_4lessIjEEEEEE10hipError_tPvRmT0_T1_T2_T3_T4_T5_mmT6_P12ihipStream_tbEUlT_E0_NS1_11comp_targetILNS1_3genE2ELNS1_11target_archE906ELNS1_3gpuE6ELNS1_3repE0EEENS1_30default_config_static_selectorELNS0_4arch9wavefront6targetE0EEEvS10_
	.globl	_ZN7rocprim17ROCPRIM_400000_NS6detail17trampoline_kernelINS0_14default_configENS1_21merge_config_selectorINS0_5tupleIJjjEEENS0_10empty_typeEEEZNS1_10merge_implIS3_NS0_12zip_iteratorINS5_IJN6thrust23THRUST_200600_302600_NS6detail15normal_iteratorINSC_10device_ptrIKjEEEESI_EEEEESK_NSA_INS5_IJNSE_INSF_IjEEEESM_EEEEEPS7_SP_SP_NSC_11hip_rocprim7__merge17predicate_wrapperIjjNSC_4lessIjEEEEEE10hipError_tPvRmT0_T1_T2_T3_T4_T5_mmT6_P12ihipStream_tbEUlT_E0_NS1_11comp_targetILNS1_3genE2ELNS1_11target_archE906ELNS1_3gpuE6ELNS1_3repE0EEENS1_30default_config_static_selectorELNS0_4arch9wavefront6targetE0EEEvS10_
	.p2align	8
	.type	_ZN7rocprim17ROCPRIM_400000_NS6detail17trampoline_kernelINS0_14default_configENS1_21merge_config_selectorINS0_5tupleIJjjEEENS0_10empty_typeEEEZNS1_10merge_implIS3_NS0_12zip_iteratorINS5_IJN6thrust23THRUST_200600_302600_NS6detail15normal_iteratorINSC_10device_ptrIKjEEEESI_EEEEESK_NSA_INS5_IJNSE_INSF_IjEEEESM_EEEEEPS7_SP_SP_NSC_11hip_rocprim7__merge17predicate_wrapperIjjNSC_4lessIjEEEEEE10hipError_tPvRmT0_T1_T2_T3_T4_T5_mmT6_P12ihipStream_tbEUlT_E0_NS1_11comp_targetILNS1_3genE2ELNS1_11target_archE906ELNS1_3gpuE6ELNS1_3repE0EEENS1_30default_config_static_selectorELNS0_4arch9wavefront6targetE0EEEvS10_,@function
_ZN7rocprim17ROCPRIM_400000_NS6detail17trampoline_kernelINS0_14default_configENS1_21merge_config_selectorINS0_5tupleIJjjEEENS0_10empty_typeEEEZNS1_10merge_implIS3_NS0_12zip_iteratorINS5_IJN6thrust23THRUST_200600_302600_NS6detail15normal_iteratorINSC_10device_ptrIKjEEEESI_EEEEESK_NSA_INS5_IJNSE_INSF_IjEEEESM_EEEEEPS7_SP_SP_NSC_11hip_rocprim7__merge17predicate_wrapperIjjNSC_4lessIjEEEEEE10hipError_tPvRmT0_T1_T2_T3_T4_T5_mmT6_P12ihipStream_tbEUlT_E0_NS1_11comp_targetILNS1_3genE2ELNS1_11target_archE906ELNS1_3gpuE6ELNS1_3repE0EEENS1_30default_config_static_selectorELNS0_4arch9wavefront6targetE0EEEvS10_: ; @_ZN7rocprim17ROCPRIM_400000_NS6detail17trampoline_kernelINS0_14default_configENS1_21merge_config_selectorINS0_5tupleIJjjEEENS0_10empty_typeEEEZNS1_10merge_implIS3_NS0_12zip_iteratorINS5_IJN6thrust23THRUST_200600_302600_NS6detail15normal_iteratorINSC_10device_ptrIKjEEEESI_EEEEESK_NSA_INS5_IJNSE_INSF_IjEEEESM_EEEEEPS7_SP_SP_NSC_11hip_rocprim7__merge17predicate_wrapperIjjNSC_4lessIjEEEEEE10hipError_tPvRmT0_T1_T2_T3_T4_T5_mmT6_P12ihipStream_tbEUlT_E0_NS1_11comp_targetILNS1_3genE2ELNS1_11target_archE906ELNS1_3gpuE6ELNS1_3repE0EEENS1_30default_config_static_selectorELNS0_4arch9wavefront6targetE0EEEvS10_
; %bb.0:
	.section	.rodata,"a",@progbits
	.p2align	6, 0x0
	.amdhsa_kernel _ZN7rocprim17ROCPRIM_400000_NS6detail17trampoline_kernelINS0_14default_configENS1_21merge_config_selectorINS0_5tupleIJjjEEENS0_10empty_typeEEEZNS1_10merge_implIS3_NS0_12zip_iteratorINS5_IJN6thrust23THRUST_200600_302600_NS6detail15normal_iteratorINSC_10device_ptrIKjEEEESI_EEEEESK_NSA_INS5_IJNSE_INSF_IjEEEESM_EEEEEPS7_SP_SP_NSC_11hip_rocprim7__merge17predicate_wrapperIjjNSC_4lessIjEEEEEE10hipError_tPvRmT0_T1_T2_T3_T4_T5_mmT6_P12ihipStream_tbEUlT_E0_NS1_11comp_targetILNS1_3genE2ELNS1_11target_archE906ELNS1_3gpuE6ELNS1_3repE0EEENS1_30default_config_static_selectorELNS0_4arch9wavefront6targetE0EEEvS10_
		.amdhsa_group_segment_fixed_size 0
		.amdhsa_private_segment_fixed_size 0
		.amdhsa_kernarg_size 112
		.amdhsa_user_sgpr_count 6
		.amdhsa_user_sgpr_private_segment_buffer 1
		.amdhsa_user_sgpr_dispatch_ptr 0
		.amdhsa_user_sgpr_queue_ptr 0
		.amdhsa_user_sgpr_kernarg_segment_ptr 1
		.amdhsa_user_sgpr_dispatch_id 0
		.amdhsa_user_sgpr_flat_scratch_init 0
		.amdhsa_user_sgpr_private_segment_size 0
		.amdhsa_wavefront_size32 1
		.amdhsa_uses_dynamic_stack 0
		.amdhsa_system_sgpr_private_segment_wavefront_offset 0
		.amdhsa_system_sgpr_workgroup_id_x 1
		.amdhsa_system_sgpr_workgroup_id_y 0
		.amdhsa_system_sgpr_workgroup_id_z 0
		.amdhsa_system_sgpr_workgroup_info 0
		.amdhsa_system_vgpr_workitem_id 0
		.amdhsa_next_free_vgpr 1
		.amdhsa_next_free_sgpr 1
		.amdhsa_reserve_vcc 0
		.amdhsa_reserve_flat_scratch 0
		.amdhsa_float_round_mode_32 0
		.amdhsa_float_round_mode_16_64 0
		.amdhsa_float_denorm_mode_32 3
		.amdhsa_float_denorm_mode_16_64 3
		.amdhsa_dx10_clamp 1
		.amdhsa_ieee_mode 1
		.amdhsa_fp16_overflow 0
		.amdhsa_workgroup_processor_mode 1
		.amdhsa_memory_ordered 1
		.amdhsa_forward_progress 1
		.amdhsa_shared_vgpr_count 0
		.amdhsa_exception_fp_ieee_invalid_op 0
		.amdhsa_exception_fp_denorm_src 0
		.amdhsa_exception_fp_ieee_div_zero 0
		.amdhsa_exception_fp_ieee_overflow 0
		.amdhsa_exception_fp_ieee_underflow 0
		.amdhsa_exception_fp_ieee_inexact 0
		.amdhsa_exception_int_div_zero 0
	.end_amdhsa_kernel
	.section	.text._ZN7rocprim17ROCPRIM_400000_NS6detail17trampoline_kernelINS0_14default_configENS1_21merge_config_selectorINS0_5tupleIJjjEEENS0_10empty_typeEEEZNS1_10merge_implIS3_NS0_12zip_iteratorINS5_IJN6thrust23THRUST_200600_302600_NS6detail15normal_iteratorINSC_10device_ptrIKjEEEESI_EEEEESK_NSA_INS5_IJNSE_INSF_IjEEEESM_EEEEEPS7_SP_SP_NSC_11hip_rocprim7__merge17predicate_wrapperIjjNSC_4lessIjEEEEEE10hipError_tPvRmT0_T1_T2_T3_T4_T5_mmT6_P12ihipStream_tbEUlT_E0_NS1_11comp_targetILNS1_3genE2ELNS1_11target_archE906ELNS1_3gpuE6ELNS1_3repE0EEENS1_30default_config_static_selectorELNS0_4arch9wavefront6targetE0EEEvS10_,"axG",@progbits,_ZN7rocprim17ROCPRIM_400000_NS6detail17trampoline_kernelINS0_14default_configENS1_21merge_config_selectorINS0_5tupleIJjjEEENS0_10empty_typeEEEZNS1_10merge_implIS3_NS0_12zip_iteratorINS5_IJN6thrust23THRUST_200600_302600_NS6detail15normal_iteratorINSC_10device_ptrIKjEEEESI_EEEEESK_NSA_INS5_IJNSE_INSF_IjEEEESM_EEEEEPS7_SP_SP_NSC_11hip_rocprim7__merge17predicate_wrapperIjjNSC_4lessIjEEEEEE10hipError_tPvRmT0_T1_T2_T3_T4_T5_mmT6_P12ihipStream_tbEUlT_E0_NS1_11comp_targetILNS1_3genE2ELNS1_11target_archE906ELNS1_3gpuE6ELNS1_3repE0EEENS1_30default_config_static_selectorELNS0_4arch9wavefront6targetE0EEEvS10_,comdat
.Lfunc_end146:
	.size	_ZN7rocprim17ROCPRIM_400000_NS6detail17trampoline_kernelINS0_14default_configENS1_21merge_config_selectorINS0_5tupleIJjjEEENS0_10empty_typeEEEZNS1_10merge_implIS3_NS0_12zip_iteratorINS5_IJN6thrust23THRUST_200600_302600_NS6detail15normal_iteratorINSC_10device_ptrIKjEEEESI_EEEEESK_NSA_INS5_IJNSE_INSF_IjEEEESM_EEEEEPS7_SP_SP_NSC_11hip_rocprim7__merge17predicate_wrapperIjjNSC_4lessIjEEEEEE10hipError_tPvRmT0_T1_T2_T3_T4_T5_mmT6_P12ihipStream_tbEUlT_E0_NS1_11comp_targetILNS1_3genE2ELNS1_11target_archE906ELNS1_3gpuE6ELNS1_3repE0EEENS1_30default_config_static_selectorELNS0_4arch9wavefront6targetE0EEEvS10_, .Lfunc_end146-_ZN7rocprim17ROCPRIM_400000_NS6detail17trampoline_kernelINS0_14default_configENS1_21merge_config_selectorINS0_5tupleIJjjEEENS0_10empty_typeEEEZNS1_10merge_implIS3_NS0_12zip_iteratorINS5_IJN6thrust23THRUST_200600_302600_NS6detail15normal_iteratorINSC_10device_ptrIKjEEEESI_EEEEESK_NSA_INS5_IJNSE_INSF_IjEEEESM_EEEEEPS7_SP_SP_NSC_11hip_rocprim7__merge17predicate_wrapperIjjNSC_4lessIjEEEEEE10hipError_tPvRmT0_T1_T2_T3_T4_T5_mmT6_P12ihipStream_tbEUlT_E0_NS1_11comp_targetILNS1_3genE2ELNS1_11target_archE906ELNS1_3gpuE6ELNS1_3repE0EEENS1_30default_config_static_selectorELNS0_4arch9wavefront6targetE0EEEvS10_
                                        ; -- End function
	.set _ZN7rocprim17ROCPRIM_400000_NS6detail17trampoline_kernelINS0_14default_configENS1_21merge_config_selectorINS0_5tupleIJjjEEENS0_10empty_typeEEEZNS1_10merge_implIS3_NS0_12zip_iteratorINS5_IJN6thrust23THRUST_200600_302600_NS6detail15normal_iteratorINSC_10device_ptrIKjEEEESI_EEEEESK_NSA_INS5_IJNSE_INSF_IjEEEESM_EEEEEPS7_SP_SP_NSC_11hip_rocprim7__merge17predicate_wrapperIjjNSC_4lessIjEEEEEE10hipError_tPvRmT0_T1_T2_T3_T4_T5_mmT6_P12ihipStream_tbEUlT_E0_NS1_11comp_targetILNS1_3genE2ELNS1_11target_archE906ELNS1_3gpuE6ELNS1_3repE0EEENS1_30default_config_static_selectorELNS0_4arch9wavefront6targetE0EEEvS10_.num_vgpr, 0
	.set _ZN7rocprim17ROCPRIM_400000_NS6detail17trampoline_kernelINS0_14default_configENS1_21merge_config_selectorINS0_5tupleIJjjEEENS0_10empty_typeEEEZNS1_10merge_implIS3_NS0_12zip_iteratorINS5_IJN6thrust23THRUST_200600_302600_NS6detail15normal_iteratorINSC_10device_ptrIKjEEEESI_EEEEESK_NSA_INS5_IJNSE_INSF_IjEEEESM_EEEEEPS7_SP_SP_NSC_11hip_rocprim7__merge17predicate_wrapperIjjNSC_4lessIjEEEEEE10hipError_tPvRmT0_T1_T2_T3_T4_T5_mmT6_P12ihipStream_tbEUlT_E0_NS1_11comp_targetILNS1_3genE2ELNS1_11target_archE906ELNS1_3gpuE6ELNS1_3repE0EEENS1_30default_config_static_selectorELNS0_4arch9wavefront6targetE0EEEvS10_.num_agpr, 0
	.set _ZN7rocprim17ROCPRIM_400000_NS6detail17trampoline_kernelINS0_14default_configENS1_21merge_config_selectorINS0_5tupleIJjjEEENS0_10empty_typeEEEZNS1_10merge_implIS3_NS0_12zip_iteratorINS5_IJN6thrust23THRUST_200600_302600_NS6detail15normal_iteratorINSC_10device_ptrIKjEEEESI_EEEEESK_NSA_INS5_IJNSE_INSF_IjEEEESM_EEEEEPS7_SP_SP_NSC_11hip_rocprim7__merge17predicate_wrapperIjjNSC_4lessIjEEEEEE10hipError_tPvRmT0_T1_T2_T3_T4_T5_mmT6_P12ihipStream_tbEUlT_E0_NS1_11comp_targetILNS1_3genE2ELNS1_11target_archE906ELNS1_3gpuE6ELNS1_3repE0EEENS1_30default_config_static_selectorELNS0_4arch9wavefront6targetE0EEEvS10_.numbered_sgpr, 0
	.set _ZN7rocprim17ROCPRIM_400000_NS6detail17trampoline_kernelINS0_14default_configENS1_21merge_config_selectorINS0_5tupleIJjjEEENS0_10empty_typeEEEZNS1_10merge_implIS3_NS0_12zip_iteratorINS5_IJN6thrust23THRUST_200600_302600_NS6detail15normal_iteratorINSC_10device_ptrIKjEEEESI_EEEEESK_NSA_INS5_IJNSE_INSF_IjEEEESM_EEEEEPS7_SP_SP_NSC_11hip_rocprim7__merge17predicate_wrapperIjjNSC_4lessIjEEEEEE10hipError_tPvRmT0_T1_T2_T3_T4_T5_mmT6_P12ihipStream_tbEUlT_E0_NS1_11comp_targetILNS1_3genE2ELNS1_11target_archE906ELNS1_3gpuE6ELNS1_3repE0EEENS1_30default_config_static_selectorELNS0_4arch9wavefront6targetE0EEEvS10_.num_named_barrier, 0
	.set _ZN7rocprim17ROCPRIM_400000_NS6detail17trampoline_kernelINS0_14default_configENS1_21merge_config_selectorINS0_5tupleIJjjEEENS0_10empty_typeEEEZNS1_10merge_implIS3_NS0_12zip_iteratorINS5_IJN6thrust23THRUST_200600_302600_NS6detail15normal_iteratorINSC_10device_ptrIKjEEEESI_EEEEESK_NSA_INS5_IJNSE_INSF_IjEEEESM_EEEEEPS7_SP_SP_NSC_11hip_rocprim7__merge17predicate_wrapperIjjNSC_4lessIjEEEEEE10hipError_tPvRmT0_T1_T2_T3_T4_T5_mmT6_P12ihipStream_tbEUlT_E0_NS1_11comp_targetILNS1_3genE2ELNS1_11target_archE906ELNS1_3gpuE6ELNS1_3repE0EEENS1_30default_config_static_selectorELNS0_4arch9wavefront6targetE0EEEvS10_.private_seg_size, 0
	.set _ZN7rocprim17ROCPRIM_400000_NS6detail17trampoline_kernelINS0_14default_configENS1_21merge_config_selectorINS0_5tupleIJjjEEENS0_10empty_typeEEEZNS1_10merge_implIS3_NS0_12zip_iteratorINS5_IJN6thrust23THRUST_200600_302600_NS6detail15normal_iteratorINSC_10device_ptrIKjEEEESI_EEEEESK_NSA_INS5_IJNSE_INSF_IjEEEESM_EEEEEPS7_SP_SP_NSC_11hip_rocprim7__merge17predicate_wrapperIjjNSC_4lessIjEEEEEE10hipError_tPvRmT0_T1_T2_T3_T4_T5_mmT6_P12ihipStream_tbEUlT_E0_NS1_11comp_targetILNS1_3genE2ELNS1_11target_archE906ELNS1_3gpuE6ELNS1_3repE0EEENS1_30default_config_static_selectorELNS0_4arch9wavefront6targetE0EEEvS10_.uses_vcc, 0
	.set _ZN7rocprim17ROCPRIM_400000_NS6detail17trampoline_kernelINS0_14default_configENS1_21merge_config_selectorINS0_5tupleIJjjEEENS0_10empty_typeEEEZNS1_10merge_implIS3_NS0_12zip_iteratorINS5_IJN6thrust23THRUST_200600_302600_NS6detail15normal_iteratorINSC_10device_ptrIKjEEEESI_EEEEESK_NSA_INS5_IJNSE_INSF_IjEEEESM_EEEEEPS7_SP_SP_NSC_11hip_rocprim7__merge17predicate_wrapperIjjNSC_4lessIjEEEEEE10hipError_tPvRmT0_T1_T2_T3_T4_T5_mmT6_P12ihipStream_tbEUlT_E0_NS1_11comp_targetILNS1_3genE2ELNS1_11target_archE906ELNS1_3gpuE6ELNS1_3repE0EEENS1_30default_config_static_selectorELNS0_4arch9wavefront6targetE0EEEvS10_.uses_flat_scratch, 0
	.set _ZN7rocprim17ROCPRIM_400000_NS6detail17trampoline_kernelINS0_14default_configENS1_21merge_config_selectorINS0_5tupleIJjjEEENS0_10empty_typeEEEZNS1_10merge_implIS3_NS0_12zip_iteratorINS5_IJN6thrust23THRUST_200600_302600_NS6detail15normal_iteratorINSC_10device_ptrIKjEEEESI_EEEEESK_NSA_INS5_IJNSE_INSF_IjEEEESM_EEEEEPS7_SP_SP_NSC_11hip_rocprim7__merge17predicate_wrapperIjjNSC_4lessIjEEEEEE10hipError_tPvRmT0_T1_T2_T3_T4_T5_mmT6_P12ihipStream_tbEUlT_E0_NS1_11comp_targetILNS1_3genE2ELNS1_11target_archE906ELNS1_3gpuE6ELNS1_3repE0EEENS1_30default_config_static_selectorELNS0_4arch9wavefront6targetE0EEEvS10_.has_dyn_sized_stack, 0
	.set _ZN7rocprim17ROCPRIM_400000_NS6detail17trampoline_kernelINS0_14default_configENS1_21merge_config_selectorINS0_5tupleIJjjEEENS0_10empty_typeEEEZNS1_10merge_implIS3_NS0_12zip_iteratorINS5_IJN6thrust23THRUST_200600_302600_NS6detail15normal_iteratorINSC_10device_ptrIKjEEEESI_EEEEESK_NSA_INS5_IJNSE_INSF_IjEEEESM_EEEEEPS7_SP_SP_NSC_11hip_rocprim7__merge17predicate_wrapperIjjNSC_4lessIjEEEEEE10hipError_tPvRmT0_T1_T2_T3_T4_T5_mmT6_P12ihipStream_tbEUlT_E0_NS1_11comp_targetILNS1_3genE2ELNS1_11target_archE906ELNS1_3gpuE6ELNS1_3repE0EEENS1_30default_config_static_selectorELNS0_4arch9wavefront6targetE0EEEvS10_.has_recursion, 0
	.set _ZN7rocprim17ROCPRIM_400000_NS6detail17trampoline_kernelINS0_14default_configENS1_21merge_config_selectorINS0_5tupleIJjjEEENS0_10empty_typeEEEZNS1_10merge_implIS3_NS0_12zip_iteratorINS5_IJN6thrust23THRUST_200600_302600_NS6detail15normal_iteratorINSC_10device_ptrIKjEEEESI_EEEEESK_NSA_INS5_IJNSE_INSF_IjEEEESM_EEEEEPS7_SP_SP_NSC_11hip_rocprim7__merge17predicate_wrapperIjjNSC_4lessIjEEEEEE10hipError_tPvRmT0_T1_T2_T3_T4_T5_mmT6_P12ihipStream_tbEUlT_E0_NS1_11comp_targetILNS1_3genE2ELNS1_11target_archE906ELNS1_3gpuE6ELNS1_3repE0EEENS1_30default_config_static_selectorELNS0_4arch9wavefront6targetE0EEEvS10_.has_indirect_call, 0
	.section	.AMDGPU.csdata,"",@progbits
; Kernel info:
; codeLenInByte = 0
; TotalNumSgprs: 0
; NumVgprs: 0
; ScratchSize: 0
; MemoryBound: 0
; FloatMode: 240
; IeeeMode: 1
; LDSByteSize: 0 bytes/workgroup (compile time only)
; SGPRBlocks: 0
; VGPRBlocks: 0
; NumSGPRsForWavesPerEU: 1
; NumVGPRsForWavesPerEU: 1
; Occupancy: 16
; WaveLimiterHint : 0
; COMPUTE_PGM_RSRC2:SCRATCH_EN: 0
; COMPUTE_PGM_RSRC2:USER_SGPR: 6
; COMPUTE_PGM_RSRC2:TRAP_HANDLER: 0
; COMPUTE_PGM_RSRC2:TGID_X_EN: 1
; COMPUTE_PGM_RSRC2:TGID_Y_EN: 0
; COMPUTE_PGM_RSRC2:TGID_Z_EN: 0
; COMPUTE_PGM_RSRC2:TIDIG_COMP_CNT: 0
	.section	.text._ZN7rocprim17ROCPRIM_400000_NS6detail17trampoline_kernelINS0_14default_configENS1_21merge_config_selectorINS0_5tupleIJjjEEENS0_10empty_typeEEEZNS1_10merge_implIS3_NS0_12zip_iteratorINS5_IJN6thrust23THRUST_200600_302600_NS6detail15normal_iteratorINSC_10device_ptrIKjEEEESI_EEEEESK_NSA_INS5_IJNSE_INSF_IjEEEESM_EEEEEPS7_SP_SP_NSC_11hip_rocprim7__merge17predicate_wrapperIjjNSC_4lessIjEEEEEE10hipError_tPvRmT0_T1_T2_T3_T4_T5_mmT6_P12ihipStream_tbEUlT_E0_NS1_11comp_targetILNS1_3genE10ELNS1_11target_archE1201ELNS1_3gpuE5ELNS1_3repE0EEENS1_30default_config_static_selectorELNS0_4arch9wavefront6targetE0EEEvS10_,"axG",@progbits,_ZN7rocprim17ROCPRIM_400000_NS6detail17trampoline_kernelINS0_14default_configENS1_21merge_config_selectorINS0_5tupleIJjjEEENS0_10empty_typeEEEZNS1_10merge_implIS3_NS0_12zip_iteratorINS5_IJN6thrust23THRUST_200600_302600_NS6detail15normal_iteratorINSC_10device_ptrIKjEEEESI_EEEEESK_NSA_INS5_IJNSE_INSF_IjEEEESM_EEEEEPS7_SP_SP_NSC_11hip_rocprim7__merge17predicate_wrapperIjjNSC_4lessIjEEEEEE10hipError_tPvRmT0_T1_T2_T3_T4_T5_mmT6_P12ihipStream_tbEUlT_E0_NS1_11comp_targetILNS1_3genE10ELNS1_11target_archE1201ELNS1_3gpuE5ELNS1_3repE0EEENS1_30default_config_static_selectorELNS0_4arch9wavefront6targetE0EEEvS10_,comdat
	.protected	_ZN7rocprim17ROCPRIM_400000_NS6detail17trampoline_kernelINS0_14default_configENS1_21merge_config_selectorINS0_5tupleIJjjEEENS0_10empty_typeEEEZNS1_10merge_implIS3_NS0_12zip_iteratorINS5_IJN6thrust23THRUST_200600_302600_NS6detail15normal_iteratorINSC_10device_ptrIKjEEEESI_EEEEESK_NSA_INS5_IJNSE_INSF_IjEEEESM_EEEEEPS7_SP_SP_NSC_11hip_rocprim7__merge17predicate_wrapperIjjNSC_4lessIjEEEEEE10hipError_tPvRmT0_T1_T2_T3_T4_T5_mmT6_P12ihipStream_tbEUlT_E0_NS1_11comp_targetILNS1_3genE10ELNS1_11target_archE1201ELNS1_3gpuE5ELNS1_3repE0EEENS1_30default_config_static_selectorELNS0_4arch9wavefront6targetE0EEEvS10_ ; -- Begin function _ZN7rocprim17ROCPRIM_400000_NS6detail17trampoline_kernelINS0_14default_configENS1_21merge_config_selectorINS0_5tupleIJjjEEENS0_10empty_typeEEEZNS1_10merge_implIS3_NS0_12zip_iteratorINS5_IJN6thrust23THRUST_200600_302600_NS6detail15normal_iteratorINSC_10device_ptrIKjEEEESI_EEEEESK_NSA_INS5_IJNSE_INSF_IjEEEESM_EEEEEPS7_SP_SP_NSC_11hip_rocprim7__merge17predicate_wrapperIjjNSC_4lessIjEEEEEE10hipError_tPvRmT0_T1_T2_T3_T4_T5_mmT6_P12ihipStream_tbEUlT_E0_NS1_11comp_targetILNS1_3genE10ELNS1_11target_archE1201ELNS1_3gpuE5ELNS1_3repE0EEENS1_30default_config_static_selectorELNS0_4arch9wavefront6targetE0EEEvS10_
	.globl	_ZN7rocprim17ROCPRIM_400000_NS6detail17trampoline_kernelINS0_14default_configENS1_21merge_config_selectorINS0_5tupleIJjjEEENS0_10empty_typeEEEZNS1_10merge_implIS3_NS0_12zip_iteratorINS5_IJN6thrust23THRUST_200600_302600_NS6detail15normal_iteratorINSC_10device_ptrIKjEEEESI_EEEEESK_NSA_INS5_IJNSE_INSF_IjEEEESM_EEEEEPS7_SP_SP_NSC_11hip_rocprim7__merge17predicate_wrapperIjjNSC_4lessIjEEEEEE10hipError_tPvRmT0_T1_T2_T3_T4_T5_mmT6_P12ihipStream_tbEUlT_E0_NS1_11comp_targetILNS1_3genE10ELNS1_11target_archE1201ELNS1_3gpuE5ELNS1_3repE0EEENS1_30default_config_static_selectorELNS0_4arch9wavefront6targetE0EEEvS10_
	.p2align	8
	.type	_ZN7rocprim17ROCPRIM_400000_NS6detail17trampoline_kernelINS0_14default_configENS1_21merge_config_selectorINS0_5tupleIJjjEEENS0_10empty_typeEEEZNS1_10merge_implIS3_NS0_12zip_iteratorINS5_IJN6thrust23THRUST_200600_302600_NS6detail15normal_iteratorINSC_10device_ptrIKjEEEESI_EEEEESK_NSA_INS5_IJNSE_INSF_IjEEEESM_EEEEEPS7_SP_SP_NSC_11hip_rocprim7__merge17predicate_wrapperIjjNSC_4lessIjEEEEEE10hipError_tPvRmT0_T1_T2_T3_T4_T5_mmT6_P12ihipStream_tbEUlT_E0_NS1_11comp_targetILNS1_3genE10ELNS1_11target_archE1201ELNS1_3gpuE5ELNS1_3repE0EEENS1_30default_config_static_selectorELNS0_4arch9wavefront6targetE0EEEvS10_,@function
_ZN7rocprim17ROCPRIM_400000_NS6detail17trampoline_kernelINS0_14default_configENS1_21merge_config_selectorINS0_5tupleIJjjEEENS0_10empty_typeEEEZNS1_10merge_implIS3_NS0_12zip_iteratorINS5_IJN6thrust23THRUST_200600_302600_NS6detail15normal_iteratorINSC_10device_ptrIKjEEEESI_EEEEESK_NSA_INS5_IJNSE_INSF_IjEEEESM_EEEEEPS7_SP_SP_NSC_11hip_rocprim7__merge17predicate_wrapperIjjNSC_4lessIjEEEEEE10hipError_tPvRmT0_T1_T2_T3_T4_T5_mmT6_P12ihipStream_tbEUlT_E0_NS1_11comp_targetILNS1_3genE10ELNS1_11target_archE1201ELNS1_3gpuE5ELNS1_3repE0EEENS1_30default_config_static_selectorELNS0_4arch9wavefront6targetE0EEEvS10_: ; @_ZN7rocprim17ROCPRIM_400000_NS6detail17trampoline_kernelINS0_14default_configENS1_21merge_config_selectorINS0_5tupleIJjjEEENS0_10empty_typeEEEZNS1_10merge_implIS3_NS0_12zip_iteratorINS5_IJN6thrust23THRUST_200600_302600_NS6detail15normal_iteratorINSC_10device_ptrIKjEEEESI_EEEEESK_NSA_INS5_IJNSE_INSF_IjEEEESM_EEEEEPS7_SP_SP_NSC_11hip_rocprim7__merge17predicate_wrapperIjjNSC_4lessIjEEEEEE10hipError_tPvRmT0_T1_T2_T3_T4_T5_mmT6_P12ihipStream_tbEUlT_E0_NS1_11comp_targetILNS1_3genE10ELNS1_11target_archE1201ELNS1_3gpuE5ELNS1_3repE0EEENS1_30default_config_static_selectorELNS0_4arch9wavefront6targetE0EEEvS10_
; %bb.0:
	.section	.rodata,"a",@progbits
	.p2align	6, 0x0
	.amdhsa_kernel _ZN7rocprim17ROCPRIM_400000_NS6detail17trampoline_kernelINS0_14default_configENS1_21merge_config_selectorINS0_5tupleIJjjEEENS0_10empty_typeEEEZNS1_10merge_implIS3_NS0_12zip_iteratorINS5_IJN6thrust23THRUST_200600_302600_NS6detail15normal_iteratorINSC_10device_ptrIKjEEEESI_EEEEESK_NSA_INS5_IJNSE_INSF_IjEEEESM_EEEEEPS7_SP_SP_NSC_11hip_rocprim7__merge17predicate_wrapperIjjNSC_4lessIjEEEEEE10hipError_tPvRmT0_T1_T2_T3_T4_T5_mmT6_P12ihipStream_tbEUlT_E0_NS1_11comp_targetILNS1_3genE10ELNS1_11target_archE1201ELNS1_3gpuE5ELNS1_3repE0EEENS1_30default_config_static_selectorELNS0_4arch9wavefront6targetE0EEEvS10_
		.amdhsa_group_segment_fixed_size 0
		.amdhsa_private_segment_fixed_size 0
		.amdhsa_kernarg_size 112
		.amdhsa_user_sgpr_count 6
		.amdhsa_user_sgpr_private_segment_buffer 1
		.amdhsa_user_sgpr_dispatch_ptr 0
		.amdhsa_user_sgpr_queue_ptr 0
		.amdhsa_user_sgpr_kernarg_segment_ptr 1
		.amdhsa_user_sgpr_dispatch_id 0
		.amdhsa_user_sgpr_flat_scratch_init 0
		.amdhsa_user_sgpr_private_segment_size 0
		.amdhsa_wavefront_size32 1
		.amdhsa_uses_dynamic_stack 0
		.amdhsa_system_sgpr_private_segment_wavefront_offset 0
		.amdhsa_system_sgpr_workgroup_id_x 1
		.amdhsa_system_sgpr_workgroup_id_y 0
		.amdhsa_system_sgpr_workgroup_id_z 0
		.amdhsa_system_sgpr_workgroup_info 0
		.amdhsa_system_vgpr_workitem_id 0
		.amdhsa_next_free_vgpr 1
		.amdhsa_next_free_sgpr 1
		.amdhsa_reserve_vcc 0
		.amdhsa_reserve_flat_scratch 0
		.amdhsa_float_round_mode_32 0
		.amdhsa_float_round_mode_16_64 0
		.amdhsa_float_denorm_mode_32 3
		.amdhsa_float_denorm_mode_16_64 3
		.amdhsa_dx10_clamp 1
		.amdhsa_ieee_mode 1
		.amdhsa_fp16_overflow 0
		.amdhsa_workgroup_processor_mode 1
		.amdhsa_memory_ordered 1
		.amdhsa_forward_progress 1
		.amdhsa_shared_vgpr_count 0
		.amdhsa_exception_fp_ieee_invalid_op 0
		.amdhsa_exception_fp_denorm_src 0
		.amdhsa_exception_fp_ieee_div_zero 0
		.amdhsa_exception_fp_ieee_overflow 0
		.amdhsa_exception_fp_ieee_underflow 0
		.amdhsa_exception_fp_ieee_inexact 0
		.amdhsa_exception_int_div_zero 0
	.end_amdhsa_kernel
	.section	.text._ZN7rocprim17ROCPRIM_400000_NS6detail17trampoline_kernelINS0_14default_configENS1_21merge_config_selectorINS0_5tupleIJjjEEENS0_10empty_typeEEEZNS1_10merge_implIS3_NS0_12zip_iteratorINS5_IJN6thrust23THRUST_200600_302600_NS6detail15normal_iteratorINSC_10device_ptrIKjEEEESI_EEEEESK_NSA_INS5_IJNSE_INSF_IjEEEESM_EEEEEPS7_SP_SP_NSC_11hip_rocprim7__merge17predicate_wrapperIjjNSC_4lessIjEEEEEE10hipError_tPvRmT0_T1_T2_T3_T4_T5_mmT6_P12ihipStream_tbEUlT_E0_NS1_11comp_targetILNS1_3genE10ELNS1_11target_archE1201ELNS1_3gpuE5ELNS1_3repE0EEENS1_30default_config_static_selectorELNS0_4arch9wavefront6targetE0EEEvS10_,"axG",@progbits,_ZN7rocprim17ROCPRIM_400000_NS6detail17trampoline_kernelINS0_14default_configENS1_21merge_config_selectorINS0_5tupleIJjjEEENS0_10empty_typeEEEZNS1_10merge_implIS3_NS0_12zip_iteratorINS5_IJN6thrust23THRUST_200600_302600_NS6detail15normal_iteratorINSC_10device_ptrIKjEEEESI_EEEEESK_NSA_INS5_IJNSE_INSF_IjEEEESM_EEEEEPS7_SP_SP_NSC_11hip_rocprim7__merge17predicate_wrapperIjjNSC_4lessIjEEEEEE10hipError_tPvRmT0_T1_T2_T3_T4_T5_mmT6_P12ihipStream_tbEUlT_E0_NS1_11comp_targetILNS1_3genE10ELNS1_11target_archE1201ELNS1_3gpuE5ELNS1_3repE0EEENS1_30default_config_static_selectorELNS0_4arch9wavefront6targetE0EEEvS10_,comdat
.Lfunc_end147:
	.size	_ZN7rocprim17ROCPRIM_400000_NS6detail17trampoline_kernelINS0_14default_configENS1_21merge_config_selectorINS0_5tupleIJjjEEENS0_10empty_typeEEEZNS1_10merge_implIS3_NS0_12zip_iteratorINS5_IJN6thrust23THRUST_200600_302600_NS6detail15normal_iteratorINSC_10device_ptrIKjEEEESI_EEEEESK_NSA_INS5_IJNSE_INSF_IjEEEESM_EEEEEPS7_SP_SP_NSC_11hip_rocprim7__merge17predicate_wrapperIjjNSC_4lessIjEEEEEE10hipError_tPvRmT0_T1_T2_T3_T4_T5_mmT6_P12ihipStream_tbEUlT_E0_NS1_11comp_targetILNS1_3genE10ELNS1_11target_archE1201ELNS1_3gpuE5ELNS1_3repE0EEENS1_30default_config_static_selectorELNS0_4arch9wavefront6targetE0EEEvS10_, .Lfunc_end147-_ZN7rocprim17ROCPRIM_400000_NS6detail17trampoline_kernelINS0_14default_configENS1_21merge_config_selectorINS0_5tupleIJjjEEENS0_10empty_typeEEEZNS1_10merge_implIS3_NS0_12zip_iteratorINS5_IJN6thrust23THRUST_200600_302600_NS6detail15normal_iteratorINSC_10device_ptrIKjEEEESI_EEEEESK_NSA_INS5_IJNSE_INSF_IjEEEESM_EEEEEPS7_SP_SP_NSC_11hip_rocprim7__merge17predicate_wrapperIjjNSC_4lessIjEEEEEE10hipError_tPvRmT0_T1_T2_T3_T4_T5_mmT6_P12ihipStream_tbEUlT_E0_NS1_11comp_targetILNS1_3genE10ELNS1_11target_archE1201ELNS1_3gpuE5ELNS1_3repE0EEENS1_30default_config_static_selectorELNS0_4arch9wavefront6targetE0EEEvS10_
                                        ; -- End function
	.set _ZN7rocprim17ROCPRIM_400000_NS6detail17trampoline_kernelINS0_14default_configENS1_21merge_config_selectorINS0_5tupleIJjjEEENS0_10empty_typeEEEZNS1_10merge_implIS3_NS0_12zip_iteratorINS5_IJN6thrust23THRUST_200600_302600_NS6detail15normal_iteratorINSC_10device_ptrIKjEEEESI_EEEEESK_NSA_INS5_IJNSE_INSF_IjEEEESM_EEEEEPS7_SP_SP_NSC_11hip_rocprim7__merge17predicate_wrapperIjjNSC_4lessIjEEEEEE10hipError_tPvRmT0_T1_T2_T3_T4_T5_mmT6_P12ihipStream_tbEUlT_E0_NS1_11comp_targetILNS1_3genE10ELNS1_11target_archE1201ELNS1_3gpuE5ELNS1_3repE0EEENS1_30default_config_static_selectorELNS0_4arch9wavefront6targetE0EEEvS10_.num_vgpr, 0
	.set _ZN7rocprim17ROCPRIM_400000_NS6detail17trampoline_kernelINS0_14default_configENS1_21merge_config_selectorINS0_5tupleIJjjEEENS0_10empty_typeEEEZNS1_10merge_implIS3_NS0_12zip_iteratorINS5_IJN6thrust23THRUST_200600_302600_NS6detail15normal_iteratorINSC_10device_ptrIKjEEEESI_EEEEESK_NSA_INS5_IJNSE_INSF_IjEEEESM_EEEEEPS7_SP_SP_NSC_11hip_rocprim7__merge17predicate_wrapperIjjNSC_4lessIjEEEEEE10hipError_tPvRmT0_T1_T2_T3_T4_T5_mmT6_P12ihipStream_tbEUlT_E0_NS1_11comp_targetILNS1_3genE10ELNS1_11target_archE1201ELNS1_3gpuE5ELNS1_3repE0EEENS1_30default_config_static_selectorELNS0_4arch9wavefront6targetE0EEEvS10_.num_agpr, 0
	.set _ZN7rocprim17ROCPRIM_400000_NS6detail17trampoline_kernelINS0_14default_configENS1_21merge_config_selectorINS0_5tupleIJjjEEENS0_10empty_typeEEEZNS1_10merge_implIS3_NS0_12zip_iteratorINS5_IJN6thrust23THRUST_200600_302600_NS6detail15normal_iteratorINSC_10device_ptrIKjEEEESI_EEEEESK_NSA_INS5_IJNSE_INSF_IjEEEESM_EEEEEPS7_SP_SP_NSC_11hip_rocprim7__merge17predicate_wrapperIjjNSC_4lessIjEEEEEE10hipError_tPvRmT0_T1_T2_T3_T4_T5_mmT6_P12ihipStream_tbEUlT_E0_NS1_11comp_targetILNS1_3genE10ELNS1_11target_archE1201ELNS1_3gpuE5ELNS1_3repE0EEENS1_30default_config_static_selectorELNS0_4arch9wavefront6targetE0EEEvS10_.numbered_sgpr, 0
	.set _ZN7rocprim17ROCPRIM_400000_NS6detail17trampoline_kernelINS0_14default_configENS1_21merge_config_selectorINS0_5tupleIJjjEEENS0_10empty_typeEEEZNS1_10merge_implIS3_NS0_12zip_iteratorINS5_IJN6thrust23THRUST_200600_302600_NS6detail15normal_iteratorINSC_10device_ptrIKjEEEESI_EEEEESK_NSA_INS5_IJNSE_INSF_IjEEEESM_EEEEEPS7_SP_SP_NSC_11hip_rocprim7__merge17predicate_wrapperIjjNSC_4lessIjEEEEEE10hipError_tPvRmT0_T1_T2_T3_T4_T5_mmT6_P12ihipStream_tbEUlT_E0_NS1_11comp_targetILNS1_3genE10ELNS1_11target_archE1201ELNS1_3gpuE5ELNS1_3repE0EEENS1_30default_config_static_selectorELNS0_4arch9wavefront6targetE0EEEvS10_.num_named_barrier, 0
	.set _ZN7rocprim17ROCPRIM_400000_NS6detail17trampoline_kernelINS0_14default_configENS1_21merge_config_selectorINS0_5tupleIJjjEEENS0_10empty_typeEEEZNS1_10merge_implIS3_NS0_12zip_iteratorINS5_IJN6thrust23THRUST_200600_302600_NS6detail15normal_iteratorINSC_10device_ptrIKjEEEESI_EEEEESK_NSA_INS5_IJNSE_INSF_IjEEEESM_EEEEEPS7_SP_SP_NSC_11hip_rocprim7__merge17predicate_wrapperIjjNSC_4lessIjEEEEEE10hipError_tPvRmT0_T1_T2_T3_T4_T5_mmT6_P12ihipStream_tbEUlT_E0_NS1_11comp_targetILNS1_3genE10ELNS1_11target_archE1201ELNS1_3gpuE5ELNS1_3repE0EEENS1_30default_config_static_selectorELNS0_4arch9wavefront6targetE0EEEvS10_.private_seg_size, 0
	.set _ZN7rocprim17ROCPRIM_400000_NS6detail17trampoline_kernelINS0_14default_configENS1_21merge_config_selectorINS0_5tupleIJjjEEENS0_10empty_typeEEEZNS1_10merge_implIS3_NS0_12zip_iteratorINS5_IJN6thrust23THRUST_200600_302600_NS6detail15normal_iteratorINSC_10device_ptrIKjEEEESI_EEEEESK_NSA_INS5_IJNSE_INSF_IjEEEESM_EEEEEPS7_SP_SP_NSC_11hip_rocprim7__merge17predicate_wrapperIjjNSC_4lessIjEEEEEE10hipError_tPvRmT0_T1_T2_T3_T4_T5_mmT6_P12ihipStream_tbEUlT_E0_NS1_11comp_targetILNS1_3genE10ELNS1_11target_archE1201ELNS1_3gpuE5ELNS1_3repE0EEENS1_30default_config_static_selectorELNS0_4arch9wavefront6targetE0EEEvS10_.uses_vcc, 0
	.set _ZN7rocprim17ROCPRIM_400000_NS6detail17trampoline_kernelINS0_14default_configENS1_21merge_config_selectorINS0_5tupleIJjjEEENS0_10empty_typeEEEZNS1_10merge_implIS3_NS0_12zip_iteratorINS5_IJN6thrust23THRUST_200600_302600_NS6detail15normal_iteratorINSC_10device_ptrIKjEEEESI_EEEEESK_NSA_INS5_IJNSE_INSF_IjEEEESM_EEEEEPS7_SP_SP_NSC_11hip_rocprim7__merge17predicate_wrapperIjjNSC_4lessIjEEEEEE10hipError_tPvRmT0_T1_T2_T3_T4_T5_mmT6_P12ihipStream_tbEUlT_E0_NS1_11comp_targetILNS1_3genE10ELNS1_11target_archE1201ELNS1_3gpuE5ELNS1_3repE0EEENS1_30default_config_static_selectorELNS0_4arch9wavefront6targetE0EEEvS10_.uses_flat_scratch, 0
	.set _ZN7rocprim17ROCPRIM_400000_NS6detail17trampoline_kernelINS0_14default_configENS1_21merge_config_selectorINS0_5tupleIJjjEEENS0_10empty_typeEEEZNS1_10merge_implIS3_NS0_12zip_iteratorINS5_IJN6thrust23THRUST_200600_302600_NS6detail15normal_iteratorINSC_10device_ptrIKjEEEESI_EEEEESK_NSA_INS5_IJNSE_INSF_IjEEEESM_EEEEEPS7_SP_SP_NSC_11hip_rocprim7__merge17predicate_wrapperIjjNSC_4lessIjEEEEEE10hipError_tPvRmT0_T1_T2_T3_T4_T5_mmT6_P12ihipStream_tbEUlT_E0_NS1_11comp_targetILNS1_3genE10ELNS1_11target_archE1201ELNS1_3gpuE5ELNS1_3repE0EEENS1_30default_config_static_selectorELNS0_4arch9wavefront6targetE0EEEvS10_.has_dyn_sized_stack, 0
	.set _ZN7rocprim17ROCPRIM_400000_NS6detail17trampoline_kernelINS0_14default_configENS1_21merge_config_selectorINS0_5tupleIJjjEEENS0_10empty_typeEEEZNS1_10merge_implIS3_NS0_12zip_iteratorINS5_IJN6thrust23THRUST_200600_302600_NS6detail15normal_iteratorINSC_10device_ptrIKjEEEESI_EEEEESK_NSA_INS5_IJNSE_INSF_IjEEEESM_EEEEEPS7_SP_SP_NSC_11hip_rocprim7__merge17predicate_wrapperIjjNSC_4lessIjEEEEEE10hipError_tPvRmT0_T1_T2_T3_T4_T5_mmT6_P12ihipStream_tbEUlT_E0_NS1_11comp_targetILNS1_3genE10ELNS1_11target_archE1201ELNS1_3gpuE5ELNS1_3repE0EEENS1_30default_config_static_selectorELNS0_4arch9wavefront6targetE0EEEvS10_.has_recursion, 0
	.set _ZN7rocprim17ROCPRIM_400000_NS6detail17trampoline_kernelINS0_14default_configENS1_21merge_config_selectorINS0_5tupleIJjjEEENS0_10empty_typeEEEZNS1_10merge_implIS3_NS0_12zip_iteratorINS5_IJN6thrust23THRUST_200600_302600_NS6detail15normal_iteratorINSC_10device_ptrIKjEEEESI_EEEEESK_NSA_INS5_IJNSE_INSF_IjEEEESM_EEEEEPS7_SP_SP_NSC_11hip_rocprim7__merge17predicate_wrapperIjjNSC_4lessIjEEEEEE10hipError_tPvRmT0_T1_T2_T3_T4_T5_mmT6_P12ihipStream_tbEUlT_E0_NS1_11comp_targetILNS1_3genE10ELNS1_11target_archE1201ELNS1_3gpuE5ELNS1_3repE0EEENS1_30default_config_static_selectorELNS0_4arch9wavefront6targetE0EEEvS10_.has_indirect_call, 0
	.section	.AMDGPU.csdata,"",@progbits
; Kernel info:
; codeLenInByte = 0
; TotalNumSgprs: 0
; NumVgprs: 0
; ScratchSize: 0
; MemoryBound: 0
; FloatMode: 240
; IeeeMode: 1
; LDSByteSize: 0 bytes/workgroup (compile time only)
; SGPRBlocks: 0
; VGPRBlocks: 0
; NumSGPRsForWavesPerEU: 1
; NumVGPRsForWavesPerEU: 1
; Occupancy: 16
; WaveLimiterHint : 0
; COMPUTE_PGM_RSRC2:SCRATCH_EN: 0
; COMPUTE_PGM_RSRC2:USER_SGPR: 6
; COMPUTE_PGM_RSRC2:TRAP_HANDLER: 0
; COMPUTE_PGM_RSRC2:TGID_X_EN: 1
; COMPUTE_PGM_RSRC2:TGID_Y_EN: 0
; COMPUTE_PGM_RSRC2:TGID_Z_EN: 0
; COMPUTE_PGM_RSRC2:TIDIG_COMP_CNT: 0
	.section	.text._ZN7rocprim17ROCPRIM_400000_NS6detail17trampoline_kernelINS0_14default_configENS1_21merge_config_selectorINS0_5tupleIJjjEEENS0_10empty_typeEEEZNS1_10merge_implIS3_NS0_12zip_iteratorINS5_IJN6thrust23THRUST_200600_302600_NS6detail15normal_iteratorINSC_10device_ptrIKjEEEESI_EEEEESK_NSA_INS5_IJNSE_INSF_IjEEEESM_EEEEEPS7_SP_SP_NSC_11hip_rocprim7__merge17predicate_wrapperIjjNSC_4lessIjEEEEEE10hipError_tPvRmT0_T1_T2_T3_T4_T5_mmT6_P12ihipStream_tbEUlT_E0_NS1_11comp_targetILNS1_3genE10ELNS1_11target_archE1200ELNS1_3gpuE4ELNS1_3repE0EEENS1_30default_config_static_selectorELNS0_4arch9wavefront6targetE0EEEvS10_,"axG",@progbits,_ZN7rocprim17ROCPRIM_400000_NS6detail17trampoline_kernelINS0_14default_configENS1_21merge_config_selectorINS0_5tupleIJjjEEENS0_10empty_typeEEEZNS1_10merge_implIS3_NS0_12zip_iteratorINS5_IJN6thrust23THRUST_200600_302600_NS6detail15normal_iteratorINSC_10device_ptrIKjEEEESI_EEEEESK_NSA_INS5_IJNSE_INSF_IjEEEESM_EEEEEPS7_SP_SP_NSC_11hip_rocprim7__merge17predicate_wrapperIjjNSC_4lessIjEEEEEE10hipError_tPvRmT0_T1_T2_T3_T4_T5_mmT6_P12ihipStream_tbEUlT_E0_NS1_11comp_targetILNS1_3genE10ELNS1_11target_archE1200ELNS1_3gpuE4ELNS1_3repE0EEENS1_30default_config_static_selectorELNS0_4arch9wavefront6targetE0EEEvS10_,comdat
	.protected	_ZN7rocprim17ROCPRIM_400000_NS6detail17trampoline_kernelINS0_14default_configENS1_21merge_config_selectorINS0_5tupleIJjjEEENS0_10empty_typeEEEZNS1_10merge_implIS3_NS0_12zip_iteratorINS5_IJN6thrust23THRUST_200600_302600_NS6detail15normal_iteratorINSC_10device_ptrIKjEEEESI_EEEEESK_NSA_INS5_IJNSE_INSF_IjEEEESM_EEEEEPS7_SP_SP_NSC_11hip_rocprim7__merge17predicate_wrapperIjjNSC_4lessIjEEEEEE10hipError_tPvRmT0_T1_T2_T3_T4_T5_mmT6_P12ihipStream_tbEUlT_E0_NS1_11comp_targetILNS1_3genE10ELNS1_11target_archE1200ELNS1_3gpuE4ELNS1_3repE0EEENS1_30default_config_static_selectorELNS0_4arch9wavefront6targetE0EEEvS10_ ; -- Begin function _ZN7rocprim17ROCPRIM_400000_NS6detail17trampoline_kernelINS0_14default_configENS1_21merge_config_selectorINS0_5tupleIJjjEEENS0_10empty_typeEEEZNS1_10merge_implIS3_NS0_12zip_iteratorINS5_IJN6thrust23THRUST_200600_302600_NS6detail15normal_iteratorINSC_10device_ptrIKjEEEESI_EEEEESK_NSA_INS5_IJNSE_INSF_IjEEEESM_EEEEEPS7_SP_SP_NSC_11hip_rocprim7__merge17predicate_wrapperIjjNSC_4lessIjEEEEEE10hipError_tPvRmT0_T1_T2_T3_T4_T5_mmT6_P12ihipStream_tbEUlT_E0_NS1_11comp_targetILNS1_3genE10ELNS1_11target_archE1200ELNS1_3gpuE4ELNS1_3repE0EEENS1_30default_config_static_selectorELNS0_4arch9wavefront6targetE0EEEvS10_
	.globl	_ZN7rocprim17ROCPRIM_400000_NS6detail17trampoline_kernelINS0_14default_configENS1_21merge_config_selectorINS0_5tupleIJjjEEENS0_10empty_typeEEEZNS1_10merge_implIS3_NS0_12zip_iteratorINS5_IJN6thrust23THRUST_200600_302600_NS6detail15normal_iteratorINSC_10device_ptrIKjEEEESI_EEEEESK_NSA_INS5_IJNSE_INSF_IjEEEESM_EEEEEPS7_SP_SP_NSC_11hip_rocprim7__merge17predicate_wrapperIjjNSC_4lessIjEEEEEE10hipError_tPvRmT0_T1_T2_T3_T4_T5_mmT6_P12ihipStream_tbEUlT_E0_NS1_11comp_targetILNS1_3genE10ELNS1_11target_archE1200ELNS1_3gpuE4ELNS1_3repE0EEENS1_30default_config_static_selectorELNS0_4arch9wavefront6targetE0EEEvS10_
	.p2align	8
	.type	_ZN7rocprim17ROCPRIM_400000_NS6detail17trampoline_kernelINS0_14default_configENS1_21merge_config_selectorINS0_5tupleIJjjEEENS0_10empty_typeEEEZNS1_10merge_implIS3_NS0_12zip_iteratorINS5_IJN6thrust23THRUST_200600_302600_NS6detail15normal_iteratorINSC_10device_ptrIKjEEEESI_EEEEESK_NSA_INS5_IJNSE_INSF_IjEEEESM_EEEEEPS7_SP_SP_NSC_11hip_rocprim7__merge17predicate_wrapperIjjNSC_4lessIjEEEEEE10hipError_tPvRmT0_T1_T2_T3_T4_T5_mmT6_P12ihipStream_tbEUlT_E0_NS1_11comp_targetILNS1_3genE10ELNS1_11target_archE1200ELNS1_3gpuE4ELNS1_3repE0EEENS1_30default_config_static_selectorELNS0_4arch9wavefront6targetE0EEEvS10_,@function
_ZN7rocprim17ROCPRIM_400000_NS6detail17trampoline_kernelINS0_14default_configENS1_21merge_config_selectorINS0_5tupleIJjjEEENS0_10empty_typeEEEZNS1_10merge_implIS3_NS0_12zip_iteratorINS5_IJN6thrust23THRUST_200600_302600_NS6detail15normal_iteratorINSC_10device_ptrIKjEEEESI_EEEEESK_NSA_INS5_IJNSE_INSF_IjEEEESM_EEEEEPS7_SP_SP_NSC_11hip_rocprim7__merge17predicate_wrapperIjjNSC_4lessIjEEEEEE10hipError_tPvRmT0_T1_T2_T3_T4_T5_mmT6_P12ihipStream_tbEUlT_E0_NS1_11comp_targetILNS1_3genE10ELNS1_11target_archE1200ELNS1_3gpuE4ELNS1_3repE0EEENS1_30default_config_static_selectorELNS0_4arch9wavefront6targetE0EEEvS10_: ; @_ZN7rocprim17ROCPRIM_400000_NS6detail17trampoline_kernelINS0_14default_configENS1_21merge_config_selectorINS0_5tupleIJjjEEENS0_10empty_typeEEEZNS1_10merge_implIS3_NS0_12zip_iteratorINS5_IJN6thrust23THRUST_200600_302600_NS6detail15normal_iteratorINSC_10device_ptrIKjEEEESI_EEEEESK_NSA_INS5_IJNSE_INSF_IjEEEESM_EEEEEPS7_SP_SP_NSC_11hip_rocprim7__merge17predicate_wrapperIjjNSC_4lessIjEEEEEE10hipError_tPvRmT0_T1_T2_T3_T4_T5_mmT6_P12ihipStream_tbEUlT_E0_NS1_11comp_targetILNS1_3genE10ELNS1_11target_archE1200ELNS1_3gpuE4ELNS1_3repE0EEENS1_30default_config_static_selectorELNS0_4arch9wavefront6targetE0EEEvS10_
; %bb.0:
	.section	.rodata,"a",@progbits
	.p2align	6, 0x0
	.amdhsa_kernel _ZN7rocprim17ROCPRIM_400000_NS6detail17trampoline_kernelINS0_14default_configENS1_21merge_config_selectorINS0_5tupleIJjjEEENS0_10empty_typeEEEZNS1_10merge_implIS3_NS0_12zip_iteratorINS5_IJN6thrust23THRUST_200600_302600_NS6detail15normal_iteratorINSC_10device_ptrIKjEEEESI_EEEEESK_NSA_INS5_IJNSE_INSF_IjEEEESM_EEEEEPS7_SP_SP_NSC_11hip_rocprim7__merge17predicate_wrapperIjjNSC_4lessIjEEEEEE10hipError_tPvRmT0_T1_T2_T3_T4_T5_mmT6_P12ihipStream_tbEUlT_E0_NS1_11comp_targetILNS1_3genE10ELNS1_11target_archE1200ELNS1_3gpuE4ELNS1_3repE0EEENS1_30default_config_static_selectorELNS0_4arch9wavefront6targetE0EEEvS10_
		.amdhsa_group_segment_fixed_size 0
		.amdhsa_private_segment_fixed_size 0
		.amdhsa_kernarg_size 112
		.amdhsa_user_sgpr_count 6
		.amdhsa_user_sgpr_private_segment_buffer 1
		.amdhsa_user_sgpr_dispatch_ptr 0
		.amdhsa_user_sgpr_queue_ptr 0
		.amdhsa_user_sgpr_kernarg_segment_ptr 1
		.amdhsa_user_sgpr_dispatch_id 0
		.amdhsa_user_sgpr_flat_scratch_init 0
		.amdhsa_user_sgpr_private_segment_size 0
		.amdhsa_wavefront_size32 1
		.amdhsa_uses_dynamic_stack 0
		.amdhsa_system_sgpr_private_segment_wavefront_offset 0
		.amdhsa_system_sgpr_workgroup_id_x 1
		.amdhsa_system_sgpr_workgroup_id_y 0
		.amdhsa_system_sgpr_workgroup_id_z 0
		.amdhsa_system_sgpr_workgroup_info 0
		.amdhsa_system_vgpr_workitem_id 0
		.amdhsa_next_free_vgpr 1
		.amdhsa_next_free_sgpr 1
		.amdhsa_reserve_vcc 0
		.amdhsa_reserve_flat_scratch 0
		.amdhsa_float_round_mode_32 0
		.amdhsa_float_round_mode_16_64 0
		.amdhsa_float_denorm_mode_32 3
		.amdhsa_float_denorm_mode_16_64 3
		.amdhsa_dx10_clamp 1
		.amdhsa_ieee_mode 1
		.amdhsa_fp16_overflow 0
		.amdhsa_workgroup_processor_mode 1
		.amdhsa_memory_ordered 1
		.amdhsa_forward_progress 1
		.amdhsa_shared_vgpr_count 0
		.amdhsa_exception_fp_ieee_invalid_op 0
		.amdhsa_exception_fp_denorm_src 0
		.amdhsa_exception_fp_ieee_div_zero 0
		.amdhsa_exception_fp_ieee_overflow 0
		.amdhsa_exception_fp_ieee_underflow 0
		.amdhsa_exception_fp_ieee_inexact 0
		.amdhsa_exception_int_div_zero 0
	.end_amdhsa_kernel
	.section	.text._ZN7rocprim17ROCPRIM_400000_NS6detail17trampoline_kernelINS0_14default_configENS1_21merge_config_selectorINS0_5tupleIJjjEEENS0_10empty_typeEEEZNS1_10merge_implIS3_NS0_12zip_iteratorINS5_IJN6thrust23THRUST_200600_302600_NS6detail15normal_iteratorINSC_10device_ptrIKjEEEESI_EEEEESK_NSA_INS5_IJNSE_INSF_IjEEEESM_EEEEEPS7_SP_SP_NSC_11hip_rocprim7__merge17predicate_wrapperIjjNSC_4lessIjEEEEEE10hipError_tPvRmT0_T1_T2_T3_T4_T5_mmT6_P12ihipStream_tbEUlT_E0_NS1_11comp_targetILNS1_3genE10ELNS1_11target_archE1200ELNS1_3gpuE4ELNS1_3repE0EEENS1_30default_config_static_selectorELNS0_4arch9wavefront6targetE0EEEvS10_,"axG",@progbits,_ZN7rocprim17ROCPRIM_400000_NS6detail17trampoline_kernelINS0_14default_configENS1_21merge_config_selectorINS0_5tupleIJjjEEENS0_10empty_typeEEEZNS1_10merge_implIS3_NS0_12zip_iteratorINS5_IJN6thrust23THRUST_200600_302600_NS6detail15normal_iteratorINSC_10device_ptrIKjEEEESI_EEEEESK_NSA_INS5_IJNSE_INSF_IjEEEESM_EEEEEPS7_SP_SP_NSC_11hip_rocprim7__merge17predicate_wrapperIjjNSC_4lessIjEEEEEE10hipError_tPvRmT0_T1_T2_T3_T4_T5_mmT6_P12ihipStream_tbEUlT_E0_NS1_11comp_targetILNS1_3genE10ELNS1_11target_archE1200ELNS1_3gpuE4ELNS1_3repE0EEENS1_30default_config_static_selectorELNS0_4arch9wavefront6targetE0EEEvS10_,comdat
.Lfunc_end148:
	.size	_ZN7rocprim17ROCPRIM_400000_NS6detail17trampoline_kernelINS0_14default_configENS1_21merge_config_selectorINS0_5tupleIJjjEEENS0_10empty_typeEEEZNS1_10merge_implIS3_NS0_12zip_iteratorINS5_IJN6thrust23THRUST_200600_302600_NS6detail15normal_iteratorINSC_10device_ptrIKjEEEESI_EEEEESK_NSA_INS5_IJNSE_INSF_IjEEEESM_EEEEEPS7_SP_SP_NSC_11hip_rocprim7__merge17predicate_wrapperIjjNSC_4lessIjEEEEEE10hipError_tPvRmT0_T1_T2_T3_T4_T5_mmT6_P12ihipStream_tbEUlT_E0_NS1_11comp_targetILNS1_3genE10ELNS1_11target_archE1200ELNS1_3gpuE4ELNS1_3repE0EEENS1_30default_config_static_selectorELNS0_4arch9wavefront6targetE0EEEvS10_, .Lfunc_end148-_ZN7rocprim17ROCPRIM_400000_NS6detail17trampoline_kernelINS0_14default_configENS1_21merge_config_selectorINS0_5tupleIJjjEEENS0_10empty_typeEEEZNS1_10merge_implIS3_NS0_12zip_iteratorINS5_IJN6thrust23THRUST_200600_302600_NS6detail15normal_iteratorINSC_10device_ptrIKjEEEESI_EEEEESK_NSA_INS5_IJNSE_INSF_IjEEEESM_EEEEEPS7_SP_SP_NSC_11hip_rocprim7__merge17predicate_wrapperIjjNSC_4lessIjEEEEEE10hipError_tPvRmT0_T1_T2_T3_T4_T5_mmT6_P12ihipStream_tbEUlT_E0_NS1_11comp_targetILNS1_3genE10ELNS1_11target_archE1200ELNS1_3gpuE4ELNS1_3repE0EEENS1_30default_config_static_selectorELNS0_4arch9wavefront6targetE0EEEvS10_
                                        ; -- End function
	.set _ZN7rocprim17ROCPRIM_400000_NS6detail17trampoline_kernelINS0_14default_configENS1_21merge_config_selectorINS0_5tupleIJjjEEENS0_10empty_typeEEEZNS1_10merge_implIS3_NS0_12zip_iteratorINS5_IJN6thrust23THRUST_200600_302600_NS6detail15normal_iteratorINSC_10device_ptrIKjEEEESI_EEEEESK_NSA_INS5_IJNSE_INSF_IjEEEESM_EEEEEPS7_SP_SP_NSC_11hip_rocprim7__merge17predicate_wrapperIjjNSC_4lessIjEEEEEE10hipError_tPvRmT0_T1_T2_T3_T4_T5_mmT6_P12ihipStream_tbEUlT_E0_NS1_11comp_targetILNS1_3genE10ELNS1_11target_archE1200ELNS1_3gpuE4ELNS1_3repE0EEENS1_30default_config_static_selectorELNS0_4arch9wavefront6targetE0EEEvS10_.num_vgpr, 0
	.set _ZN7rocprim17ROCPRIM_400000_NS6detail17trampoline_kernelINS0_14default_configENS1_21merge_config_selectorINS0_5tupleIJjjEEENS0_10empty_typeEEEZNS1_10merge_implIS3_NS0_12zip_iteratorINS5_IJN6thrust23THRUST_200600_302600_NS6detail15normal_iteratorINSC_10device_ptrIKjEEEESI_EEEEESK_NSA_INS5_IJNSE_INSF_IjEEEESM_EEEEEPS7_SP_SP_NSC_11hip_rocprim7__merge17predicate_wrapperIjjNSC_4lessIjEEEEEE10hipError_tPvRmT0_T1_T2_T3_T4_T5_mmT6_P12ihipStream_tbEUlT_E0_NS1_11comp_targetILNS1_3genE10ELNS1_11target_archE1200ELNS1_3gpuE4ELNS1_3repE0EEENS1_30default_config_static_selectorELNS0_4arch9wavefront6targetE0EEEvS10_.num_agpr, 0
	.set _ZN7rocprim17ROCPRIM_400000_NS6detail17trampoline_kernelINS0_14default_configENS1_21merge_config_selectorINS0_5tupleIJjjEEENS0_10empty_typeEEEZNS1_10merge_implIS3_NS0_12zip_iteratorINS5_IJN6thrust23THRUST_200600_302600_NS6detail15normal_iteratorINSC_10device_ptrIKjEEEESI_EEEEESK_NSA_INS5_IJNSE_INSF_IjEEEESM_EEEEEPS7_SP_SP_NSC_11hip_rocprim7__merge17predicate_wrapperIjjNSC_4lessIjEEEEEE10hipError_tPvRmT0_T1_T2_T3_T4_T5_mmT6_P12ihipStream_tbEUlT_E0_NS1_11comp_targetILNS1_3genE10ELNS1_11target_archE1200ELNS1_3gpuE4ELNS1_3repE0EEENS1_30default_config_static_selectorELNS0_4arch9wavefront6targetE0EEEvS10_.numbered_sgpr, 0
	.set _ZN7rocprim17ROCPRIM_400000_NS6detail17trampoline_kernelINS0_14default_configENS1_21merge_config_selectorINS0_5tupleIJjjEEENS0_10empty_typeEEEZNS1_10merge_implIS3_NS0_12zip_iteratorINS5_IJN6thrust23THRUST_200600_302600_NS6detail15normal_iteratorINSC_10device_ptrIKjEEEESI_EEEEESK_NSA_INS5_IJNSE_INSF_IjEEEESM_EEEEEPS7_SP_SP_NSC_11hip_rocprim7__merge17predicate_wrapperIjjNSC_4lessIjEEEEEE10hipError_tPvRmT0_T1_T2_T3_T4_T5_mmT6_P12ihipStream_tbEUlT_E0_NS1_11comp_targetILNS1_3genE10ELNS1_11target_archE1200ELNS1_3gpuE4ELNS1_3repE0EEENS1_30default_config_static_selectorELNS0_4arch9wavefront6targetE0EEEvS10_.num_named_barrier, 0
	.set _ZN7rocprim17ROCPRIM_400000_NS6detail17trampoline_kernelINS0_14default_configENS1_21merge_config_selectorINS0_5tupleIJjjEEENS0_10empty_typeEEEZNS1_10merge_implIS3_NS0_12zip_iteratorINS5_IJN6thrust23THRUST_200600_302600_NS6detail15normal_iteratorINSC_10device_ptrIKjEEEESI_EEEEESK_NSA_INS5_IJNSE_INSF_IjEEEESM_EEEEEPS7_SP_SP_NSC_11hip_rocprim7__merge17predicate_wrapperIjjNSC_4lessIjEEEEEE10hipError_tPvRmT0_T1_T2_T3_T4_T5_mmT6_P12ihipStream_tbEUlT_E0_NS1_11comp_targetILNS1_3genE10ELNS1_11target_archE1200ELNS1_3gpuE4ELNS1_3repE0EEENS1_30default_config_static_selectorELNS0_4arch9wavefront6targetE0EEEvS10_.private_seg_size, 0
	.set _ZN7rocprim17ROCPRIM_400000_NS6detail17trampoline_kernelINS0_14default_configENS1_21merge_config_selectorINS0_5tupleIJjjEEENS0_10empty_typeEEEZNS1_10merge_implIS3_NS0_12zip_iteratorINS5_IJN6thrust23THRUST_200600_302600_NS6detail15normal_iteratorINSC_10device_ptrIKjEEEESI_EEEEESK_NSA_INS5_IJNSE_INSF_IjEEEESM_EEEEEPS7_SP_SP_NSC_11hip_rocprim7__merge17predicate_wrapperIjjNSC_4lessIjEEEEEE10hipError_tPvRmT0_T1_T2_T3_T4_T5_mmT6_P12ihipStream_tbEUlT_E0_NS1_11comp_targetILNS1_3genE10ELNS1_11target_archE1200ELNS1_3gpuE4ELNS1_3repE0EEENS1_30default_config_static_selectorELNS0_4arch9wavefront6targetE0EEEvS10_.uses_vcc, 0
	.set _ZN7rocprim17ROCPRIM_400000_NS6detail17trampoline_kernelINS0_14default_configENS1_21merge_config_selectorINS0_5tupleIJjjEEENS0_10empty_typeEEEZNS1_10merge_implIS3_NS0_12zip_iteratorINS5_IJN6thrust23THRUST_200600_302600_NS6detail15normal_iteratorINSC_10device_ptrIKjEEEESI_EEEEESK_NSA_INS5_IJNSE_INSF_IjEEEESM_EEEEEPS7_SP_SP_NSC_11hip_rocprim7__merge17predicate_wrapperIjjNSC_4lessIjEEEEEE10hipError_tPvRmT0_T1_T2_T3_T4_T5_mmT6_P12ihipStream_tbEUlT_E0_NS1_11comp_targetILNS1_3genE10ELNS1_11target_archE1200ELNS1_3gpuE4ELNS1_3repE0EEENS1_30default_config_static_selectorELNS0_4arch9wavefront6targetE0EEEvS10_.uses_flat_scratch, 0
	.set _ZN7rocprim17ROCPRIM_400000_NS6detail17trampoline_kernelINS0_14default_configENS1_21merge_config_selectorINS0_5tupleIJjjEEENS0_10empty_typeEEEZNS1_10merge_implIS3_NS0_12zip_iteratorINS5_IJN6thrust23THRUST_200600_302600_NS6detail15normal_iteratorINSC_10device_ptrIKjEEEESI_EEEEESK_NSA_INS5_IJNSE_INSF_IjEEEESM_EEEEEPS7_SP_SP_NSC_11hip_rocprim7__merge17predicate_wrapperIjjNSC_4lessIjEEEEEE10hipError_tPvRmT0_T1_T2_T3_T4_T5_mmT6_P12ihipStream_tbEUlT_E0_NS1_11comp_targetILNS1_3genE10ELNS1_11target_archE1200ELNS1_3gpuE4ELNS1_3repE0EEENS1_30default_config_static_selectorELNS0_4arch9wavefront6targetE0EEEvS10_.has_dyn_sized_stack, 0
	.set _ZN7rocprim17ROCPRIM_400000_NS6detail17trampoline_kernelINS0_14default_configENS1_21merge_config_selectorINS0_5tupleIJjjEEENS0_10empty_typeEEEZNS1_10merge_implIS3_NS0_12zip_iteratorINS5_IJN6thrust23THRUST_200600_302600_NS6detail15normal_iteratorINSC_10device_ptrIKjEEEESI_EEEEESK_NSA_INS5_IJNSE_INSF_IjEEEESM_EEEEEPS7_SP_SP_NSC_11hip_rocprim7__merge17predicate_wrapperIjjNSC_4lessIjEEEEEE10hipError_tPvRmT0_T1_T2_T3_T4_T5_mmT6_P12ihipStream_tbEUlT_E0_NS1_11comp_targetILNS1_3genE10ELNS1_11target_archE1200ELNS1_3gpuE4ELNS1_3repE0EEENS1_30default_config_static_selectorELNS0_4arch9wavefront6targetE0EEEvS10_.has_recursion, 0
	.set _ZN7rocprim17ROCPRIM_400000_NS6detail17trampoline_kernelINS0_14default_configENS1_21merge_config_selectorINS0_5tupleIJjjEEENS0_10empty_typeEEEZNS1_10merge_implIS3_NS0_12zip_iteratorINS5_IJN6thrust23THRUST_200600_302600_NS6detail15normal_iteratorINSC_10device_ptrIKjEEEESI_EEEEESK_NSA_INS5_IJNSE_INSF_IjEEEESM_EEEEEPS7_SP_SP_NSC_11hip_rocprim7__merge17predicate_wrapperIjjNSC_4lessIjEEEEEE10hipError_tPvRmT0_T1_T2_T3_T4_T5_mmT6_P12ihipStream_tbEUlT_E0_NS1_11comp_targetILNS1_3genE10ELNS1_11target_archE1200ELNS1_3gpuE4ELNS1_3repE0EEENS1_30default_config_static_selectorELNS0_4arch9wavefront6targetE0EEEvS10_.has_indirect_call, 0
	.section	.AMDGPU.csdata,"",@progbits
; Kernel info:
; codeLenInByte = 0
; TotalNumSgprs: 0
; NumVgprs: 0
; ScratchSize: 0
; MemoryBound: 0
; FloatMode: 240
; IeeeMode: 1
; LDSByteSize: 0 bytes/workgroup (compile time only)
; SGPRBlocks: 0
; VGPRBlocks: 0
; NumSGPRsForWavesPerEU: 1
; NumVGPRsForWavesPerEU: 1
; Occupancy: 16
; WaveLimiterHint : 0
; COMPUTE_PGM_RSRC2:SCRATCH_EN: 0
; COMPUTE_PGM_RSRC2:USER_SGPR: 6
; COMPUTE_PGM_RSRC2:TRAP_HANDLER: 0
; COMPUTE_PGM_RSRC2:TGID_X_EN: 1
; COMPUTE_PGM_RSRC2:TGID_Y_EN: 0
; COMPUTE_PGM_RSRC2:TGID_Z_EN: 0
; COMPUTE_PGM_RSRC2:TIDIG_COMP_CNT: 0
	.section	.text._ZN7rocprim17ROCPRIM_400000_NS6detail17trampoline_kernelINS0_14default_configENS1_21merge_config_selectorINS0_5tupleIJjjEEENS0_10empty_typeEEEZNS1_10merge_implIS3_NS0_12zip_iteratorINS5_IJN6thrust23THRUST_200600_302600_NS6detail15normal_iteratorINSC_10device_ptrIKjEEEESI_EEEEESK_NSA_INS5_IJNSE_INSF_IjEEEESM_EEEEEPS7_SP_SP_NSC_11hip_rocprim7__merge17predicate_wrapperIjjNSC_4lessIjEEEEEE10hipError_tPvRmT0_T1_T2_T3_T4_T5_mmT6_P12ihipStream_tbEUlT_E0_NS1_11comp_targetILNS1_3genE9ELNS1_11target_archE1100ELNS1_3gpuE3ELNS1_3repE0EEENS1_30default_config_static_selectorELNS0_4arch9wavefront6targetE0EEEvS10_,"axG",@progbits,_ZN7rocprim17ROCPRIM_400000_NS6detail17trampoline_kernelINS0_14default_configENS1_21merge_config_selectorINS0_5tupleIJjjEEENS0_10empty_typeEEEZNS1_10merge_implIS3_NS0_12zip_iteratorINS5_IJN6thrust23THRUST_200600_302600_NS6detail15normal_iteratorINSC_10device_ptrIKjEEEESI_EEEEESK_NSA_INS5_IJNSE_INSF_IjEEEESM_EEEEEPS7_SP_SP_NSC_11hip_rocprim7__merge17predicate_wrapperIjjNSC_4lessIjEEEEEE10hipError_tPvRmT0_T1_T2_T3_T4_T5_mmT6_P12ihipStream_tbEUlT_E0_NS1_11comp_targetILNS1_3genE9ELNS1_11target_archE1100ELNS1_3gpuE3ELNS1_3repE0EEENS1_30default_config_static_selectorELNS0_4arch9wavefront6targetE0EEEvS10_,comdat
	.protected	_ZN7rocprim17ROCPRIM_400000_NS6detail17trampoline_kernelINS0_14default_configENS1_21merge_config_selectorINS0_5tupleIJjjEEENS0_10empty_typeEEEZNS1_10merge_implIS3_NS0_12zip_iteratorINS5_IJN6thrust23THRUST_200600_302600_NS6detail15normal_iteratorINSC_10device_ptrIKjEEEESI_EEEEESK_NSA_INS5_IJNSE_INSF_IjEEEESM_EEEEEPS7_SP_SP_NSC_11hip_rocprim7__merge17predicate_wrapperIjjNSC_4lessIjEEEEEE10hipError_tPvRmT0_T1_T2_T3_T4_T5_mmT6_P12ihipStream_tbEUlT_E0_NS1_11comp_targetILNS1_3genE9ELNS1_11target_archE1100ELNS1_3gpuE3ELNS1_3repE0EEENS1_30default_config_static_selectorELNS0_4arch9wavefront6targetE0EEEvS10_ ; -- Begin function _ZN7rocprim17ROCPRIM_400000_NS6detail17trampoline_kernelINS0_14default_configENS1_21merge_config_selectorINS0_5tupleIJjjEEENS0_10empty_typeEEEZNS1_10merge_implIS3_NS0_12zip_iteratorINS5_IJN6thrust23THRUST_200600_302600_NS6detail15normal_iteratorINSC_10device_ptrIKjEEEESI_EEEEESK_NSA_INS5_IJNSE_INSF_IjEEEESM_EEEEEPS7_SP_SP_NSC_11hip_rocprim7__merge17predicate_wrapperIjjNSC_4lessIjEEEEEE10hipError_tPvRmT0_T1_T2_T3_T4_T5_mmT6_P12ihipStream_tbEUlT_E0_NS1_11comp_targetILNS1_3genE9ELNS1_11target_archE1100ELNS1_3gpuE3ELNS1_3repE0EEENS1_30default_config_static_selectorELNS0_4arch9wavefront6targetE0EEEvS10_
	.globl	_ZN7rocprim17ROCPRIM_400000_NS6detail17trampoline_kernelINS0_14default_configENS1_21merge_config_selectorINS0_5tupleIJjjEEENS0_10empty_typeEEEZNS1_10merge_implIS3_NS0_12zip_iteratorINS5_IJN6thrust23THRUST_200600_302600_NS6detail15normal_iteratorINSC_10device_ptrIKjEEEESI_EEEEESK_NSA_INS5_IJNSE_INSF_IjEEEESM_EEEEEPS7_SP_SP_NSC_11hip_rocprim7__merge17predicate_wrapperIjjNSC_4lessIjEEEEEE10hipError_tPvRmT0_T1_T2_T3_T4_T5_mmT6_P12ihipStream_tbEUlT_E0_NS1_11comp_targetILNS1_3genE9ELNS1_11target_archE1100ELNS1_3gpuE3ELNS1_3repE0EEENS1_30default_config_static_selectorELNS0_4arch9wavefront6targetE0EEEvS10_
	.p2align	8
	.type	_ZN7rocprim17ROCPRIM_400000_NS6detail17trampoline_kernelINS0_14default_configENS1_21merge_config_selectorINS0_5tupleIJjjEEENS0_10empty_typeEEEZNS1_10merge_implIS3_NS0_12zip_iteratorINS5_IJN6thrust23THRUST_200600_302600_NS6detail15normal_iteratorINSC_10device_ptrIKjEEEESI_EEEEESK_NSA_INS5_IJNSE_INSF_IjEEEESM_EEEEEPS7_SP_SP_NSC_11hip_rocprim7__merge17predicate_wrapperIjjNSC_4lessIjEEEEEE10hipError_tPvRmT0_T1_T2_T3_T4_T5_mmT6_P12ihipStream_tbEUlT_E0_NS1_11comp_targetILNS1_3genE9ELNS1_11target_archE1100ELNS1_3gpuE3ELNS1_3repE0EEENS1_30default_config_static_selectorELNS0_4arch9wavefront6targetE0EEEvS10_,@function
_ZN7rocprim17ROCPRIM_400000_NS6detail17trampoline_kernelINS0_14default_configENS1_21merge_config_selectorINS0_5tupleIJjjEEENS0_10empty_typeEEEZNS1_10merge_implIS3_NS0_12zip_iteratorINS5_IJN6thrust23THRUST_200600_302600_NS6detail15normal_iteratorINSC_10device_ptrIKjEEEESI_EEEEESK_NSA_INS5_IJNSE_INSF_IjEEEESM_EEEEEPS7_SP_SP_NSC_11hip_rocprim7__merge17predicate_wrapperIjjNSC_4lessIjEEEEEE10hipError_tPvRmT0_T1_T2_T3_T4_T5_mmT6_P12ihipStream_tbEUlT_E0_NS1_11comp_targetILNS1_3genE9ELNS1_11target_archE1100ELNS1_3gpuE3ELNS1_3repE0EEENS1_30default_config_static_selectorELNS0_4arch9wavefront6targetE0EEEvS10_: ; @_ZN7rocprim17ROCPRIM_400000_NS6detail17trampoline_kernelINS0_14default_configENS1_21merge_config_selectorINS0_5tupleIJjjEEENS0_10empty_typeEEEZNS1_10merge_implIS3_NS0_12zip_iteratorINS5_IJN6thrust23THRUST_200600_302600_NS6detail15normal_iteratorINSC_10device_ptrIKjEEEESI_EEEEESK_NSA_INS5_IJNSE_INSF_IjEEEESM_EEEEEPS7_SP_SP_NSC_11hip_rocprim7__merge17predicate_wrapperIjjNSC_4lessIjEEEEEE10hipError_tPvRmT0_T1_T2_T3_T4_T5_mmT6_P12ihipStream_tbEUlT_E0_NS1_11comp_targetILNS1_3genE9ELNS1_11target_archE1100ELNS1_3gpuE3ELNS1_3repE0EEENS1_30default_config_static_selectorELNS0_4arch9wavefront6targetE0EEEvS10_
; %bb.0:
	.section	.rodata,"a",@progbits
	.p2align	6, 0x0
	.amdhsa_kernel _ZN7rocprim17ROCPRIM_400000_NS6detail17trampoline_kernelINS0_14default_configENS1_21merge_config_selectorINS0_5tupleIJjjEEENS0_10empty_typeEEEZNS1_10merge_implIS3_NS0_12zip_iteratorINS5_IJN6thrust23THRUST_200600_302600_NS6detail15normal_iteratorINSC_10device_ptrIKjEEEESI_EEEEESK_NSA_INS5_IJNSE_INSF_IjEEEESM_EEEEEPS7_SP_SP_NSC_11hip_rocprim7__merge17predicate_wrapperIjjNSC_4lessIjEEEEEE10hipError_tPvRmT0_T1_T2_T3_T4_T5_mmT6_P12ihipStream_tbEUlT_E0_NS1_11comp_targetILNS1_3genE9ELNS1_11target_archE1100ELNS1_3gpuE3ELNS1_3repE0EEENS1_30default_config_static_selectorELNS0_4arch9wavefront6targetE0EEEvS10_
		.amdhsa_group_segment_fixed_size 0
		.amdhsa_private_segment_fixed_size 0
		.amdhsa_kernarg_size 112
		.amdhsa_user_sgpr_count 6
		.amdhsa_user_sgpr_private_segment_buffer 1
		.amdhsa_user_sgpr_dispatch_ptr 0
		.amdhsa_user_sgpr_queue_ptr 0
		.amdhsa_user_sgpr_kernarg_segment_ptr 1
		.amdhsa_user_sgpr_dispatch_id 0
		.amdhsa_user_sgpr_flat_scratch_init 0
		.amdhsa_user_sgpr_private_segment_size 0
		.amdhsa_wavefront_size32 1
		.amdhsa_uses_dynamic_stack 0
		.amdhsa_system_sgpr_private_segment_wavefront_offset 0
		.amdhsa_system_sgpr_workgroup_id_x 1
		.amdhsa_system_sgpr_workgroup_id_y 0
		.amdhsa_system_sgpr_workgroup_id_z 0
		.amdhsa_system_sgpr_workgroup_info 0
		.amdhsa_system_vgpr_workitem_id 0
		.amdhsa_next_free_vgpr 1
		.amdhsa_next_free_sgpr 1
		.amdhsa_reserve_vcc 0
		.amdhsa_reserve_flat_scratch 0
		.amdhsa_float_round_mode_32 0
		.amdhsa_float_round_mode_16_64 0
		.amdhsa_float_denorm_mode_32 3
		.amdhsa_float_denorm_mode_16_64 3
		.amdhsa_dx10_clamp 1
		.amdhsa_ieee_mode 1
		.amdhsa_fp16_overflow 0
		.amdhsa_workgroup_processor_mode 1
		.amdhsa_memory_ordered 1
		.amdhsa_forward_progress 1
		.amdhsa_shared_vgpr_count 0
		.amdhsa_exception_fp_ieee_invalid_op 0
		.amdhsa_exception_fp_denorm_src 0
		.amdhsa_exception_fp_ieee_div_zero 0
		.amdhsa_exception_fp_ieee_overflow 0
		.amdhsa_exception_fp_ieee_underflow 0
		.amdhsa_exception_fp_ieee_inexact 0
		.amdhsa_exception_int_div_zero 0
	.end_amdhsa_kernel
	.section	.text._ZN7rocprim17ROCPRIM_400000_NS6detail17trampoline_kernelINS0_14default_configENS1_21merge_config_selectorINS0_5tupleIJjjEEENS0_10empty_typeEEEZNS1_10merge_implIS3_NS0_12zip_iteratorINS5_IJN6thrust23THRUST_200600_302600_NS6detail15normal_iteratorINSC_10device_ptrIKjEEEESI_EEEEESK_NSA_INS5_IJNSE_INSF_IjEEEESM_EEEEEPS7_SP_SP_NSC_11hip_rocprim7__merge17predicate_wrapperIjjNSC_4lessIjEEEEEE10hipError_tPvRmT0_T1_T2_T3_T4_T5_mmT6_P12ihipStream_tbEUlT_E0_NS1_11comp_targetILNS1_3genE9ELNS1_11target_archE1100ELNS1_3gpuE3ELNS1_3repE0EEENS1_30default_config_static_selectorELNS0_4arch9wavefront6targetE0EEEvS10_,"axG",@progbits,_ZN7rocprim17ROCPRIM_400000_NS6detail17trampoline_kernelINS0_14default_configENS1_21merge_config_selectorINS0_5tupleIJjjEEENS0_10empty_typeEEEZNS1_10merge_implIS3_NS0_12zip_iteratorINS5_IJN6thrust23THRUST_200600_302600_NS6detail15normal_iteratorINSC_10device_ptrIKjEEEESI_EEEEESK_NSA_INS5_IJNSE_INSF_IjEEEESM_EEEEEPS7_SP_SP_NSC_11hip_rocprim7__merge17predicate_wrapperIjjNSC_4lessIjEEEEEE10hipError_tPvRmT0_T1_T2_T3_T4_T5_mmT6_P12ihipStream_tbEUlT_E0_NS1_11comp_targetILNS1_3genE9ELNS1_11target_archE1100ELNS1_3gpuE3ELNS1_3repE0EEENS1_30default_config_static_selectorELNS0_4arch9wavefront6targetE0EEEvS10_,comdat
.Lfunc_end149:
	.size	_ZN7rocprim17ROCPRIM_400000_NS6detail17trampoline_kernelINS0_14default_configENS1_21merge_config_selectorINS0_5tupleIJjjEEENS0_10empty_typeEEEZNS1_10merge_implIS3_NS0_12zip_iteratorINS5_IJN6thrust23THRUST_200600_302600_NS6detail15normal_iteratorINSC_10device_ptrIKjEEEESI_EEEEESK_NSA_INS5_IJNSE_INSF_IjEEEESM_EEEEEPS7_SP_SP_NSC_11hip_rocprim7__merge17predicate_wrapperIjjNSC_4lessIjEEEEEE10hipError_tPvRmT0_T1_T2_T3_T4_T5_mmT6_P12ihipStream_tbEUlT_E0_NS1_11comp_targetILNS1_3genE9ELNS1_11target_archE1100ELNS1_3gpuE3ELNS1_3repE0EEENS1_30default_config_static_selectorELNS0_4arch9wavefront6targetE0EEEvS10_, .Lfunc_end149-_ZN7rocprim17ROCPRIM_400000_NS6detail17trampoline_kernelINS0_14default_configENS1_21merge_config_selectorINS0_5tupleIJjjEEENS0_10empty_typeEEEZNS1_10merge_implIS3_NS0_12zip_iteratorINS5_IJN6thrust23THRUST_200600_302600_NS6detail15normal_iteratorINSC_10device_ptrIKjEEEESI_EEEEESK_NSA_INS5_IJNSE_INSF_IjEEEESM_EEEEEPS7_SP_SP_NSC_11hip_rocprim7__merge17predicate_wrapperIjjNSC_4lessIjEEEEEE10hipError_tPvRmT0_T1_T2_T3_T4_T5_mmT6_P12ihipStream_tbEUlT_E0_NS1_11comp_targetILNS1_3genE9ELNS1_11target_archE1100ELNS1_3gpuE3ELNS1_3repE0EEENS1_30default_config_static_selectorELNS0_4arch9wavefront6targetE0EEEvS10_
                                        ; -- End function
	.set _ZN7rocprim17ROCPRIM_400000_NS6detail17trampoline_kernelINS0_14default_configENS1_21merge_config_selectorINS0_5tupleIJjjEEENS0_10empty_typeEEEZNS1_10merge_implIS3_NS0_12zip_iteratorINS5_IJN6thrust23THRUST_200600_302600_NS6detail15normal_iteratorINSC_10device_ptrIKjEEEESI_EEEEESK_NSA_INS5_IJNSE_INSF_IjEEEESM_EEEEEPS7_SP_SP_NSC_11hip_rocprim7__merge17predicate_wrapperIjjNSC_4lessIjEEEEEE10hipError_tPvRmT0_T1_T2_T3_T4_T5_mmT6_P12ihipStream_tbEUlT_E0_NS1_11comp_targetILNS1_3genE9ELNS1_11target_archE1100ELNS1_3gpuE3ELNS1_3repE0EEENS1_30default_config_static_selectorELNS0_4arch9wavefront6targetE0EEEvS10_.num_vgpr, 0
	.set _ZN7rocprim17ROCPRIM_400000_NS6detail17trampoline_kernelINS0_14default_configENS1_21merge_config_selectorINS0_5tupleIJjjEEENS0_10empty_typeEEEZNS1_10merge_implIS3_NS0_12zip_iteratorINS5_IJN6thrust23THRUST_200600_302600_NS6detail15normal_iteratorINSC_10device_ptrIKjEEEESI_EEEEESK_NSA_INS5_IJNSE_INSF_IjEEEESM_EEEEEPS7_SP_SP_NSC_11hip_rocprim7__merge17predicate_wrapperIjjNSC_4lessIjEEEEEE10hipError_tPvRmT0_T1_T2_T3_T4_T5_mmT6_P12ihipStream_tbEUlT_E0_NS1_11comp_targetILNS1_3genE9ELNS1_11target_archE1100ELNS1_3gpuE3ELNS1_3repE0EEENS1_30default_config_static_selectorELNS0_4arch9wavefront6targetE0EEEvS10_.num_agpr, 0
	.set _ZN7rocprim17ROCPRIM_400000_NS6detail17trampoline_kernelINS0_14default_configENS1_21merge_config_selectorINS0_5tupleIJjjEEENS0_10empty_typeEEEZNS1_10merge_implIS3_NS0_12zip_iteratorINS5_IJN6thrust23THRUST_200600_302600_NS6detail15normal_iteratorINSC_10device_ptrIKjEEEESI_EEEEESK_NSA_INS5_IJNSE_INSF_IjEEEESM_EEEEEPS7_SP_SP_NSC_11hip_rocprim7__merge17predicate_wrapperIjjNSC_4lessIjEEEEEE10hipError_tPvRmT0_T1_T2_T3_T4_T5_mmT6_P12ihipStream_tbEUlT_E0_NS1_11comp_targetILNS1_3genE9ELNS1_11target_archE1100ELNS1_3gpuE3ELNS1_3repE0EEENS1_30default_config_static_selectorELNS0_4arch9wavefront6targetE0EEEvS10_.numbered_sgpr, 0
	.set _ZN7rocprim17ROCPRIM_400000_NS6detail17trampoline_kernelINS0_14default_configENS1_21merge_config_selectorINS0_5tupleIJjjEEENS0_10empty_typeEEEZNS1_10merge_implIS3_NS0_12zip_iteratorINS5_IJN6thrust23THRUST_200600_302600_NS6detail15normal_iteratorINSC_10device_ptrIKjEEEESI_EEEEESK_NSA_INS5_IJNSE_INSF_IjEEEESM_EEEEEPS7_SP_SP_NSC_11hip_rocprim7__merge17predicate_wrapperIjjNSC_4lessIjEEEEEE10hipError_tPvRmT0_T1_T2_T3_T4_T5_mmT6_P12ihipStream_tbEUlT_E0_NS1_11comp_targetILNS1_3genE9ELNS1_11target_archE1100ELNS1_3gpuE3ELNS1_3repE0EEENS1_30default_config_static_selectorELNS0_4arch9wavefront6targetE0EEEvS10_.num_named_barrier, 0
	.set _ZN7rocprim17ROCPRIM_400000_NS6detail17trampoline_kernelINS0_14default_configENS1_21merge_config_selectorINS0_5tupleIJjjEEENS0_10empty_typeEEEZNS1_10merge_implIS3_NS0_12zip_iteratorINS5_IJN6thrust23THRUST_200600_302600_NS6detail15normal_iteratorINSC_10device_ptrIKjEEEESI_EEEEESK_NSA_INS5_IJNSE_INSF_IjEEEESM_EEEEEPS7_SP_SP_NSC_11hip_rocprim7__merge17predicate_wrapperIjjNSC_4lessIjEEEEEE10hipError_tPvRmT0_T1_T2_T3_T4_T5_mmT6_P12ihipStream_tbEUlT_E0_NS1_11comp_targetILNS1_3genE9ELNS1_11target_archE1100ELNS1_3gpuE3ELNS1_3repE0EEENS1_30default_config_static_selectorELNS0_4arch9wavefront6targetE0EEEvS10_.private_seg_size, 0
	.set _ZN7rocprim17ROCPRIM_400000_NS6detail17trampoline_kernelINS0_14default_configENS1_21merge_config_selectorINS0_5tupleIJjjEEENS0_10empty_typeEEEZNS1_10merge_implIS3_NS0_12zip_iteratorINS5_IJN6thrust23THRUST_200600_302600_NS6detail15normal_iteratorINSC_10device_ptrIKjEEEESI_EEEEESK_NSA_INS5_IJNSE_INSF_IjEEEESM_EEEEEPS7_SP_SP_NSC_11hip_rocprim7__merge17predicate_wrapperIjjNSC_4lessIjEEEEEE10hipError_tPvRmT0_T1_T2_T3_T4_T5_mmT6_P12ihipStream_tbEUlT_E0_NS1_11comp_targetILNS1_3genE9ELNS1_11target_archE1100ELNS1_3gpuE3ELNS1_3repE0EEENS1_30default_config_static_selectorELNS0_4arch9wavefront6targetE0EEEvS10_.uses_vcc, 0
	.set _ZN7rocprim17ROCPRIM_400000_NS6detail17trampoline_kernelINS0_14default_configENS1_21merge_config_selectorINS0_5tupleIJjjEEENS0_10empty_typeEEEZNS1_10merge_implIS3_NS0_12zip_iteratorINS5_IJN6thrust23THRUST_200600_302600_NS6detail15normal_iteratorINSC_10device_ptrIKjEEEESI_EEEEESK_NSA_INS5_IJNSE_INSF_IjEEEESM_EEEEEPS7_SP_SP_NSC_11hip_rocprim7__merge17predicate_wrapperIjjNSC_4lessIjEEEEEE10hipError_tPvRmT0_T1_T2_T3_T4_T5_mmT6_P12ihipStream_tbEUlT_E0_NS1_11comp_targetILNS1_3genE9ELNS1_11target_archE1100ELNS1_3gpuE3ELNS1_3repE0EEENS1_30default_config_static_selectorELNS0_4arch9wavefront6targetE0EEEvS10_.uses_flat_scratch, 0
	.set _ZN7rocprim17ROCPRIM_400000_NS6detail17trampoline_kernelINS0_14default_configENS1_21merge_config_selectorINS0_5tupleIJjjEEENS0_10empty_typeEEEZNS1_10merge_implIS3_NS0_12zip_iteratorINS5_IJN6thrust23THRUST_200600_302600_NS6detail15normal_iteratorINSC_10device_ptrIKjEEEESI_EEEEESK_NSA_INS5_IJNSE_INSF_IjEEEESM_EEEEEPS7_SP_SP_NSC_11hip_rocprim7__merge17predicate_wrapperIjjNSC_4lessIjEEEEEE10hipError_tPvRmT0_T1_T2_T3_T4_T5_mmT6_P12ihipStream_tbEUlT_E0_NS1_11comp_targetILNS1_3genE9ELNS1_11target_archE1100ELNS1_3gpuE3ELNS1_3repE0EEENS1_30default_config_static_selectorELNS0_4arch9wavefront6targetE0EEEvS10_.has_dyn_sized_stack, 0
	.set _ZN7rocprim17ROCPRIM_400000_NS6detail17trampoline_kernelINS0_14default_configENS1_21merge_config_selectorINS0_5tupleIJjjEEENS0_10empty_typeEEEZNS1_10merge_implIS3_NS0_12zip_iteratorINS5_IJN6thrust23THRUST_200600_302600_NS6detail15normal_iteratorINSC_10device_ptrIKjEEEESI_EEEEESK_NSA_INS5_IJNSE_INSF_IjEEEESM_EEEEEPS7_SP_SP_NSC_11hip_rocprim7__merge17predicate_wrapperIjjNSC_4lessIjEEEEEE10hipError_tPvRmT0_T1_T2_T3_T4_T5_mmT6_P12ihipStream_tbEUlT_E0_NS1_11comp_targetILNS1_3genE9ELNS1_11target_archE1100ELNS1_3gpuE3ELNS1_3repE0EEENS1_30default_config_static_selectorELNS0_4arch9wavefront6targetE0EEEvS10_.has_recursion, 0
	.set _ZN7rocprim17ROCPRIM_400000_NS6detail17trampoline_kernelINS0_14default_configENS1_21merge_config_selectorINS0_5tupleIJjjEEENS0_10empty_typeEEEZNS1_10merge_implIS3_NS0_12zip_iteratorINS5_IJN6thrust23THRUST_200600_302600_NS6detail15normal_iteratorINSC_10device_ptrIKjEEEESI_EEEEESK_NSA_INS5_IJNSE_INSF_IjEEEESM_EEEEEPS7_SP_SP_NSC_11hip_rocprim7__merge17predicate_wrapperIjjNSC_4lessIjEEEEEE10hipError_tPvRmT0_T1_T2_T3_T4_T5_mmT6_P12ihipStream_tbEUlT_E0_NS1_11comp_targetILNS1_3genE9ELNS1_11target_archE1100ELNS1_3gpuE3ELNS1_3repE0EEENS1_30default_config_static_selectorELNS0_4arch9wavefront6targetE0EEEvS10_.has_indirect_call, 0
	.section	.AMDGPU.csdata,"",@progbits
; Kernel info:
; codeLenInByte = 0
; TotalNumSgprs: 0
; NumVgprs: 0
; ScratchSize: 0
; MemoryBound: 0
; FloatMode: 240
; IeeeMode: 1
; LDSByteSize: 0 bytes/workgroup (compile time only)
; SGPRBlocks: 0
; VGPRBlocks: 0
; NumSGPRsForWavesPerEU: 1
; NumVGPRsForWavesPerEU: 1
; Occupancy: 16
; WaveLimiterHint : 0
; COMPUTE_PGM_RSRC2:SCRATCH_EN: 0
; COMPUTE_PGM_RSRC2:USER_SGPR: 6
; COMPUTE_PGM_RSRC2:TRAP_HANDLER: 0
; COMPUTE_PGM_RSRC2:TGID_X_EN: 1
; COMPUTE_PGM_RSRC2:TGID_Y_EN: 0
; COMPUTE_PGM_RSRC2:TGID_Z_EN: 0
; COMPUTE_PGM_RSRC2:TIDIG_COMP_CNT: 0
	.section	.text._ZN7rocprim17ROCPRIM_400000_NS6detail17trampoline_kernelINS0_14default_configENS1_21merge_config_selectorINS0_5tupleIJjjEEENS0_10empty_typeEEEZNS1_10merge_implIS3_NS0_12zip_iteratorINS5_IJN6thrust23THRUST_200600_302600_NS6detail15normal_iteratorINSC_10device_ptrIKjEEEESI_EEEEESK_NSA_INS5_IJNSE_INSF_IjEEEESM_EEEEEPS7_SP_SP_NSC_11hip_rocprim7__merge17predicate_wrapperIjjNSC_4lessIjEEEEEE10hipError_tPvRmT0_T1_T2_T3_T4_T5_mmT6_P12ihipStream_tbEUlT_E0_NS1_11comp_targetILNS1_3genE8ELNS1_11target_archE1030ELNS1_3gpuE2ELNS1_3repE0EEENS1_30default_config_static_selectorELNS0_4arch9wavefront6targetE0EEEvS10_,"axG",@progbits,_ZN7rocprim17ROCPRIM_400000_NS6detail17trampoline_kernelINS0_14default_configENS1_21merge_config_selectorINS0_5tupleIJjjEEENS0_10empty_typeEEEZNS1_10merge_implIS3_NS0_12zip_iteratorINS5_IJN6thrust23THRUST_200600_302600_NS6detail15normal_iteratorINSC_10device_ptrIKjEEEESI_EEEEESK_NSA_INS5_IJNSE_INSF_IjEEEESM_EEEEEPS7_SP_SP_NSC_11hip_rocprim7__merge17predicate_wrapperIjjNSC_4lessIjEEEEEE10hipError_tPvRmT0_T1_T2_T3_T4_T5_mmT6_P12ihipStream_tbEUlT_E0_NS1_11comp_targetILNS1_3genE8ELNS1_11target_archE1030ELNS1_3gpuE2ELNS1_3repE0EEENS1_30default_config_static_selectorELNS0_4arch9wavefront6targetE0EEEvS10_,comdat
	.protected	_ZN7rocprim17ROCPRIM_400000_NS6detail17trampoline_kernelINS0_14default_configENS1_21merge_config_selectorINS0_5tupleIJjjEEENS0_10empty_typeEEEZNS1_10merge_implIS3_NS0_12zip_iteratorINS5_IJN6thrust23THRUST_200600_302600_NS6detail15normal_iteratorINSC_10device_ptrIKjEEEESI_EEEEESK_NSA_INS5_IJNSE_INSF_IjEEEESM_EEEEEPS7_SP_SP_NSC_11hip_rocprim7__merge17predicate_wrapperIjjNSC_4lessIjEEEEEE10hipError_tPvRmT0_T1_T2_T3_T4_T5_mmT6_P12ihipStream_tbEUlT_E0_NS1_11comp_targetILNS1_3genE8ELNS1_11target_archE1030ELNS1_3gpuE2ELNS1_3repE0EEENS1_30default_config_static_selectorELNS0_4arch9wavefront6targetE0EEEvS10_ ; -- Begin function _ZN7rocprim17ROCPRIM_400000_NS6detail17trampoline_kernelINS0_14default_configENS1_21merge_config_selectorINS0_5tupleIJjjEEENS0_10empty_typeEEEZNS1_10merge_implIS3_NS0_12zip_iteratorINS5_IJN6thrust23THRUST_200600_302600_NS6detail15normal_iteratorINSC_10device_ptrIKjEEEESI_EEEEESK_NSA_INS5_IJNSE_INSF_IjEEEESM_EEEEEPS7_SP_SP_NSC_11hip_rocprim7__merge17predicate_wrapperIjjNSC_4lessIjEEEEEE10hipError_tPvRmT0_T1_T2_T3_T4_T5_mmT6_P12ihipStream_tbEUlT_E0_NS1_11comp_targetILNS1_3genE8ELNS1_11target_archE1030ELNS1_3gpuE2ELNS1_3repE0EEENS1_30default_config_static_selectorELNS0_4arch9wavefront6targetE0EEEvS10_
	.globl	_ZN7rocprim17ROCPRIM_400000_NS6detail17trampoline_kernelINS0_14default_configENS1_21merge_config_selectorINS0_5tupleIJjjEEENS0_10empty_typeEEEZNS1_10merge_implIS3_NS0_12zip_iteratorINS5_IJN6thrust23THRUST_200600_302600_NS6detail15normal_iteratorINSC_10device_ptrIKjEEEESI_EEEEESK_NSA_INS5_IJNSE_INSF_IjEEEESM_EEEEEPS7_SP_SP_NSC_11hip_rocprim7__merge17predicate_wrapperIjjNSC_4lessIjEEEEEE10hipError_tPvRmT0_T1_T2_T3_T4_T5_mmT6_P12ihipStream_tbEUlT_E0_NS1_11comp_targetILNS1_3genE8ELNS1_11target_archE1030ELNS1_3gpuE2ELNS1_3repE0EEENS1_30default_config_static_selectorELNS0_4arch9wavefront6targetE0EEEvS10_
	.p2align	8
	.type	_ZN7rocprim17ROCPRIM_400000_NS6detail17trampoline_kernelINS0_14default_configENS1_21merge_config_selectorINS0_5tupleIJjjEEENS0_10empty_typeEEEZNS1_10merge_implIS3_NS0_12zip_iteratorINS5_IJN6thrust23THRUST_200600_302600_NS6detail15normal_iteratorINSC_10device_ptrIKjEEEESI_EEEEESK_NSA_INS5_IJNSE_INSF_IjEEEESM_EEEEEPS7_SP_SP_NSC_11hip_rocprim7__merge17predicate_wrapperIjjNSC_4lessIjEEEEEE10hipError_tPvRmT0_T1_T2_T3_T4_T5_mmT6_P12ihipStream_tbEUlT_E0_NS1_11comp_targetILNS1_3genE8ELNS1_11target_archE1030ELNS1_3gpuE2ELNS1_3repE0EEENS1_30default_config_static_selectorELNS0_4arch9wavefront6targetE0EEEvS10_,@function
_ZN7rocprim17ROCPRIM_400000_NS6detail17trampoline_kernelINS0_14default_configENS1_21merge_config_selectorINS0_5tupleIJjjEEENS0_10empty_typeEEEZNS1_10merge_implIS3_NS0_12zip_iteratorINS5_IJN6thrust23THRUST_200600_302600_NS6detail15normal_iteratorINSC_10device_ptrIKjEEEESI_EEEEESK_NSA_INS5_IJNSE_INSF_IjEEEESM_EEEEEPS7_SP_SP_NSC_11hip_rocprim7__merge17predicate_wrapperIjjNSC_4lessIjEEEEEE10hipError_tPvRmT0_T1_T2_T3_T4_T5_mmT6_P12ihipStream_tbEUlT_E0_NS1_11comp_targetILNS1_3genE8ELNS1_11target_archE1030ELNS1_3gpuE2ELNS1_3repE0EEENS1_30default_config_static_selectorELNS0_4arch9wavefront6targetE0EEEvS10_: ; @_ZN7rocprim17ROCPRIM_400000_NS6detail17trampoline_kernelINS0_14default_configENS1_21merge_config_selectorINS0_5tupleIJjjEEENS0_10empty_typeEEEZNS1_10merge_implIS3_NS0_12zip_iteratorINS5_IJN6thrust23THRUST_200600_302600_NS6detail15normal_iteratorINSC_10device_ptrIKjEEEESI_EEEEESK_NSA_INS5_IJNSE_INSF_IjEEEESM_EEEEEPS7_SP_SP_NSC_11hip_rocprim7__merge17predicate_wrapperIjjNSC_4lessIjEEEEEE10hipError_tPvRmT0_T1_T2_T3_T4_T5_mmT6_P12ihipStream_tbEUlT_E0_NS1_11comp_targetILNS1_3genE8ELNS1_11target_archE1030ELNS1_3gpuE2ELNS1_3repE0EEENS1_30default_config_static_selectorELNS0_4arch9wavefront6targetE0EEEvS10_
; %bb.0:
	s_clause 0x2
	s_load_dwordx4 s[0:3], s[4:5], 0x58
	s_load_dwordx8 s[8:15], s[4:5], 0x8
	s_load_dwordx4 s[16:19], s[4:5], 0x28
	s_lshl_b32 s20, s6, 12
	s_mov_b32 s25, 0
	v_mov_b32_e32 v1, 0
	s_mov_b32 s27, s25
	s_waitcnt lgkmcnt(0)
	s_add_i32 s22, s2, s0
	s_add_i32 s0, s22, 0xfff
	s_lshr_b32 s0, s0, 12
	s_min_u32 s1, s6, s0
	s_lshl_b32 s1, s1, 2
	s_load_dword s24, s[8:9], s1 offset:0x0
	s_add_i32 s1, s6, 1
	s_min_u32 s0, s1, s0
	s_lshl_b32 s0, s0, 2
	s_load_dword s21, s[8:9], s0 offset:0x0
	s_add_i32 s0, s20, 0x1000
	s_min_u32 s23, s22, s0
	s_waitcnt lgkmcnt(0)
	s_lshl_b64 s[2:3], s[24:25], 2
	s_sub_i32 s26, s20, s24
	s_add_u32 s0, s10, s2
	s_addc_u32 s1, s11, s3
	s_add_u32 s2, s12, s2
	s_addc_u32 s3, s13, s3
	s_lshl_b64 s[8:9], s[26:27], 2
	s_mov_b32 s13, exec_lo
	s_add_u32 s6, s14, s8
	s_addc_u32 s7, s15, s9
	s_add_u32 s8, s16, s8
	s_addc_u32 s9, s17, s9
	s_add_i32 s10, s26, s21
	s_sub_i32 s15, s21, s24
	s_sub_i32 s12, s23, s10
	s_add_u32 s10, s12, s15
	s_addc_u32 s11, 0, 0
	v_cmpx_le_u32_e64 s15, v0
	s_xor_b32 s13, exec_lo, s13
	s_cbranch_execz .LBB150_4
; %bb.1:
	s_mov_b32 s14, exec_lo
	v_cmpx_gt_u64_e64 s[10:11], v[0:1]
	s_cbranch_execz .LBB150_3
; %bb.2:
	v_subrev_nc_u32_e32 v1, s15, v0
	v_lshlrev_b32_e32 v3, 3, v0
	v_lshlrev_b32_e32 v2, 2, v1
	s_clause 0x1
	global_load_dword v1, v2, s[6:7]
	global_load_dword v2, v2, s[8:9]
	s_waitcnt vmcnt(0)
	ds_write_b64 v3, v[1:2]
.LBB150_3:
	s_or_b32 exec_lo, exec_lo, s14
.LBB150_4:
	s_or_saveexec_b32 s13, s13
	v_lshlrev_b32_e32 v50, 2, v0
	v_lshlrev_b32_e32 v51, 3, v0
	s_xor_b32 exec_lo, exec_lo, s13
	s_cbranch_execz .LBB150_6
; %bb.5:
	s_clause 0x1
	global_load_dword v1, v50, s[0:1]
	global_load_dword v2, v50, s[2:3]
	s_waitcnt vmcnt(0)
	ds_write_b64 v51, v[1:2]
.LBB150_6:
	s_or_b32 exec_lo, exec_lo, s13
	v_or_b32_e32 v1, 0x100, v0
	v_mov_b32_e32 v2, 0
	s_mov_b32 s13, exec_lo
	v_cmpx_le_u32_e64 s15, v1
	s_xor_b32 s13, exec_lo, s13
	s_cbranch_execz .LBB150_10
; %bb.7:
	s_mov_b32 s14, exec_lo
	v_cmpx_gt_u64_e64 s[10:11], v[1:2]
	s_cbranch_execz .LBB150_9
; %bb.8:
	v_sub_co_u32 v2, s16, v0, s15
	v_sub_co_ci_u32_e64 v3, null, 0, 0, s16
	v_lshlrev_b64 v[2:3], 2, v[2:3]
	v_add_co_u32 v4, vcc_lo, s6, v2
	v_add_co_ci_u32_e64 v5, null, s7, v3, vcc_lo
	v_add_co_u32 v2, vcc_lo, s8, v2
	v_add_co_ci_u32_e64 v3, null, s9, v3, vcc_lo
	global_load_dword v4, v[4:5], off offset:1024
	global_load_dword v5, v[2:3], off offset:1024
	s_waitcnt vmcnt(0)
	ds_write_b64 v51, v[4:5] offset:2048
.LBB150_9:
	s_or_b32 exec_lo, exec_lo, s14
.LBB150_10:
	s_andn2_saveexec_b32 s13, s13
	s_cbranch_execz .LBB150_12
; %bb.11:
	s_clause 0x1
	global_load_dword v2, v50, s[0:1] offset:1024
	global_load_dword v3, v50, s[2:3] offset:1024
	s_waitcnt vmcnt(0)
	ds_write_b64 v51, v[2:3] offset:2048
.LBB150_12:
	s_or_b32 exec_lo, exec_lo, s13
	v_or_b32_e32 v2, 0x200, v0
	v_mov_b32_e32 v3, 0
	s_mov_b32 s13, exec_lo
	v_cmpx_le_u32_e64 s15, v2
	s_xor_b32 s13, exec_lo, s13
	s_cbranch_execz .LBB150_16
; %bb.13:
	s_mov_b32 s14, exec_lo
	v_cmpx_gt_u64_e64 s[10:11], v[2:3]
	s_cbranch_execz .LBB150_15
; %bb.14:
	v_subrev_nc_u32_e32 v3, s15, v2
	v_lshlrev_b32_e32 v4, 2, v3
	s_clause 0x1
	global_load_dword v3, v4, s[6:7]
	global_load_dword v4, v4, s[8:9]
	s_waitcnt vmcnt(0)
	ds_write_b64 v51, v[3:4] offset:4096
.LBB150_15:
	s_or_b32 exec_lo, exec_lo, s14
.LBB150_16:
	s_andn2_saveexec_b32 s13, s13
	s_cbranch_execz .LBB150_18
; %bb.17:
	v_lshlrev_b32_e32 v4, 2, v2
	s_clause 0x1
	global_load_dword v3, v4, s[0:1]
	global_load_dword v4, v4, s[2:3]
	s_waitcnt vmcnt(0)
	ds_write_b64 v51, v[3:4] offset:4096
.LBB150_18:
	s_or_b32 exec_lo, exec_lo, s13
	v_or_b32_e32 v3, 0x300, v0
	v_mov_b32_e32 v4, 0
	s_mov_b32 s13, exec_lo
	v_cmpx_le_u32_e64 s15, v3
	s_xor_b32 s13, exec_lo, s13
	s_cbranch_execz .LBB150_22
; %bb.19:
	s_mov_b32 s14, exec_lo
	v_cmpx_gt_u64_e64 s[10:11], v[3:4]
	s_cbranch_execz .LBB150_21
; %bb.20:
	v_subrev_nc_u32_e32 v4, s15, v3
	v_lshlrev_b32_e32 v5, 2, v4
	s_clause 0x1
	global_load_dword v4, v5, s[6:7]
	global_load_dword v5, v5, s[8:9]
	s_waitcnt vmcnt(0)
	ds_write_b64 v51, v[4:5] offset:6144
.LBB150_21:
	s_or_b32 exec_lo, exec_lo, s14
.LBB150_22:
	s_andn2_saveexec_b32 s13, s13
	s_cbranch_execz .LBB150_24
; %bb.23:
	v_lshlrev_b32_e32 v5, 2, v3
	s_clause 0x1
	global_load_dword v4, v5, s[0:1]
	global_load_dword v5, v5, s[2:3]
	s_waitcnt vmcnt(0)
	ds_write_b64 v51, v[4:5] offset:6144
.LBB150_24:
	;; [unrolled: 32-line block ×13, first 2 shown]
	s_or_b32 exec_lo, exec_lo, s13
	v_or_b32_e32 v15, 0xf00, v0
	v_mov_b32_e32 v16, 0
	s_mov_b32 s13, exec_lo
	v_cmpx_le_u32_e64 s15, v15
	s_xor_b32 s13, exec_lo, s13
	s_cbranch_execz .LBB150_94
; %bb.91:
	v_cmp_gt_u64_e32 vcc_lo, s[10:11], v[15:16]
	s_and_saveexec_b32 s10, vcc_lo
	s_cbranch_execz .LBB150_93
; %bb.92:
	v_subrev_nc_u32_e32 v16, s15, v15
	v_lshlrev_b32_e32 v17, 2, v16
	s_clause 0x1
	global_load_dword v16, v17, s[6:7]
	global_load_dword v17, v17, s[8:9]
	s_waitcnt vmcnt(0)
	ds_write_b64 v51, v[16:17] offset:30720
.LBB150_93:
	s_or_b32 exec_lo, exec_lo, s10
.LBB150_94:
	s_or_saveexec_b32 s6, s13
	s_load_dwordx2 s[16:17], s[4:5], 0x38
	s_xor_b32 exec_lo, exec_lo, s6
	s_cbranch_execz .LBB150_96
; %bb.95:
	v_lshlrev_b32_e32 v17, 2, v15
	s_clause 0x1
	global_load_dword v16, v17, s[0:1]
	global_load_dword v17, v17, s[2:3]
	s_waitcnt vmcnt(0)
	ds_write_b64 v51, v[16:17] offset:30720
.LBB150_96:
	s_or_b32 exec_lo, exec_lo, s6
	v_lshlrev_b32_e32 v48, 4, v0
	s_mov_b32 s0, exec_lo
	s_waitcnt lgkmcnt(0)
	s_barrier
	buffer_gl0_inv
	v_sub_nc_u32_e64 v49, v48, s12 clamp
	v_min_u32_e32 v16, s15, v48
	v_cmpx_lt_u32_e64 v49, v16
	s_cbranch_execz .LBB150_100
; %bb.97:
	v_lshlrev_b32_e32 v17, 3, v48
	s_mov_b32 s1, 0
	v_lshl_add_u32 v17, s15, 3, v17
	.p2align	6
.LBB150_98:                             ; =>This Inner Loop Header: Depth=1
	v_add_nc_u32_e32 v18, v16, v49
	v_lshrrev_b32_e32 v18, 1, v18
	v_not_b32_e32 v19, v18
	v_lshlrev_b32_e32 v20, 3, v18
	v_add_nc_u32_e32 v21, 1, v18
	v_lshl_add_u32 v19, v19, 3, v17
	ds_read_b32 v20, v20
	ds_read_b32 v19, v19
	s_waitcnt lgkmcnt(0)
	v_cmp_lt_u32_e32 vcc_lo, v19, v20
	v_cndmask_b32_e32 v16, v16, v18, vcc_lo
	v_cndmask_b32_e32 v49, v21, v49, vcc_lo
	v_cmp_ge_u32_e32 vcc_lo, v49, v16
	s_or_b32 s1, vcc_lo, s1
	s_andn2_b32 exec_lo, exec_lo, s1
	s_cbranch_execnz .LBB150_98
; %bb.99:
	s_or_b32 exec_lo, exec_lo, s1
.LBB150_100:
	s_or_b32 exec_lo, exec_lo, s0
	v_add_nc_u32_e32 v18, s15, v48
	s_add_i32 s23, s12, s15
	v_cmp_ge_u32_e32 vcc_lo, s15, v49
	v_mov_b32_e32 v16, 0
	v_mov_b32_e32 v20, 0
	v_sub_nc_u32_e32 v52, v18, v49
	v_mov_b32_e32 v18, 0
	v_mov_b32_e32 v22, 0
	;; [unrolled: 1-line block ×4, first 2 shown]
	v_cmp_ge_u32_e64 s0, s23, v52
	v_mov_b32_e32 v36, 0
	v_mov_b32_e32 v38, 0
	;; [unrolled: 1-line block ×26, first 2 shown]
	s_or_b32 s0, vcc_lo, s0
	s_and_saveexec_b32 s21, s0
	s_cbranch_execz .LBB150_106
; %bb.101:
	v_cmp_gt_u32_e32 vcc_lo, s15, v49
	v_mov_b32_e32 v16, 0
	v_mov_b32_e32 v18, 0
	;; [unrolled: 1-line block ×3, first 2 shown]
	s_and_saveexec_b32 s0, vcc_lo
; %bb.102:
	v_lshlrev_b32_e32 v17, 3, v49
	ds_read_b64 v[18:19], v17
; %bb.103:
	s_or_b32 exec_lo, exec_lo, s0
	v_cmp_le_u32_e64 s0, s23, v52
	v_mov_b32_e32 v17, 0
	s_mov_b32 s2, exec_lo
	v_cmpx_gt_u32_e64 s23, v52
; %bb.104:
	v_lshlrev_b32_e32 v16, 3, v52
	ds_read_b64 v[16:17], v16
; %bb.105:
	s_or_b32 exec_lo, exec_lo, s2
	s_waitcnt lgkmcnt(0)
	v_cmp_ge_u32_e64 s1, v16, v18
	v_mov_b32_e32 v42, s15
	s_and_b32 s1, vcc_lo, s1
	s_or_b32 vcc_lo, s0, s1
	v_cndmask_b32_e32 v20, v52, v49, vcc_lo
	v_cndmask_b32_e32 v21, s23, v42, vcc_lo
	v_add_nc_u32_e32 v22, 1, v20
	v_add_nc_u32_e32 v20, -1, v21
	v_cndmask_b32_e32 v24, v49, v22, vcc_lo
	v_min_u32_e32 v20, v22, v20
	v_cndmask_b32_e32 v25, v22, v52, vcc_lo
	v_cmp_gt_u32_e64 s0, s15, v24
	v_lshlrev_b32_e32 v20, 3, v20
	v_cmp_le_u32_e64 s2, s23, v25
	ds_read_b64 v[20:21], v20
	s_waitcnt lgkmcnt(0)
	v_cndmask_b32_e32 v47, v20, v16, vcc_lo
	v_cndmask_b32_e32 v20, v18, v20, vcc_lo
	;; [unrolled: 1-line block ×3, first 2 shown]
	v_cmp_ge_u32_e64 s1, v47, v20
	s_and_b32 s0, s0, s1
	s_or_b32 s0, s2, s0
	v_cndmask_b32_e64 v22, v25, v24, s0
	v_cndmask_b32_e64 v23, s23, v42, s0
	v_add_nc_u32_e32 v26, 1, v22
	v_add_nc_u32_e32 v22, -1, v23
	v_cndmask_b32_e64 v27, v24, v26, s0
	v_min_u32_e32 v22, v26, v22
	v_cndmask_b32_e64 v26, v26, v25, s0
	v_cmp_gt_u32_e64 s1, s15, v27
	v_lshlrev_b32_e32 v22, 3, v22
	v_cmp_le_u32_e64 s3, s23, v26
	ds_read_b64 v[22:23], v22
	s_waitcnt lgkmcnt(0)
	v_cndmask_b32_e64 v49, v22, v47, s0
	v_cndmask_b32_e64 v22, v20, v22, s0
	v_cndmask_b32_e64 v20, v47, v20, s0
	v_cmp_ge_u32_e64 s2, v49, v22
	s_and_b32 s1, s1, s2
	s_or_b32 s1, s3, s1
	v_cndmask_b32_e64 v24, v26, v27, s1
	v_cndmask_b32_e64 v25, s23, v42, s1
	;; [unrolled: 1-line block ×3, first 2 shown]
	v_add_nc_u32_e32 v28, 1, v24
	v_add_nc_u32_e32 v24, -1, v25
	v_cndmask_b32_e64 v29, v27, v28, s1
	v_min_u32_e32 v24, v28, v24
	v_cndmask_b32_e64 v28, v28, v26, s1
	v_cmp_gt_u32_e64 s2, s15, v29
	v_lshlrev_b32_e32 v24, 3, v24
	v_cmp_le_u32_e64 s4, s23, v28
	ds_read_b64 v[24:25], v24
	s_waitcnt lgkmcnt(0)
	v_cndmask_b32_e64 v54, v24, v49, s1
	v_cndmask_b32_e64 v24, v22, v24, s1
	v_cmp_ge_u32_e64 s3, v54, v24
	s_and_b32 s2, s2, s3
	s_or_b32 s2, s4, s2
	v_cndmask_b32_e64 v26, v28, v29, s2
	v_cndmask_b32_e64 v27, s23, v42, s2
	;; [unrolled: 1-line block ×3, first 2 shown]
	v_add_nc_u32_e32 v30, 1, v26
	v_add_nc_u32_e32 v26, -1, v27
	v_cndmask_b32_e64 v31, v29, v30, s2
	v_min_u32_e32 v26, v30, v26
	v_cndmask_b32_e64 v30, v30, v28, s2
	v_cmp_gt_u32_e64 s3, s15, v31
	v_lshlrev_b32_e32 v26, 3, v26
	v_cmp_le_u32_e64 s5, s23, v30
	ds_read_b64 v[26:27], v26
	s_waitcnt lgkmcnt(0)
	v_cndmask_b32_e64 v55, v26, v54, s2
	v_cndmask_b32_e64 v26, v24, v26, s2
	v_cmp_ge_u32_e64 s4, v55, v26
	s_and_b32 s3, s3, s4
	s_or_b32 s3, s5, s3
	v_cndmask_b32_e64 v28, v30, v31, s3
	v_cndmask_b32_e64 v29, s23, v42, s3
	v_add_nc_u32_e32 v32, 1, v28
	v_add_nc_u32_e32 v28, -1, v29
	v_cndmask_b32_e64 v33, v31, v32, s3
	v_min_u32_e32 v28, v32, v28
	v_cndmask_b32_e64 v32, v32, v30, s3
	v_cmp_gt_u32_e64 s4, s15, v33
	v_lshlrev_b32_e32 v28, 3, v28
	v_cmp_le_u32_e64 s6, s23, v32
	ds_read_b64 v[28:29], v28
	s_waitcnt lgkmcnt(0)
	v_cndmask_b32_e64 v56, v28, v55, s3
	v_cndmask_b32_e64 v28, v26, v28, s3
	v_cmp_ge_u32_e64 s5, v56, v28
	s_and_b32 s4, s4, s5
	s_or_b32 s4, s6, s4
	v_cndmask_b32_e64 v30, v32, v33, s4
	v_cndmask_b32_e64 v31, s23, v42, s4
	;; [unrolled: 17-line block ×4, first 2 shown]
	v_add_nc_u32_e32 v38, 1, v34
	v_add_nc_u32_e32 v34, -1, v35
	v_cndmask_b32_e64 v39, v37, v38, s6
	v_min_u32_e32 v34, v38, v34
	v_cmp_gt_u32_e64 s7, s15, v39
	v_lshlrev_b32_e32 v34, 3, v34
	ds_read_b64 v[34:35], v34
	s_waitcnt lgkmcnt(0)
	v_cndmask_b32_e64 v59, v34, v58, s6
	v_cndmask_b32_e64 v60, v32, v34, s6
	;; [unrolled: 1-line block ×3, first 2 shown]
	v_cmp_ge_u32_e64 s8, v59, v60
	v_cmp_le_u32_e64 s9, s23, v34
	s_and_b32 s7, s7, s8
	s_or_b32 s7, s9, s7
	v_cndmask_b32_e64 v36, v34, v39, s7
	v_cndmask_b32_e64 v37, s23, v42, s7
	v_add_nc_u32_e32 v38, 1, v36
	v_add_nc_u32_e32 v36, -1, v37
	v_cndmask_b32_e64 v40, v39, v38, s7
	v_min_u32_e32 v36, v38, v36
	v_cndmask_b32_e64 v34, v38, v34, s7
	v_cmp_gt_u32_e64 s8, s15, v40
	v_lshlrev_b32_e32 v36, 3, v36
	v_cmp_le_u32_e64 s10, s23, v34
	ds_read_b64 v[36:37], v36
	s_waitcnt lgkmcnt(0)
	v_cndmask_b32_e64 v61, v36, v59, s7
	v_cndmask_b32_e64 v62, v60, v36, s7
	v_cmp_ge_u32_e64 s9, v61, v62
	s_and_b32 s8, s8, s9
	s_or_b32 s8, s10, s8
	v_cndmask_b32_e64 v36, v34, v40, s8
	v_cndmask_b32_e64 v38, s23, v42, s8
	v_add_nc_u32_e32 v36, 1, v36
	v_add_nc_u32_e32 v38, -1, v38
	v_cndmask_b32_e64 v43, v40, v36, s8
	v_min_u32_e32 v38, v36, v38
	v_cndmask_b32_e64 v34, v36, v34, s8
	v_cmp_gt_u32_e64 s9, s15, v43
	v_lshlrev_b32_e32 v38, 3, v38
	v_cmp_le_u32_e64 s11, s23, v34
	ds_read_b64 v[38:39], v38
	s_waitcnt lgkmcnt(0)
	v_cndmask_b32_e64 v63, v38, v61, s8
	v_cndmask_b32_e64 v64, v62, v38, s8
	v_cmp_ge_u32_e64 s10, v63, v64
	s_and_b32 s9, s9, s10
	s_or_b32 s9, s11, s9
	v_cndmask_b32_e64 v36, v34, v43, s9
	v_cndmask_b32_e64 v38, s23, v42, s9
	v_add_nc_u32_e32 v36, 1, v36
	v_add_nc_u32_e32 v38, -1, v38
	v_cndmask_b32_e64 v34, v36, v34, s9
	v_min_u32_e32 v38, v36, v38
	v_cmp_le_u32_e64 s12, s23, v34
	v_lshlrev_b32_e32 v38, 3, v38
	ds_read_b64 v[40:41], v38
	v_cndmask_b32_e64 v38, v43, v36, s9
	v_cmp_gt_u32_e64 s10, s15, v38
	s_waitcnt lgkmcnt(0)
	v_cndmask_b32_e64 v65, v40, v63, s9
	v_cndmask_b32_e64 v66, v64, v40, s9
	v_cmp_ge_u32_e64 s11, v65, v66
	s_and_b32 s10, s10, s11
	s_or_b32 s10, s12, s10
	v_cndmask_b32_e64 v36, v34, v38, s10
	v_cndmask_b32_e64 v40, s23, v42, s10
	v_add_nc_u32_e32 v36, 1, v36
	v_add_nc_u32_e32 v40, -1, v40
	v_cndmask_b32_e64 v38, v38, v36, s10
	v_min_u32_e32 v40, v36, v40
	v_cndmask_b32_e64 v34, v36, v34, s10
	v_cmp_gt_u32_e64 s11, s15, v38
	v_lshlrev_b32_e32 v40, 3, v40
	v_cmp_le_u32_e64 s13, s23, v34
	ds_read_b64 v[43:44], v40
	s_waitcnt lgkmcnt(0)
	v_cndmask_b32_e64 v67, v43, v65, s10
	v_cndmask_b32_e64 v68, v66, v43, s10
	v_cndmask_b32_e32 v43, v21, v17, vcc_lo
	v_cndmask_b32_e32 v21, v19, v21, vcc_lo
	;; [unrolled: 1-line block ×3, first 2 shown]
	v_cmp_ge_u32_e64 s12, v67, v68
	s_and_b32 s11, s11, s12
	s_or_b32 s11, s13, s11
	v_cndmask_b32_e64 v36, v34, v38, s11
	v_cndmask_b32_e64 v40, s23, v42, s11
	v_add_nc_u32_e32 v36, 1, v36
	v_add_nc_u32_e32 v40, -1, v40
	v_cndmask_b32_e64 v38, v38, v36, s11
	v_min_u32_e32 v40, v36, v40
	v_cndmask_b32_e64 v34, v36, v34, s11
	v_cmp_gt_u32_e64 s12, s15, v38
	v_lshlrev_b32_e32 v40, 3, v40
	v_cmp_le_u32_e64 s14, s23, v34
	ds_read_b64 v[45:46], v40
	s_waitcnt lgkmcnt(0)
	v_cndmask_b32_e64 v69, v45, v67, s11
	v_cndmask_b32_e64 v45, v68, v45, s11
	v_cmp_ge_u32_e64 s13, v69, v45
	s_and_b32 s12, s12, s13
	s_or_b32 s12, s14, s12
	v_cndmask_b32_e64 v36, v34, v38, s12
	v_cndmask_b32_e64 v40, s23, v42, s12
	v_add_nc_u32_e32 v36, 1, v36
	v_add_nc_u32_e32 v40, -1, v40
	v_cndmask_b32_e64 v47, v38, v36, s12
	v_min_u32_e32 v40, v36, v40
	v_cmp_gt_u32_e32 vcc_lo, s15, v47
	v_lshlrev_b32_e32 v40, 3, v40
	ds_read_b64 v[52:53], v40
	v_cndmask_b32_e64 v40, v23, v43, s0
	v_cndmask_b32_e64 v23, v21, v23, s0
	;; [unrolled: 1-line block ×11, first 2 shown]
	v_cmp_le_u32_e64 s1, s23, v70
	v_cndmask_b32_e64 v29, v25, v29, s3
	s_waitcnt lgkmcnt(0)
	v_cndmask_b32_e64 v49, v52, v69, s12
	v_cndmask_b32_e64 v52, v45, v52, s12
	;; [unrolled: 1-line block ×6, first 2 shown]
	v_cmp_ge_u32_e64 s0, v49, v52
	v_cndmask_b32_e64 v40, v33, v36, s5
	v_cndmask_b32_e64 v33, v31, v33, s5
	s_and_b32 s0, vcc_lo, s0
	s_or_b32 vcc_lo, s1, s0
	v_cndmask_b32_e64 v43, v33, v35, s6
	v_cndmask_b32_e32 v34, v70, v47, vcc_lo
	v_cndmask_b32_e32 v38, s23, v42, vcc_lo
	v_cndmask_b32_e64 v42, v35, v40, s6
	v_cndmask_b32_e64 v35, v27, v29, s4
	v_add_nc_u32_e32 v71, 1, v34
	v_add_nc_u32_e32 v26, -1, v38
	v_cndmask_b32_e64 v34, v56, v28, s4
	v_cndmask_b32_e64 v27, v37, v42, s7
	v_cndmask_b32_e64 v28, v43, v37, s7
	v_cndmask_b32_e64 v37, v36, v31, s5
	v_min_u32_e32 v26, v71, v26
	v_cndmask_b32_e64 v36, v57, v30, s5
	v_cndmask_b32_e64 v29, v39, v27, s8
	;; [unrolled: 1-line block ×4, first 2 shown]
	v_lshlrev_b32_e32 v26, 3, v26
	v_cndmask_b32_e64 v39, v40, v33, s6
	v_cndmask_b32_e64 v31, v41, v29, s9
	;; [unrolled: 1-line block ×4, first 2 shown]
	ds_read_b64 v[54:55], v26
	v_cndmask_b32_e64 v43, v27, v28, s8
	v_cndmask_b32_e64 v33, v44, v31, s10
	v_cndmask_b32_e64 v44, v32, v44, s10
	v_cndmask_b32_e64 v27, v29, v30, s9
	v_cndmask_b32_e64 v29, v31, v32, s10
	v_cndmask_b32_e64 v32, v69, v45, s12
	v_cndmask_b32_e64 v56, v46, v33, s11
	v_cndmask_b32_e64 v46, v44, v46, s11
	v_cndmask_b32_e64 v31, v33, v44, s11
	v_cndmask_b32_e32 v44, v47, v71, vcc_lo
	v_cndmask_b32_e32 v47, v71, v70, vcc_lo
	v_cndmask_b32_e64 v45, v53, v56, s12
	v_cndmask_b32_e64 v33, v56, v46, s12
	;; [unrolled: 1-line block ×3, first 2 shown]
	v_cmp_gt_u32_e64 s0, s15, v44
	v_cmp_le_u32_e64 s2, s23, v47
	v_cndmask_b32_e32 v44, v49, v52, vcc_lo
	v_cndmask_b32_e64 v40, v59, v60, s7
	v_cndmask_b32_e64 v42, v61, v62, s8
	s_waitcnt lgkmcnt(0)
	v_cndmask_b32_e32 v57, v54, v49, vcc_lo
	v_cndmask_b32_e32 v54, v52, v54, vcc_lo
	;; [unrolled: 1-line block ×5, first 2 shown]
	v_cndmask_b32_e64 v26, v63, v64, s9
	v_cmp_ge_u32_e64 s1, v57, v54
	v_cndmask_b32_e64 v28, v65, v66, s10
	v_cndmask_b32_e64 v30, v67, v68, s11
	s_and_b32 s0, s0, s1
	s_or_b32 vcc_lo, s2, s0
	v_cndmask_b32_e32 v47, v53, v47, vcc_lo
	v_cndmask_b32_e32 v46, v57, v54, vcc_lo
.LBB150_106:
	s_or_b32 exec_lo, exec_lo, s21
	v_and_b32_e32 v49, 0x3f8, v50
	s_mov_b32 s21, 0
	s_sub_i32 s4, s22, s20
	s_lshl_b64 s[2:3], s[20:21], 2
	v_lshl_add_u32 v48, v48, 3, v49
	s_add_u32 s0, s18, s2
	s_addc_u32 s1, s19, s3
	s_barrier
	buffer_gl0_inv
	ds_write2_b64 v48, v[16:17], v[20:21] offset1:1
	ds_write2_b64 v48, v[18:19], v[22:23] offset0:2 offset1:3
	ds_write2_b64 v48, v[24:25], v[34:35] offset0:4 offset1:5
	;; [unrolled: 1-line block ×4, first 2 shown]
	v_lshrrev_b32_e32 v40, 2, v1
	v_lshrrev_b32_e32 v39, 2, v2
	;; [unrolled: 1-line block ×15, first 2 shown]
	s_add_u32 s2, s16, s2
	s_addc_u32 s3, s17, s3
	s_cmpk_gt_u32 s4, 0xfff
	ds_write2_b64 v48, v[26:27], v[28:29] offset0:10 offset1:11
	ds_write2_b64 v48, v[30:31], v[32:33] offset0:12 offset1:13
	;; [unrolled: 1-line block ×3, first 2 shown]
	s_waitcnt lgkmcnt(0)
	s_cbranch_scc0 .LBB150_108
; %bb.107:
	v_lshrrev_b32_e32 v16, 2, v0
	v_and_b32_e32 v17, 0x78, v40
	v_and_b32_e32 v26, 0xf8, v39
	;; [unrolled: 1-line block ×5, first 2 shown]
	v_add_nc_u32_e32 v17, v17, v51
	v_and_b32_e32 v42, 0x1f8, v36
	v_add_nc_u32_e32 v30, v26, v51
	v_and_b32_e32 v43, 0x1f8, v35
	v_add_nc_u32_e32 v16, v16, v51
	v_add_nc_u32_e32 v32, v27, v51
	v_and_b32_e32 v44, 0x1f8, v34
	s_barrier
	buffer_gl0_inv
	ds_read_b64 v[26:27], v16
	ds_read_b64 v[28:29], v17 offset:2048
	ds_read_b64 v[30:31], v30 offset:4096
	;; [unrolled: 1-line block ×3, first 2 shown]
	v_add_nc_u32_e32 v16, v41, v51
	v_and_b32_e32 v52, 0x3f8, v24
	v_add_nc_u32_e32 v17, v42, v51
	v_and_b32_e32 v49, 0x3f8, v25
	v_and_b32_e32 v53, 0x3f8, v23
	v_add_nc_u32_e32 v45, v43, v51
	v_add_nc_u32_e32 v47, v44, v51
	ds_read_b64 v[41:42], v16 offset:8192
	ds_read_b64 v[43:44], v17 offset:10240
	ds_read_b64 v[45:46], v45 offset:12288
	ds_read_b64 v[47:48], v47 offset:14336
	v_add_nc_u32_e32 v17, v52, v51
	v_and_b32_e32 v52, 0x3f8, v22
	v_add_nc_u32_e32 v16, v49, v51
	v_add_nc_u32_e32 v49, v53, v51
	v_and_b32_e32 v53, 0x3f8, v21
	v_and_b32_e32 v54, 0x3f8, v20
	;; [unrolled: 1-line block ×4, first 2 shown]
	v_add_nc_u32_e32 v58, v52, v51
	v_add_nc_u32_e32 v60, v53, v51
	;; [unrolled: 1-line block ×5, first 2 shown]
	ds_read_b64 v[52:53], v16 offset:16384
	ds_read_b64 v[54:55], v17 offset:18432
	;; [unrolled: 1-line block ×8, first 2 shown]
	v_add_co_u32 v49, s5, s0, v50
	v_add_co_ci_u32_e64 v70, null, s1, 0, s5
	v_add_co_u32 v71, s5, s2, v50
	s_waitcnt lgkmcnt(15)
	global_store_dword v50, v26, s[0:1]
	global_store_dword v50, v27, s[2:3]
	s_waitcnt lgkmcnt(14)
	global_store_dword v50, v28, s[0:1] offset:1024
	global_store_dword v50, v29, s[2:3] offset:1024
	v_add_co_u32 v26, vcc_lo, 0x800, v49
	v_add_co_ci_u32_e64 v72, null, s3, 0, s5
	v_add_co_ci_u32_e64 v27, null, 0, v70, vcc_lo
	v_add_co_u32 v28, vcc_lo, v49, 0x1000
	v_add_co_ci_u32_e64 v29, null, 0, v70, vcc_lo
	v_add_co_u32 v66, vcc_lo, v71, 0x1000
	;; [unrolled: 2-line block ×3, first 2 shown]
	v_add_co_ci_u32_e64 v69, null, 0, v72, vcc_lo
	s_waitcnt lgkmcnt(13)
	global_store_dword v[28:29], v30, off offset:-2048
	global_store_dword v[66:67], v31, off offset:-2048
	s_waitcnt lgkmcnt(12)
	global_store_dword v[26:27], v32, off offset:1024
	global_store_dword v[68:69], v33, off offset:1024
	v_add_co_u32 v26, vcc_lo, 0x1000, v49
	v_add_co_ci_u32_e64 v27, null, 0, v70, vcc_lo
	s_waitcnt lgkmcnt(11)
	global_store_dword v[28:29], v41, off
	v_add_co_u32 v28, vcc_lo, 0x1000, v71
	v_add_co_ci_u32_e64 v29, null, 0, v72, vcc_lo
	global_store_dword v[66:67], v42, off
	s_waitcnt lgkmcnt(10)
	global_store_dword v[26:27], v43, off offset:1024
	v_add_co_u32 v26, vcc_lo, 0x1800, v49
	v_add_co_ci_u32_e64 v27, null, 0, v70, vcc_lo
	v_add_co_u32 v30, vcc_lo, v49, 0x2000
	v_add_co_ci_u32_e64 v31, null, 0, v70, vcc_lo
	;; [unrolled: 2-line block ×4, first 2 shown]
	global_store_dword v[28:29], v44, off offset:1024
	s_waitcnt lgkmcnt(9)
	global_store_dword v[30:31], v45, off offset:-2048
	global_store_dword v[32:33], v46, off offset:-2048
	s_waitcnt lgkmcnt(8)
	global_store_dword v[26:27], v47, off offset:1024
	global_store_dword v[41:42], v48, off offset:1024
	v_add_co_u32 v26, vcc_lo, 0x2000, v49
	v_add_co_ci_u32_e64 v27, null, 0, v70, vcc_lo
	v_add_co_u32 v28, vcc_lo, 0x2000, v71
	s_waitcnt lgkmcnt(7)
	global_store_dword v[30:31], v52, off
	v_add_co_ci_u32_e64 v29, null, 0, v72, vcc_lo
	global_store_dword v[32:33], v53, off
	s_waitcnt lgkmcnt(6)
	global_store_dword v[26:27], v54, off offset:1024
	v_add_co_u32 v26, vcc_lo, 0x2800, v49
	v_add_co_ci_u32_e64 v27, null, 0, v70, vcc_lo
	v_add_co_u32 v30, vcc_lo, v49, 0x3000
	v_add_co_ci_u32_e64 v31, null, 0, v70, vcc_lo
	;; [unrolled: 2-line block ×4, first 2 shown]
	global_store_dword v[28:29], v55, off offset:1024
	s_waitcnt lgkmcnt(5)
	global_store_dword v[30:31], v56, off offset:-2048
	global_store_dword v[32:33], v57, off offset:-2048
	s_waitcnt lgkmcnt(4)
	global_store_dword v[26:27], v58, off offset:1024
	global_store_dword v[41:42], v59, off offset:1024
	v_add_co_u32 v26, vcc_lo, 0x3000, v49
	v_add_co_ci_u32_e64 v27, null, 0, v70, vcc_lo
	v_add_co_u32 v28, vcc_lo, 0x3000, v71
	s_waitcnt lgkmcnt(3)
	global_store_dword v[30:31], v60, off
	v_add_co_ci_u32_e64 v29, null, 0, v72, vcc_lo
	v_add_co_u32 v30, vcc_lo, 0x3800, v49
	global_store_dword v[32:33], v61, off
	v_add_co_ci_u32_e64 v31, null, 0, v70, vcc_lo
	v_add_co_u32 v32, vcc_lo, 0x3800, v71
	v_add_co_ci_u32_e64 v33, null, 0, v72, vcc_lo
	s_waitcnt lgkmcnt(2)
	global_store_dword v[26:27], v62, off offset:1024
	global_store_dword v[28:29], v63, off offset:1024
	s_waitcnt lgkmcnt(1)
	global_store_dword v[30:31], v64, off
	s_mov_b32 s21, -1
	global_store_dword v[32:33], v65, off
	s_cbranch_execz .LBB150_109
	s_branch .LBB150_126
.LBB150_108:
                                        ; implicit-def: $vgpr17
.LBB150_109:
	s_waitcnt lgkmcnt(0)
	v_and_b32_e32 v16, 0x78, v40
	v_and_b32_e32 v17, 0xf8, v39
	;; [unrolled: 1-line block ×5, first 2 shown]
	v_add_nc_u32_e32 v16, v16, v51
	v_add_nc_u32_e32 v17, v17, v51
	v_and_b32_e32 v29, 0x1f8, v35
	v_add_nc_u32_e32 v26, v26, v51
	v_and_b32_e32 v30, 0x1f8, v34
	;; [unrolled: 2-line block ×3, first 2 shown]
	s_barrier
	s_waitcnt_vscnt null, 0x0
	buffer_gl0_inv
	ds_read_b64 v[48:49], v16 offset:2048
	ds_read_b64 v[46:47], v17 offset:4096
	;; [unrolled: 1-line block ×4, first 2 shown]
	v_add_nc_u32_e32 v16, v28, v51
	v_and_b32_e32 v24, 0x3f8, v24
	v_add_nc_u32_e32 v17, v29, v51
	v_and_b32_e32 v23, 0x3f8, v23
	v_add_nc_u32_e32 v26, v30, v51
	v_and_b32_e32 v22, 0x3f8, v22
	v_add_nc_u32_e32 v25, v25, v51
	v_and_b32_e32 v21, 0x3f8, v21
	v_and_b32_e32 v20, 0x3f8, v20
	v_and_b32_e32 v19, 0x3f8, v19
	ds_read_b64 v[40:41], v16 offset:10240
	ds_read_b64 v[38:39], v17 offset:12288
	;; [unrolled: 1-line block ×4, first 2 shown]
	v_add_nc_u32_e32 v16, v24, v51
	v_and_b32_e32 v18, 0x3f8, v18
	v_add_nc_u32_e32 v17, v23, v51
	v_add_nc_u32_e32 v22, v22, v51
	;; [unrolled: 1-line block ×6, first 2 shown]
	ds_read_b64 v[34:35], v16 offset:18432
	ds_read_b64 v[30:31], v17 offset:20480
	;; [unrolled: 1-line block ×7, first 2 shown]
	v_add_co_u32 v22, s5, s0, v50
	v_add_co_ci_u32_e64 v23, null, s1, 0, s5
	v_add_co_u32 v20, s5, s2, v50
	v_add_co_ci_u32_e64 v21, null, s3, 0, s5
	s_mov_b32 s5, exec_lo
	v_cmpx_gt_u32_e64 s4, v0
	s_cbranch_execnz .LBB150_129
; %bb.110:
	s_or_b32 exec_lo, exec_lo, s5
	s_mov_b32 s5, exec_lo
	v_cmpx_gt_u32_e64 s4, v1
	s_cbranch_execnz .LBB150_130
.LBB150_111:
	s_or_b32 exec_lo, exec_lo, s5
	s_mov_b32 s5, exec_lo
	v_cmpx_gt_u32_e64 s4, v2
	s_cbranch_execnz .LBB150_131
.LBB150_112:
	s_or_b32 exec_lo, exec_lo, s5
	s_mov_b32 s5, exec_lo
	v_cmpx_gt_u32_e64 s4, v3
	s_cbranch_execnz .LBB150_132
.LBB150_113:
	s_or_b32 exec_lo, exec_lo, s5
	s_mov_b32 s5, exec_lo
	v_cmpx_gt_u32_e64 s4, v4
	s_cbranch_execnz .LBB150_133
.LBB150_114:
	s_or_b32 exec_lo, exec_lo, s5
	s_mov_b32 s5, exec_lo
	v_cmpx_gt_u32_e64 s4, v5
	s_cbranch_execnz .LBB150_134
.LBB150_115:
	s_or_b32 exec_lo, exec_lo, s5
	s_mov_b32 s5, exec_lo
	v_cmpx_gt_u32_e64 s4, v6
	s_cbranch_execnz .LBB150_135
.LBB150_116:
	s_or_b32 exec_lo, exec_lo, s5
	s_mov_b32 s5, exec_lo
	v_cmpx_gt_u32_e64 s4, v7
	s_cbranch_execnz .LBB150_136
.LBB150_117:
	s_or_b32 exec_lo, exec_lo, s5
	s_mov_b32 s5, exec_lo
	v_cmpx_gt_u32_e64 s4, v8
	s_cbranch_execnz .LBB150_137
.LBB150_118:
	s_or_b32 exec_lo, exec_lo, s5
	s_mov_b32 s5, exec_lo
	v_cmpx_gt_u32_e64 s4, v9
	s_cbranch_execnz .LBB150_138
.LBB150_119:
	s_or_b32 exec_lo, exec_lo, s5
	s_mov_b32 s5, exec_lo
	v_cmpx_gt_u32_e64 s4, v10
	s_cbranch_execnz .LBB150_139
.LBB150_120:
	s_or_b32 exec_lo, exec_lo, s5
	s_mov_b32 s5, exec_lo
	v_cmpx_gt_u32_e64 s4, v11
	s_cbranch_execnz .LBB150_140
.LBB150_121:
	s_or_b32 exec_lo, exec_lo, s5
	s_mov_b32 s5, exec_lo
	v_cmpx_gt_u32_e64 s4, v12
	s_cbranch_execnz .LBB150_141
.LBB150_122:
	s_or_b32 exec_lo, exec_lo, s5
	s_mov_b32 s5, exec_lo
	v_cmpx_gt_u32_e64 s4, v13
	s_cbranch_execnz .LBB150_142
.LBB150_123:
	s_or_b32 exec_lo, exec_lo, s5
	s_mov_b32 s5, exec_lo
	v_cmpx_gt_u32_e64 s4, v14
	s_cbranch_execz .LBB150_125
.LBB150_124:
	v_add_co_u32 v0, vcc_lo, 0x3800, v22
	v_add_co_ci_u32_e64 v1, null, 0, v23, vcc_lo
	v_add_co_u32 v2, vcc_lo, 0x3800, v20
	v_add_co_ci_u32_e64 v3, null, 0, v21, vcc_lo
	s_waitcnt lgkmcnt(1)
	global_store_dword v[0:1], v18, off
	global_store_dword v[2:3], v19, off
.LBB150_125:
	s_or_b32 exec_lo, exec_lo, s5
	v_cmp_gt_u32_e64 s21, s4, v15
.LBB150_126:
	s_and_saveexec_b32 s4, s21
	s_cbranch_execnz .LBB150_128
; %bb.127:
	s_endpgm
.LBB150_128:
	v_add_co_u32 v0, s0, s0, v50
	v_add_co_ci_u32_e64 v1, null, s1, 0, s0
	v_add_co_u32 v2, s0, s2, v50
	v_add_co_ci_u32_e64 v3, null, s3, 0, s0
	v_add_co_u32 v0, vcc_lo, 0x3800, v0
	v_add_co_ci_u32_e64 v1, null, 0, v1, vcc_lo
	v_add_co_u32 v2, vcc_lo, 0x3800, v2
	v_add_co_ci_u32_e64 v3, null, 0, v3, vcc_lo
	s_waitcnt lgkmcnt(0)
	global_store_dword v[0:1], v16, off offset:1024
	global_store_dword v[2:3], v17, off offset:1024
	s_endpgm
.LBB150_129:
	v_lshrrev_b32_e32 v51, 2, v0
	v_and_b32_e32 v51, 56, v51
	v_lshl_add_u32 v0, v0, 3, v51
	ds_read_b64 v[51:52], v0
	s_waitcnt lgkmcnt(0)
	global_store_dword v[22:23], v51, off
	global_store_dword v[20:21], v52, off
	s_or_b32 exec_lo, exec_lo, s5
	s_mov_b32 s5, exec_lo
	v_cmpx_gt_u32_e64 s4, v1
	s_cbranch_execz .LBB150_111
.LBB150_130:
	s_waitcnt lgkmcnt(14)
	global_store_dword v[22:23], v48, off offset:1024
	global_store_dword v[20:21], v49, off offset:1024
	s_or_b32 exec_lo, exec_lo, s5
	s_mov_b32 s5, exec_lo
	v_cmpx_gt_u32_e64 s4, v2
	s_cbranch_execz .LBB150_112
.LBB150_131:
	v_add_co_u32 v0, vcc_lo, 0x800, v22
	v_add_co_ci_u32_e64 v1, null, 0, v23, vcc_lo
	s_waitcnt lgkmcnt(14)
	v_add_co_u32 v48, vcc_lo, 0x800, v20
	v_add_co_ci_u32_e64 v49, null, 0, v21, vcc_lo
	s_waitcnt lgkmcnt(13)
	global_store_dword v[0:1], v46, off
	global_store_dword v[48:49], v47, off
	s_or_b32 exec_lo, exec_lo, s5
	s_mov_b32 s5, exec_lo
	v_cmpx_gt_u32_e64 s4, v3
	s_cbranch_execz .LBB150_113
.LBB150_132:
	v_add_co_u32 v0, vcc_lo, 0x800, v22
	v_add_co_ci_u32_e64 v1, null, 0, v23, vcc_lo
	v_add_co_u32 v2, vcc_lo, 0x800, v20
	v_add_co_ci_u32_e64 v3, null, 0, v21, vcc_lo
	s_waitcnt lgkmcnt(12)
	global_store_dword v[0:1], v44, off offset:1024
	global_store_dword v[2:3], v45, off offset:1024
	s_or_b32 exec_lo, exec_lo, s5
	s_mov_b32 s5, exec_lo
	v_cmpx_gt_u32_e64 s4, v4
	s_cbranch_execz .LBB150_114
.LBB150_133:
	v_add_co_u32 v0, vcc_lo, 0x1000, v22
	v_add_co_ci_u32_e64 v1, null, 0, v23, vcc_lo
	v_add_co_u32 v2, vcc_lo, 0x1000, v20
	v_add_co_ci_u32_e64 v3, null, 0, v21, vcc_lo
	s_waitcnt lgkmcnt(11)
	global_store_dword v[0:1], v42, off
	global_store_dword v[2:3], v43, off
	s_or_b32 exec_lo, exec_lo, s5
	s_mov_b32 s5, exec_lo
	v_cmpx_gt_u32_e64 s4, v5
	s_cbranch_execz .LBB150_115
.LBB150_134:
	v_add_co_u32 v0, vcc_lo, 0x1000, v22
	v_add_co_ci_u32_e64 v1, null, 0, v23, vcc_lo
	v_add_co_u32 v2, vcc_lo, 0x1000, v20
	v_add_co_ci_u32_e64 v3, null, 0, v21, vcc_lo
	s_waitcnt lgkmcnt(10)
	global_store_dword v[0:1], v40, off offset:1024
	global_store_dword v[2:3], v41, off offset:1024
	s_or_b32 exec_lo, exec_lo, s5
	s_mov_b32 s5, exec_lo
	v_cmpx_gt_u32_e64 s4, v6
	s_cbranch_execz .LBB150_116
.LBB150_135:
	v_add_co_u32 v0, vcc_lo, 0x1800, v22
	v_add_co_ci_u32_e64 v1, null, 0, v23, vcc_lo
	v_add_co_u32 v2, vcc_lo, 0x1800, v20
	v_add_co_ci_u32_e64 v3, null, 0, v21, vcc_lo
	s_waitcnt lgkmcnt(9)
	global_store_dword v[0:1], v38, off
	global_store_dword v[2:3], v39, off
	s_or_b32 exec_lo, exec_lo, s5
	s_mov_b32 s5, exec_lo
	v_cmpx_gt_u32_e64 s4, v7
	s_cbranch_execz .LBB150_117
.LBB150_136:
	v_add_co_u32 v0, vcc_lo, 0x1800, v22
	v_add_co_ci_u32_e64 v1, null, 0, v23, vcc_lo
	v_add_co_u32 v2, vcc_lo, 0x1800, v20
	v_add_co_ci_u32_e64 v3, null, 0, v21, vcc_lo
	s_waitcnt lgkmcnt(8)
	global_store_dword v[0:1], v36, off offset:1024
	global_store_dword v[2:3], v37, off offset:1024
	s_or_b32 exec_lo, exec_lo, s5
	s_mov_b32 s5, exec_lo
	v_cmpx_gt_u32_e64 s4, v8
	s_cbranch_execz .LBB150_118
.LBB150_137:
	v_add_co_u32 v0, vcc_lo, 0x2000, v22
	v_add_co_ci_u32_e64 v1, null, 0, v23, vcc_lo
	v_add_co_u32 v2, vcc_lo, 0x2000, v20
	v_add_co_ci_u32_e64 v3, null, 0, v21, vcc_lo
	s_waitcnt lgkmcnt(7)
	global_store_dword v[0:1], v32, off
	global_store_dword v[2:3], v33, off
	s_or_b32 exec_lo, exec_lo, s5
	s_mov_b32 s5, exec_lo
	v_cmpx_gt_u32_e64 s4, v9
	s_cbranch_execz .LBB150_119
.LBB150_138:
	v_add_co_u32 v0, vcc_lo, 0x2000, v22
	v_add_co_ci_u32_e64 v1, null, 0, v23, vcc_lo
	v_add_co_u32 v2, vcc_lo, 0x2000, v20
	v_add_co_ci_u32_e64 v3, null, 0, v21, vcc_lo
	s_waitcnt lgkmcnt(6)
	global_store_dword v[0:1], v34, off offset:1024
	global_store_dword v[2:3], v35, off offset:1024
	s_or_b32 exec_lo, exec_lo, s5
	s_mov_b32 s5, exec_lo
	v_cmpx_gt_u32_e64 s4, v10
	s_cbranch_execz .LBB150_120
.LBB150_139:
	v_add_co_u32 v0, vcc_lo, 0x2800, v22
	v_add_co_ci_u32_e64 v1, null, 0, v23, vcc_lo
	v_add_co_u32 v2, vcc_lo, 0x2800, v20
	v_add_co_ci_u32_e64 v3, null, 0, v21, vcc_lo
	s_waitcnt lgkmcnt(5)
	global_store_dword v[0:1], v30, off
	global_store_dword v[2:3], v31, off
	s_or_b32 exec_lo, exec_lo, s5
	s_mov_b32 s5, exec_lo
	v_cmpx_gt_u32_e64 s4, v11
	s_cbranch_execz .LBB150_121
.LBB150_140:
	v_add_co_u32 v0, vcc_lo, 0x2800, v22
	v_add_co_ci_u32_e64 v1, null, 0, v23, vcc_lo
	v_add_co_u32 v2, vcc_lo, 0x2800, v20
	v_add_co_ci_u32_e64 v3, null, 0, v21, vcc_lo
	s_waitcnt lgkmcnt(4)
	global_store_dword v[0:1], v28, off offset:1024
	global_store_dword v[2:3], v29, off offset:1024
	s_or_b32 exec_lo, exec_lo, s5
	s_mov_b32 s5, exec_lo
	v_cmpx_gt_u32_e64 s4, v12
	s_cbranch_execz .LBB150_122
.LBB150_141:
	v_add_co_u32 v0, vcc_lo, 0x3000, v22
	v_add_co_ci_u32_e64 v1, null, 0, v23, vcc_lo
	v_add_co_u32 v2, vcc_lo, 0x3000, v20
	v_add_co_ci_u32_e64 v3, null, 0, v21, vcc_lo
	s_waitcnt lgkmcnt(3)
	global_store_dword v[0:1], v26, off
	global_store_dword v[2:3], v27, off
	s_or_b32 exec_lo, exec_lo, s5
	s_mov_b32 s5, exec_lo
	v_cmpx_gt_u32_e64 s4, v13
	s_cbranch_execz .LBB150_123
.LBB150_142:
	v_add_co_u32 v0, vcc_lo, 0x3000, v22
	v_add_co_ci_u32_e64 v1, null, 0, v23, vcc_lo
	v_add_co_u32 v2, vcc_lo, 0x3000, v20
	v_add_co_ci_u32_e64 v3, null, 0, v21, vcc_lo
	s_waitcnt lgkmcnt(2)
	global_store_dword v[0:1], v24, off offset:1024
	global_store_dword v[2:3], v25, off offset:1024
	s_or_b32 exec_lo, exec_lo, s5
	s_mov_b32 s5, exec_lo
	v_cmpx_gt_u32_e64 s4, v14
	s_cbranch_execnz .LBB150_124
	s_branch .LBB150_125
	.section	.rodata,"a",@progbits
	.p2align	6, 0x0
	.amdhsa_kernel _ZN7rocprim17ROCPRIM_400000_NS6detail17trampoline_kernelINS0_14default_configENS1_21merge_config_selectorINS0_5tupleIJjjEEENS0_10empty_typeEEEZNS1_10merge_implIS3_NS0_12zip_iteratorINS5_IJN6thrust23THRUST_200600_302600_NS6detail15normal_iteratorINSC_10device_ptrIKjEEEESI_EEEEESK_NSA_INS5_IJNSE_INSF_IjEEEESM_EEEEEPS7_SP_SP_NSC_11hip_rocprim7__merge17predicate_wrapperIjjNSC_4lessIjEEEEEE10hipError_tPvRmT0_T1_T2_T3_T4_T5_mmT6_P12ihipStream_tbEUlT_E0_NS1_11comp_targetILNS1_3genE8ELNS1_11target_archE1030ELNS1_3gpuE2ELNS1_3repE0EEENS1_30default_config_static_selectorELNS0_4arch9wavefront6targetE0EEEvS10_
		.amdhsa_group_segment_fixed_size 33792
		.amdhsa_private_segment_fixed_size 0
		.amdhsa_kernarg_size 112
		.amdhsa_user_sgpr_count 6
		.amdhsa_user_sgpr_private_segment_buffer 1
		.amdhsa_user_sgpr_dispatch_ptr 0
		.amdhsa_user_sgpr_queue_ptr 0
		.amdhsa_user_sgpr_kernarg_segment_ptr 1
		.amdhsa_user_sgpr_dispatch_id 0
		.amdhsa_user_sgpr_flat_scratch_init 0
		.amdhsa_user_sgpr_private_segment_size 0
		.amdhsa_wavefront_size32 1
		.amdhsa_uses_dynamic_stack 0
		.amdhsa_system_sgpr_private_segment_wavefront_offset 0
		.amdhsa_system_sgpr_workgroup_id_x 1
		.amdhsa_system_sgpr_workgroup_id_y 0
		.amdhsa_system_sgpr_workgroup_id_z 0
		.amdhsa_system_sgpr_workgroup_info 0
		.amdhsa_system_vgpr_workitem_id 0
		.amdhsa_next_free_vgpr 145
		.amdhsa_next_free_sgpr 28
		.amdhsa_reserve_vcc 1
		.amdhsa_reserve_flat_scratch 0
		.amdhsa_float_round_mode_32 0
		.amdhsa_float_round_mode_16_64 0
		.amdhsa_float_denorm_mode_32 3
		.amdhsa_float_denorm_mode_16_64 3
		.amdhsa_dx10_clamp 1
		.amdhsa_ieee_mode 1
		.amdhsa_fp16_overflow 0
		.amdhsa_workgroup_processor_mode 1
		.amdhsa_memory_ordered 1
		.amdhsa_forward_progress 1
		.amdhsa_shared_vgpr_count 0
		.amdhsa_exception_fp_ieee_invalid_op 0
		.amdhsa_exception_fp_denorm_src 0
		.amdhsa_exception_fp_ieee_div_zero 0
		.amdhsa_exception_fp_ieee_overflow 0
		.amdhsa_exception_fp_ieee_underflow 0
		.amdhsa_exception_fp_ieee_inexact 0
		.amdhsa_exception_int_div_zero 0
	.end_amdhsa_kernel
	.section	.text._ZN7rocprim17ROCPRIM_400000_NS6detail17trampoline_kernelINS0_14default_configENS1_21merge_config_selectorINS0_5tupleIJjjEEENS0_10empty_typeEEEZNS1_10merge_implIS3_NS0_12zip_iteratorINS5_IJN6thrust23THRUST_200600_302600_NS6detail15normal_iteratorINSC_10device_ptrIKjEEEESI_EEEEESK_NSA_INS5_IJNSE_INSF_IjEEEESM_EEEEEPS7_SP_SP_NSC_11hip_rocprim7__merge17predicate_wrapperIjjNSC_4lessIjEEEEEE10hipError_tPvRmT0_T1_T2_T3_T4_T5_mmT6_P12ihipStream_tbEUlT_E0_NS1_11comp_targetILNS1_3genE8ELNS1_11target_archE1030ELNS1_3gpuE2ELNS1_3repE0EEENS1_30default_config_static_selectorELNS0_4arch9wavefront6targetE0EEEvS10_,"axG",@progbits,_ZN7rocprim17ROCPRIM_400000_NS6detail17trampoline_kernelINS0_14default_configENS1_21merge_config_selectorINS0_5tupleIJjjEEENS0_10empty_typeEEEZNS1_10merge_implIS3_NS0_12zip_iteratorINS5_IJN6thrust23THRUST_200600_302600_NS6detail15normal_iteratorINSC_10device_ptrIKjEEEESI_EEEEESK_NSA_INS5_IJNSE_INSF_IjEEEESM_EEEEEPS7_SP_SP_NSC_11hip_rocprim7__merge17predicate_wrapperIjjNSC_4lessIjEEEEEE10hipError_tPvRmT0_T1_T2_T3_T4_T5_mmT6_P12ihipStream_tbEUlT_E0_NS1_11comp_targetILNS1_3genE8ELNS1_11target_archE1030ELNS1_3gpuE2ELNS1_3repE0EEENS1_30default_config_static_selectorELNS0_4arch9wavefront6targetE0EEEvS10_,comdat
.Lfunc_end150:
	.size	_ZN7rocprim17ROCPRIM_400000_NS6detail17trampoline_kernelINS0_14default_configENS1_21merge_config_selectorINS0_5tupleIJjjEEENS0_10empty_typeEEEZNS1_10merge_implIS3_NS0_12zip_iteratorINS5_IJN6thrust23THRUST_200600_302600_NS6detail15normal_iteratorINSC_10device_ptrIKjEEEESI_EEEEESK_NSA_INS5_IJNSE_INSF_IjEEEESM_EEEEEPS7_SP_SP_NSC_11hip_rocprim7__merge17predicate_wrapperIjjNSC_4lessIjEEEEEE10hipError_tPvRmT0_T1_T2_T3_T4_T5_mmT6_P12ihipStream_tbEUlT_E0_NS1_11comp_targetILNS1_3genE8ELNS1_11target_archE1030ELNS1_3gpuE2ELNS1_3repE0EEENS1_30default_config_static_selectorELNS0_4arch9wavefront6targetE0EEEvS10_, .Lfunc_end150-_ZN7rocprim17ROCPRIM_400000_NS6detail17trampoline_kernelINS0_14default_configENS1_21merge_config_selectorINS0_5tupleIJjjEEENS0_10empty_typeEEEZNS1_10merge_implIS3_NS0_12zip_iteratorINS5_IJN6thrust23THRUST_200600_302600_NS6detail15normal_iteratorINSC_10device_ptrIKjEEEESI_EEEEESK_NSA_INS5_IJNSE_INSF_IjEEEESM_EEEEEPS7_SP_SP_NSC_11hip_rocprim7__merge17predicate_wrapperIjjNSC_4lessIjEEEEEE10hipError_tPvRmT0_T1_T2_T3_T4_T5_mmT6_P12ihipStream_tbEUlT_E0_NS1_11comp_targetILNS1_3genE8ELNS1_11target_archE1030ELNS1_3gpuE2ELNS1_3repE0EEENS1_30default_config_static_selectorELNS0_4arch9wavefront6targetE0EEEvS10_
                                        ; -- End function
	.set _ZN7rocprim17ROCPRIM_400000_NS6detail17trampoline_kernelINS0_14default_configENS1_21merge_config_selectorINS0_5tupleIJjjEEENS0_10empty_typeEEEZNS1_10merge_implIS3_NS0_12zip_iteratorINS5_IJN6thrust23THRUST_200600_302600_NS6detail15normal_iteratorINSC_10device_ptrIKjEEEESI_EEEEESK_NSA_INS5_IJNSE_INSF_IjEEEESM_EEEEEPS7_SP_SP_NSC_11hip_rocprim7__merge17predicate_wrapperIjjNSC_4lessIjEEEEEE10hipError_tPvRmT0_T1_T2_T3_T4_T5_mmT6_P12ihipStream_tbEUlT_E0_NS1_11comp_targetILNS1_3genE8ELNS1_11target_archE1030ELNS1_3gpuE2ELNS1_3repE0EEENS1_30default_config_static_selectorELNS0_4arch9wavefront6targetE0EEEvS10_.num_vgpr, 73
	.set _ZN7rocprim17ROCPRIM_400000_NS6detail17trampoline_kernelINS0_14default_configENS1_21merge_config_selectorINS0_5tupleIJjjEEENS0_10empty_typeEEEZNS1_10merge_implIS3_NS0_12zip_iteratorINS5_IJN6thrust23THRUST_200600_302600_NS6detail15normal_iteratorINSC_10device_ptrIKjEEEESI_EEEEESK_NSA_INS5_IJNSE_INSF_IjEEEESM_EEEEEPS7_SP_SP_NSC_11hip_rocprim7__merge17predicate_wrapperIjjNSC_4lessIjEEEEEE10hipError_tPvRmT0_T1_T2_T3_T4_T5_mmT6_P12ihipStream_tbEUlT_E0_NS1_11comp_targetILNS1_3genE8ELNS1_11target_archE1030ELNS1_3gpuE2ELNS1_3repE0EEENS1_30default_config_static_selectorELNS0_4arch9wavefront6targetE0EEEvS10_.num_agpr, 0
	.set _ZN7rocprim17ROCPRIM_400000_NS6detail17trampoline_kernelINS0_14default_configENS1_21merge_config_selectorINS0_5tupleIJjjEEENS0_10empty_typeEEEZNS1_10merge_implIS3_NS0_12zip_iteratorINS5_IJN6thrust23THRUST_200600_302600_NS6detail15normal_iteratorINSC_10device_ptrIKjEEEESI_EEEEESK_NSA_INS5_IJNSE_INSF_IjEEEESM_EEEEEPS7_SP_SP_NSC_11hip_rocprim7__merge17predicate_wrapperIjjNSC_4lessIjEEEEEE10hipError_tPvRmT0_T1_T2_T3_T4_T5_mmT6_P12ihipStream_tbEUlT_E0_NS1_11comp_targetILNS1_3genE8ELNS1_11target_archE1030ELNS1_3gpuE2ELNS1_3repE0EEENS1_30default_config_static_selectorELNS0_4arch9wavefront6targetE0EEEvS10_.numbered_sgpr, 28
	.set _ZN7rocprim17ROCPRIM_400000_NS6detail17trampoline_kernelINS0_14default_configENS1_21merge_config_selectorINS0_5tupleIJjjEEENS0_10empty_typeEEEZNS1_10merge_implIS3_NS0_12zip_iteratorINS5_IJN6thrust23THRUST_200600_302600_NS6detail15normal_iteratorINSC_10device_ptrIKjEEEESI_EEEEESK_NSA_INS5_IJNSE_INSF_IjEEEESM_EEEEEPS7_SP_SP_NSC_11hip_rocprim7__merge17predicate_wrapperIjjNSC_4lessIjEEEEEE10hipError_tPvRmT0_T1_T2_T3_T4_T5_mmT6_P12ihipStream_tbEUlT_E0_NS1_11comp_targetILNS1_3genE8ELNS1_11target_archE1030ELNS1_3gpuE2ELNS1_3repE0EEENS1_30default_config_static_selectorELNS0_4arch9wavefront6targetE0EEEvS10_.num_named_barrier, 0
	.set _ZN7rocprim17ROCPRIM_400000_NS6detail17trampoline_kernelINS0_14default_configENS1_21merge_config_selectorINS0_5tupleIJjjEEENS0_10empty_typeEEEZNS1_10merge_implIS3_NS0_12zip_iteratorINS5_IJN6thrust23THRUST_200600_302600_NS6detail15normal_iteratorINSC_10device_ptrIKjEEEESI_EEEEESK_NSA_INS5_IJNSE_INSF_IjEEEESM_EEEEEPS7_SP_SP_NSC_11hip_rocprim7__merge17predicate_wrapperIjjNSC_4lessIjEEEEEE10hipError_tPvRmT0_T1_T2_T3_T4_T5_mmT6_P12ihipStream_tbEUlT_E0_NS1_11comp_targetILNS1_3genE8ELNS1_11target_archE1030ELNS1_3gpuE2ELNS1_3repE0EEENS1_30default_config_static_selectorELNS0_4arch9wavefront6targetE0EEEvS10_.private_seg_size, 0
	.set _ZN7rocprim17ROCPRIM_400000_NS6detail17trampoline_kernelINS0_14default_configENS1_21merge_config_selectorINS0_5tupleIJjjEEENS0_10empty_typeEEEZNS1_10merge_implIS3_NS0_12zip_iteratorINS5_IJN6thrust23THRUST_200600_302600_NS6detail15normal_iteratorINSC_10device_ptrIKjEEEESI_EEEEESK_NSA_INS5_IJNSE_INSF_IjEEEESM_EEEEEPS7_SP_SP_NSC_11hip_rocprim7__merge17predicate_wrapperIjjNSC_4lessIjEEEEEE10hipError_tPvRmT0_T1_T2_T3_T4_T5_mmT6_P12ihipStream_tbEUlT_E0_NS1_11comp_targetILNS1_3genE8ELNS1_11target_archE1030ELNS1_3gpuE2ELNS1_3repE0EEENS1_30default_config_static_selectorELNS0_4arch9wavefront6targetE0EEEvS10_.uses_vcc, 1
	.set _ZN7rocprim17ROCPRIM_400000_NS6detail17trampoline_kernelINS0_14default_configENS1_21merge_config_selectorINS0_5tupleIJjjEEENS0_10empty_typeEEEZNS1_10merge_implIS3_NS0_12zip_iteratorINS5_IJN6thrust23THRUST_200600_302600_NS6detail15normal_iteratorINSC_10device_ptrIKjEEEESI_EEEEESK_NSA_INS5_IJNSE_INSF_IjEEEESM_EEEEEPS7_SP_SP_NSC_11hip_rocprim7__merge17predicate_wrapperIjjNSC_4lessIjEEEEEE10hipError_tPvRmT0_T1_T2_T3_T4_T5_mmT6_P12ihipStream_tbEUlT_E0_NS1_11comp_targetILNS1_3genE8ELNS1_11target_archE1030ELNS1_3gpuE2ELNS1_3repE0EEENS1_30default_config_static_selectorELNS0_4arch9wavefront6targetE0EEEvS10_.uses_flat_scratch, 0
	.set _ZN7rocprim17ROCPRIM_400000_NS6detail17trampoline_kernelINS0_14default_configENS1_21merge_config_selectorINS0_5tupleIJjjEEENS0_10empty_typeEEEZNS1_10merge_implIS3_NS0_12zip_iteratorINS5_IJN6thrust23THRUST_200600_302600_NS6detail15normal_iteratorINSC_10device_ptrIKjEEEESI_EEEEESK_NSA_INS5_IJNSE_INSF_IjEEEESM_EEEEEPS7_SP_SP_NSC_11hip_rocprim7__merge17predicate_wrapperIjjNSC_4lessIjEEEEEE10hipError_tPvRmT0_T1_T2_T3_T4_T5_mmT6_P12ihipStream_tbEUlT_E0_NS1_11comp_targetILNS1_3genE8ELNS1_11target_archE1030ELNS1_3gpuE2ELNS1_3repE0EEENS1_30default_config_static_selectorELNS0_4arch9wavefront6targetE0EEEvS10_.has_dyn_sized_stack, 0
	.set _ZN7rocprim17ROCPRIM_400000_NS6detail17trampoline_kernelINS0_14default_configENS1_21merge_config_selectorINS0_5tupleIJjjEEENS0_10empty_typeEEEZNS1_10merge_implIS3_NS0_12zip_iteratorINS5_IJN6thrust23THRUST_200600_302600_NS6detail15normal_iteratorINSC_10device_ptrIKjEEEESI_EEEEESK_NSA_INS5_IJNSE_INSF_IjEEEESM_EEEEEPS7_SP_SP_NSC_11hip_rocprim7__merge17predicate_wrapperIjjNSC_4lessIjEEEEEE10hipError_tPvRmT0_T1_T2_T3_T4_T5_mmT6_P12ihipStream_tbEUlT_E0_NS1_11comp_targetILNS1_3genE8ELNS1_11target_archE1030ELNS1_3gpuE2ELNS1_3repE0EEENS1_30default_config_static_selectorELNS0_4arch9wavefront6targetE0EEEvS10_.has_recursion, 0
	.set _ZN7rocprim17ROCPRIM_400000_NS6detail17trampoline_kernelINS0_14default_configENS1_21merge_config_selectorINS0_5tupleIJjjEEENS0_10empty_typeEEEZNS1_10merge_implIS3_NS0_12zip_iteratorINS5_IJN6thrust23THRUST_200600_302600_NS6detail15normal_iteratorINSC_10device_ptrIKjEEEESI_EEEEESK_NSA_INS5_IJNSE_INSF_IjEEEESM_EEEEEPS7_SP_SP_NSC_11hip_rocprim7__merge17predicate_wrapperIjjNSC_4lessIjEEEEEE10hipError_tPvRmT0_T1_T2_T3_T4_T5_mmT6_P12ihipStream_tbEUlT_E0_NS1_11comp_targetILNS1_3genE8ELNS1_11target_archE1030ELNS1_3gpuE2ELNS1_3repE0EEENS1_30default_config_static_selectorELNS0_4arch9wavefront6targetE0EEEvS10_.has_indirect_call, 0
	.section	.AMDGPU.csdata,"",@progbits
; Kernel info:
; codeLenInByte = 8104
; TotalNumSgprs: 30
; NumVgprs: 73
; ScratchSize: 0
; MemoryBound: 0
; FloatMode: 240
; IeeeMode: 1
; LDSByteSize: 33792 bytes/workgroup (compile time only)
; SGPRBlocks: 0
; VGPRBlocks: 18
; NumSGPRsForWavesPerEU: 30
; NumVGPRsForWavesPerEU: 145
; Occupancy: 6
; WaveLimiterHint : 1
; COMPUTE_PGM_RSRC2:SCRATCH_EN: 0
; COMPUTE_PGM_RSRC2:USER_SGPR: 6
; COMPUTE_PGM_RSRC2:TRAP_HANDLER: 0
; COMPUTE_PGM_RSRC2:TGID_X_EN: 1
; COMPUTE_PGM_RSRC2:TGID_Y_EN: 0
; COMPUTE_PGM_RSRC2:TGID_Z_EN: 0
; COMPUTE_PGM_RSRC2:TIDIG_COMP_CNT: 0
	.section	.text._ZN7rocprim17ROCPRIM_400000_NS6detail17trampoline_kernelINS0_14default_configENS1_22reduce_config_selectorIN6thrust23THRUST_200600_302600_NS5tupleIblNS6_9null_typeES8_S8_S8_S8_S8_S8_S8_EEEEZNS1_11reduce_implILb1ES3_NS6_12zip_iteratorINS7_INS6_11hip_rocprim26transform_input_iterator_tIbNSD_35transform_pair_of_input_iterators_tIbNS6_6detail15normal_iteratorINS6_10device_ptrIKjEEEESL_NS6_8equal_toIjEEEENSG_9not_fun_tINSD_8identityEEEEENSD_19counting_iterator_tIlEES8_S8_S8_S8_S8_S8_S8_S8_EEEEPS9_S9_NSD_9__find_if7functorIS9_EEEE10hipError_tPvRmT1_T2_T3_mT4_P12ihipStream_tbEUlT_E0_NS1_11comp_targetILNS1_3genE0ELNS1_11target_archE4294967295ELNS1_3gpuE0ELNS1_3repE0EEENS1_30default_config_static_selectorELNS0_4arch9wavefront6targetE0EEEvS14_,"axG",@progbits,_ZN7rocprim17ROCPRIM_400000_NS6detail17trampoline_kernelINS0_14default_configENS1_22reduce_config_selectorIN6thrust23THRUST_200600_302600_NS5tupleIblNS6_9null_typeES8_S8_S8_S8_S8_S8_S8_EEEEZNS1_11reduce_implILb1ES3_NS6_12zip_iteratorINS7_INS6_11hip_rocprim26transform_input_iterator_tIbNSD_35transform_pair_of_input_iterators_tIbNS6_6detail15normal_iteratorINS6_10device_ptrIKjEEEESL_NS6_8equal_toIjEEEENSG_9not_fun_tINSD_8identityEEEEENSD_19counting_iterator_tIlEES8_S8_S8_S8_S8_S8_S8_S8_EEEEPS9_S9_NSD_9__find_if7functorIS9_EEEE10hipError_tPvRmT1_T2_T3_mT4_P12ihipStream_tbEUlT_E0_NS1_11comp_targetILNS1_3genE0ELNS1_11target_archE4294967295ELNS1_3gpuE0ELNS1_3repE0EEENS1_30default_config_static_selectorELNS0_4arch9wavefront6targetE0EEEvS14_,comdat
	.protected	_ZN7rocprim17ROCPRIM_400000_NS6detail17trampoline_kernelINS0_14default_configENS1_22reduce_config_selectorIN6thrust23THRUST_200600_302600_NS5tupleIblNS6_9null_typeES8_S8_S8_S8_S8_S8_S8_EEEEZNS1_11reduce_implILb1ES3_NS6_12zip_iteratorINS7_INS6_11hip_rocprim26transform_input_iterator_tIbNSD_35transform_pair_of_input_iterators_tIbNS6_6detail15normal_iteratorINS6_10device_ptrIKjEEEESL_NS6_8equal_toIjEEEENSG_9not_fun_tINSD_8identityEEEEENSD_19counting_iterator_tIlEES8_S8_S8_S8_S8_S8_S8_S8_EEEEPS9_S9_NSD_9__find_if7functorIS9_EEEE10hipError_tPvRmT1_T2_T3_mT4_P12ihipStream_tbEUlT_E0_NS1_11comp_targetILNS1_3genE0ELNS1_11target_archE4294967295ELNS1_3gpuE0ELNS1_3repE0EEENS1_30default_config_static_selectorELNS0_4arch9wavefront6targetE0EEEvS14_ ; -- Begin function _ZN7rocprim17ROCPRIM_400000_NS6detail17trampoline_kernelINS0_14default_configENS1_22reduce_config_selectorIN6thrust23THRUST_200600_302600_NS5tupleIblNS6_9null_typeES8_S8_S8_S8_S8_S8_S8_EEEEZNS1_11reduce_implILb1ES3_NS6_12zip_iteratorINS7_INS6_11hip_rocprim26transform_input_iterator_tIbNSD_35transform_pair_of_input_iterators_tIbNS6_6detail15normal_iteratorINS6_10device_ptrIKjEEEESL_NS6_8equal_toIjEEEENSG_9not_fun_tINSD_8identityEEEEENSD_19counting_iterator_tIlEES8_S8_S8_S8_S8_S8_S8_S8_EEEEPS9_S9_NSD_9__find_if7functorIS9_EEEE10hipError_tPvRmT1_T2_T3_mT4_P12ihipStream_tbEUlT_E0_NS1_11comp_targetILNS1_3genE0ELNS1_11target_archE4294967295ELNS1_3gpuE0ELNS1_3repE0EEENS1_30default_config_static_selectorELNS0_4arch9wavefront6targetE0EEEvS14_
	.globl	_ZN7rocprim17ROCPRIM_400000_NS6detail17trampoline_kernelINS0_14default_configENS1_22reduce_config_selectorIN6thrust23THRUST_200600_302600_NS5tupleIblNS6_9null_typeES8_S8_S8_S8_S8_S8_S8_EEEEZNS1_11reduce_implILb1ES3_NS6_12zip_iteratorINS7_INS6_11hip_rocprim26transform_input_iterator_tIbNSD_35transform_pair_of_input_iterators_tIbNS6_6detail15normal_iteratorINS6_10device_ptrIKjEEEESL_NS6_8equal_toIjEEEENSG_9not_fun_tINSD_8identityEEEEENSD_19counting_iterator_tIlEES8_S8_S8_S8_S8_S8_S8_S8_EEEEPS9_S9_NSD_9__find_if7functorIS9_EEEE10hipError_tPvRmT1_T2_T3_mT4_P12ihipStream_tbEUlT_E0_NS1_11comp_targetILNS1_3genE0ELNS1_11target_archE4294967295ELNS1_3gpuE0ELNS1_3repE0EEENS1_30default_config_static_selectorELNS0_4arch9wavefront6targetE0EEEvS14_
	.p2align	8
	.type	_ZN7rocprim17ROCPRIM_400000_NS6detail17trampoline_kernelINS0_14default_configENS1_22reduce_config_selectorIN6thrust23THRUST_200600_302600_NS5tupleIblNS6_9null_typeES8_S8_S8_S8_S8_S8_S8_EEEEZNS1_11reduce_implILb1ES3_NS6_12zip_iteratorINS7_INS6_11hip_rocprim26transform_input_iterator_tIbNSD_35transform_pair_of_input_iterators_tIbNS6_6detail15normal_iteratorINS6_10device_ptrIKjEEEESL_NS6_8equal_toIjEEEENSG_9not_fun_tINSD_8identityEEEEENSD_19counting_iterator_tIlEES8_S8_S8_S8_S8_S8_S8_S8_EEEEPS9_S9_NSD_9__find_if7functorIS9_EEEE10hipError_tPvRmT1_T2_T3_mT4_P12ihipStream_tbEUlT_E0_NS1_11comp_targetILNS1_3genE0ELNS1_11target_archE4294967295ELNS1_3gpuE0ELNS1_3repE0EEENS1_30default_config_static_selectorELNS0_4arch9wavefront6targetE0EEEvS14_,@function
_ZN7rocprim17ROCPRIM_400000_NS6detail17trampoline_kernelINS0_14default_configENS1_22reduce_config_selectorIN6thrust23THRUST_200600_302600_NS5tupleIblNS6_9null_typeES8_S8_S8_S8_S8_S8_S8_EEEEZNS1_11reduce_implILb1ES3_NS6_12zip_iteratorINS7_INS6_11hip_rocprim26transform_input_iterator_tIbNSD_35transform_pair_of_input_iterators_tIbNS6_6detail15normal_iteratorINS6_10device_ptrIKjEEEESL_NS6_8equal_toIjEEEENSG_9not_fun_tINSD_8identityEEEEENSD_19counting_iterator_tIlEES8_S8_S8_S8_S8_S8_S8_S8_EEEEPS9_S9_NSD_9__find_if7functorIS9_EEEE10hipError_tPvRmT1_T2_T3_mT4_P12ihipStream_tbEUlT_E0_NS1_11comp_targetILNS1_3genE0ELNS1_11target_archE4294967295ELNS1_3gpuE0ELNS1_3repE0EEENS1_30default_config_static_selectorELNS0_4arch9wavefront6targetE0EEEvS14_: ; @_ZN7rocprim17ROCPRIM_400000_NS6detail17trampoline_kernelINS0_14default_configENS1_22reduce_config_selectorIN6thrust23THRUST_200600_302600_NS5tupleIblNS6_9null_typeES8_S8_S8_S8_S8_S8_S8_EEEEZNS1_11reduce_implILb1ES3_NS6_12zip_iteratorINS7_INS6_11hip_rocprim26transform_input_iterator_tIbNSD_35transform_pair_of_input_iterators_tIbNS6_6detail15normal_iteratorINS6_10device_ptrIKjEEEESL_NS6_8equal_toIjEEEENSG_9not_fun_tINSD_8identityEEEEENSD_19counting_iterator_tIlEES8_S8_S8_S8_S8_S8_S8_S8_EEEEPS9_S9_NSD_9__find_if7functorIS9_EEEE10hipError_tPvRmT1_T2_T3_mT4_P12ihipStream_tbEUlT_E0_NS1_11comp_targetILNS1_3genE0ELNS1_11target_archE4294967295ELNS1_3gpuE0ELNS1_3repE0EEENS1_30default_config_static_selectorELNS0_4arch9wavefront6targetE0EEEvS14_
; %bb.0:
	.section	.rodata,"a",@progbits
	.p2align	6, 0x0
	.amdhsa_kernel _ZN7rocprim17ROCPRIM_400000_NS6detail17trampoline_kernelINS0_14default_configENS1_22reduce_config_selectorIN6thrust23THRUST_200600_302600_NS5tupleIblNS6_9null_typeES8_S8_S8_S8_S8_S8_S8_EEEEZNS1_11reduce_implILb1ES3_NS6_12zip_iteratorINS7_INS6_11hip_rocprim26transform_input_iterator_tIbNSD_35transform_pair_of_input_iterators_tIbNS6_6detail15normal_iteratorINS6_10device_ptrIKjEEEESL_NS6_8equal_toIjEEEENSG_9not_fun_tINSD_8identityEEEEENSD_19counting_iterator_tIlEES8_S8_S8_S8_S8_S8_S8_S8_EEEEPS9_S9_NSD_9__find_if7functorIS9_EEEE10hipError_tPvRmT1_T2_T3_mT4_P12ihipStream_tbEUlT_E0_NS1_11comp_targetILNS1_3genE0ELNS1_11target_archE4294967295ELNS1_3gpuE0ELNS1_3repE0EEENS1_30default_config_static_selectorELNS0_4arch9wavefront6targetE0EEEvS14_
		.amdhsa_group_segment_fixed_size 0
		.amdhsa_private_segment_fixed_size 0
		.amdhsa_kernarg_size 104
		.amdhsa_user_sgpr_count 6
		.amdhsa_user_sgpr_private_segment_buffer 1
		.amdhsa_user_sgpr_dispatch_ptr 0
		.amdhsa_user_sgpr_queue_ptr 0
		.amdhsa_user_sgpr_kernarg_segment_ptr 1
		.amdhsa_user_sgpr_dispatch_id 0
		.amdhsa_user_sgpr_flat_scratch_init 0
		.amdhsa_user_sgpr_private_segment_size 0
		.amdhsa_wavefront_size32 1
		.amdhsa_uses_dynamic_stack 0
		.amdhsa_system_sgpr_private_segment_wavefront_offset 0
		.amdhsa_system_sgpr_workgroup_id_x 1
		.amdhsa_system_sgpr_workgroup_id_y 0
		.amdhsa_system_sgpr_workgroup_id_z 0
		.amdhsa_system_sgpr_workgroup_info 0
		.amdhsa_system_vgpr_workitem_id 0
		.amdhsa_next_free_vgpr 1
		.amdhsa_next_free_sgpr 1
		.amdhsa_reserve_vcc 0
		.amdhsa_reserve_flat_scratch 0
		.amdhsa_float_round_mode_32 0
		.amdhsa_float_round_mode_16_64 0
		.amdhsa_float_denorm_mode_32 3
		.amdhsa_float_denorm_mode_16_64 3
		.amdhsa_dx10_clamp 1
		.amdhsa_ieee_mode 1
		.amdhsa_fp16_overflow 0
		.amdhsa_workgroup_processor_mode 1
		.amdhsa_memory_ordered 1
		.amdhsa_forward_progress 1
		.amdhsa_shared_vgpr_count 0
		.amdhsa_exception_fp_ieee_invalid_op 0
		.amdhsa_exception_fp_denorm_src 0
		.amdhsa_exception_fp_ieee_div_zero 0
		.amdhsa_exception_fp_ieee_overflow 0
		.amdhsa_exception_fp_ieee_underflow 0
		.amdhsa_exception_fp_ieee_inexact 0
		.amdhsa_exception_int_div_zero 0
	.end_amdhsa_kernel
	.section	.text._ZN7rocprim17ROCPRIM_400000_NS6detail17trampoline_kernelINS0_14default_configENS1_22reduce_config_selectorIN6thrust23THRUST_200600_302600_NS5tupleIblNS6_9null_typeES8_S8_S8_S8_S8_S8_S8_EEEEZNS1_11reduce_implILb1ES3_NS6_12zip_iteratorINS7_INS6_11hip_rocprim26transform_input_iterator_tIbNSD_35transform_pair_of_input_iterators_tIbNS6_6detail15normal_iteratorINS6_10device_ptrIKjEEEESL_NS6_8equal_toIjEEEENSG_9not_fun_tINSD_8identityEEEEENSD_19counting_iterator_tIlEES8_S8_S8_S8_S8_S8_S8_S8_EEEEPS9_S9_NSD_9__find_if7functorIS9_EEEE10hipError_tPvRmT1_T2_T3_mT4_P12ihipStream_tbEUlT_E0_NS1_11comp_targetILNS1_3genE0ELNS1_11target_archE4294967295ELNS1_3gpuE0ELNS1_3repE0EEENS1_30default_config_static_selectorELNS0_4arch9wavefront6targetE0EEEvS14_,"axG",@progbits,_ZN7rocprim17ROCPRIM_400000_NS6detail17trampoline_kernelINS0_14default_configENS1_22reduce_config_selectorIN6thrust23THRUST_200600_302600_NS5tupleIblNS6_9null_typeES8_S8_S8_S8_S8_S8_S8_EEEEZNS1_11reduce_implILb1ES3_NS6_12zip_iteratorINS7_INS6_11hip_rocprim26transform_input_iterator_tIbNSD_35transform_pair_of_input_iterators_tIbNS6_6detail15normal_iteratorINS6_10device_ptrIKjEEEESL_NS6_8equal_toIjEEEENSG_9not_fun_tINSD_8identityEEEEENSD_19counting_iterator_tIlEES8_S8_S8_S8_S8_S8_S8_S8_EEEEPS9_S9_NSD_9__find_if7functorIS9_EEEE10hipError_tPvRmT1_T2_T3_mT4_P12ihipStream_tbEUlT_E0_NS1_11comp_targetILNS1_3genE0ELNS1_11target_archE4294967295ELNS1_3gpuE0ELNS1_3repE0EEENS1_30default_config_static_selectorELNS0_4arch9wavefront6targetE0EEEvS14_,comdat
.Lfunc_end151:
	.size	_ZN7rocprim17ROCPRIM_400000_NS6detail17trampoline_kernelINS0_14default_configENS1_22reduce_config_selectorIN6thrust23THRUST_200600_302600_NS5tupleIblNS6_9null_typeES8_S8_S8_S8_S8_S8_S8_EEEEZNS1_11reduce_implILb1ES3_NS6_12zip_iteratorINS7_INS6_11hip_rocprim26transform_input_iterator_tIbNSD_35transform_pair_of_input_iterators_tIbNS6_6detail15normal_iteratorINS6_10device_ptrIKjEEEESL_NS6_8equal_toIjEEEENSG_9not_fun_tINSD_8identityEEEEENSD_19counting_iterator_tIlEES8_S8_S8_S8_S8_S8_S8_S8_EEEEPS9_S9_NSD_9__find_if7functorIS9_EEEE10hipError_tPvRmT1_T2_T3_mT4_P12ihipStream_tbEUlT_E0_NS1_11comp_targetILNS1_3genE0ELNS1_11target_archE4294967295ELNS1_3gpuE0ELNS1_3repE0EEENS1_30default_config_static_selectorELNS0_4arch9wavefront6targetE0EEEvS14_, .Lfunc_end151-_ZN7rocprim17ROCPRIM_400000_NS6detail17trampoline_kernelINS0_14default_configENS1_22reduce_config_selectorIN6thrust23THRUST_200600_302600_NS5tupleIblNS6_9null_typeES8_S8_S8_S8_S8_S8_S8_EEEEZNS1_11reduce_implILb1ES3_NS6_12zip_iteratorINS7_INS6_11hip_rocprim26transform_input_iterator_tIbNSD_35transform_pair_of_input_iterators_tIbNS6_6detail15normal_iteratorINS6_10device_ptrIKjEEEESL_NS6_8equal_toIjEEEENSG_9not_fun_tINSD_8identityEEEEENSD_19counting_iterator_tIlEES8_S8_S8_S8_S8_S8_S8_S8_EEEEPS9_S9_NSD_9__find_if7functorIS9_EEEE10hipError_tPvRmT1_T2_T3_mT4_P12ihipStream_tbEUlT_E0_NS1_11comp_targetILNS1_3genE0ELNS1_11target_archE4294967295ELNS1_3gpuE0ELNS1_3repE0EEENS1_30default_config_static_selectorELNS0_4arch9wavefront6targetE0EEEvS14_
                                        ; -- End function
	.set _ZN7rocprim17ROCPRIM_400000_NS6detail17trampoline_kernelINS0_14default_configENS1_22reduce_config_selectorIN6thrust23THRUST_200600_302600_NS5tupleIblNS6_9null_typeES8_S8_S8_S8_S8_S8_S8_EEEEZNS1_11reduce_implILb1ES3_NS6_12zip_iteratorINS7_INS6_11hip_rocprim26transform_input_iterator_tIbNSD_35transform_pair_of_input_iterators_tIbNS6_6detail15normal_iteratorINS6_10device_ptrIKjEEEESL_NS6_8equal_toIjEEEENSG_9not_fun_tINSD_8identityEEEEENSD_19counting_iterator_tIlEES8_S8_S8_S8_S8_S8_S8_S8_EEEEPS9_S9_NSD_9__find_if7functorIS9_EEEE10hipError_tPvRmT1_T2_T3_mT4_P12ihipStream_tbEUlT_E0_NS1_11comp_targetILNS1_3genE0ELNS1_11target_archE4294967295ELNS1_3gpuE0ELNS1_3repE0EEENS1_30default_config_static_selectorELNS0_4arch9wavefront6targetE0EEEvS14_.num_vgpr, 0
	.set _ZN7rocprim17ROCPRIM_400000_NS6detail17trampoline_kernelINS0_14default_configENS1_22reduce_config_selectorIN6thrust23THRUST_200600_302600_NS5tupleIblNS6_9null_typeES8_S8_S8_S8_S8_S8_S8_EEEEZNS1_11reduce_implILb1ES3_NS6_12zip_iteratorINS7_INS6_11hip_rocprim26transform_input_iterator_tIbNSD_35transform_pair_of_input_iterators_tIbNS6_6detail15normal_iteratorINS6_10device_ptrIKjEEEESL_NS6_8equal_toIjEEEENSG_9not_fun_tINSD_8identityEEEEENSD_19counting_iterator_tIlEES8_S8_S8_S8_S8_S8_S8_S8_EEEEPS9_S9_NSD_9__find_if7functorIS9_EEEE10hipError_tPvRmT1_T2_T3_mT4_P12ihipStream_tbEUlT_E0_NS1_11comp_targetILNS1_3genE0ELNS1_11target_archE4294967295ELNS1_3gpuE0ELNS1_3repE0EEENS1_30default_config_static_selectorELNS0_4arch9wavefront6targetE0EEEvS14_.num_agpr, 0
	.set _ZN7rocprim17ROCPRIM_400000_NS6detail17trampoline_kernelINS0_14default_configENS1_22reduce_config_selectorIN6thrust23THRUST_200600_302600_NS5tupleIblNS6_9null_typeES8_S8_S8_S8_S8_S8_S8_EEEEZNS1_11reduce_implILb1ES3_NS6_12zip_iteratorINS7_INS6_11hip_rocprim26transform_input_iterator_tIbNSD_35transform_pair_of_input_iterators_tIbNS6_6detail15normal_iteratorINS6_10device_ptrIKjEEEESL_NS6_8equal_toIjEEEENSG_9not_fun_tINSD_8identityEEEEENSD_19counting_iterator_tIlEES8_S8_S8_S8_S8_S8_S8_S8_EEEEPS9_S9_NSD_9__find_if7functorIS9_EEEE10hipError_tPvRmT1_T2_T3_mT4_P12ihipStream_tbEUlT_E0_NS1_11comp_targetILNS1_3genE0ELNS1_11target_archE4294967295ELNS1_3gpuE0ELNS1_3repE0EEENS1_30default_config_static_selectorELNS0_4arch9wavefront6targetE0EEEvS14_.numbered_sgpr, 0
	.set _ZN7rocprim17ROCPRIM_400000_NS6detail17trampoline_kernelINS0_14default_configENS1_22reduce_config_selectorIN6thrust23THRUST_200600_302600_NS5tupleIblNS6_9null_typeES8_S8_S8_S8_S8_S8_S8_EEEEZNS1_11reduce_implILb1ES3_NS6_12zip_iteratorINS7_INS6_11hip_rocprim26transform_input_iterator_tIbNSD_35transform_pair_of_input_iterators_tIbNS6_6detail15normal_iteratorINS6_10device_ptrIKjEEEESL_NS6_8equal_toIjEEEENSG_9not_fun_tINSD_8identityEEEEENSD_19counting_iterator_tIlEES8_S8_S8_S8_S8_S8_S8_S8_EEEEPS9_S9_NSD_9__find_if7functorIS9_EEEE10hipError_tPvRmT1_T2_T3_mT4_P12ihipStream_tbEUlT_E0_NS1_11comp_targetILNS1_3genE0ELNS1_11target_archE4294967295ELNS1_3gpuE0ELNS1_3repE0EEENS1_30default_config_static_selectorELNS0_4arch9wavefront6targetE0EEEvS14_.num_named_barrier, 0
	.set _ZN7rocprim17ROCPRIM_400000_NS6detail17trampoline_kernelINS0_14default_configENS1_22reduce_config_selectorIN6thrust23THRUST_200600_302600_NS5tupleIblNS6_9null_typeES8_S8_S8_S8_S8_S8_S8_EEEEZNS1_11reduce_implILb1ES3_NS6_12zip_iteratorINS7_INS6_11hip_rocprim26transform_input_iterator_tIbNSD_35transform_pair_of_input_iterators_tIbNS6_6detail15normal_iteratorINS6_10device_ptrIKjEEEESL_NS6_8equal_toIjEEEENSG_9not_fun_tINSD_8identityEEEEENSD_19counting_iterator_tIlEES8_S8_S8_S8_S8_S8_S8_S8_EEEEPS9_S9_NSD_9__find_if7functorIS9_EEEE10hipError_tPvRmT1_T2_T3_mT4_P12ihipStream_tbEUlT_E0_NS1_11comp_targetILNS1_3genE0ELNS1_11target_archE4294967295ELNS1_3gpuE0ELNS1_3repE0EEENS1_30default_config_static_selectorELNS0_4arch9wavefront6targetE0EEEvS14_.private_seg_size, 0
	.set _ZN7rocprim17ROCPRIM_400000_NS6detail17trampoline_kernelINS0_14default_configENS1_22reduce_config_selectorIN6thrust23THRUST_200600_302600_NS5tupleIblNS6_9null_typeES8_S8_S8_S8_S8_S8_S8_EEEEZNS1_11reduce_implILb1ES3_NS6_12zip_iteratorINS7_INS6_11hip_rocprim26transform_input_iterator_tIbNSD_35transform_pair_of_input_iterators_tIbNS6_6detail15normal_iteratorINS6_10device_ptrIKjEEEESL_NS6_8equal_toIjEEEENSG_9not_fun_tINSD_8identityEEEEENSD_19counting_iterator_tIlEES8_S8_S8_S8_S8_S8_S8_S8_EEEEPS9_S9_NSD_9__find_if7functorIS9_EEEE10hipError_tPvRmT1_T2_T3_mT4_P12ihipStream_tbEUlT_E0_NS1_11comp_targetILNS1_3genE0ELNS1_11target_archE4294967295ELNS1_3gpuE0ELNS1_3repE0EEENS1_30default_config_static_selectorELNS0_4arch9wavefront6targetE0EEEvS14_.uses_vcc, 0
	.set _ZN7rocprim17ROCPRIM_400000_NS6detail17trampoline_kernelINS0_14default_configENS1_22reduce_config_selectorIN6thrust23THRUST_200600_302600_NS5tupleIblNS6_9null_typeES8_S8_S8_S8_S8_S8_S8_EEEEZNS1_11reduce_implILb1ES3_NS6_12zip_iteratorINS7_INS6_11hip_rocprim26transform_input_iterator_tIbNSD_35transform_pair_of_input_iterators_tIbNS6_6detail15normal_iteratorINS6_10device_ptrIKjEEEESL_NS6_8equal_toIjEEEENSG_9not_fun_tINSD_8identityEEEEENSD_19counting_iterator_tIlEES8_S8_S8_S8_S8_S8_S8_S8_EEEEPS9_S9_NSD_9__find_if7functorIS9_EEEE10hipError_tPvRmT1_T2_T3_mT4_P12ihipStream_tbEUlT_E0_NS1_11comp_targetILNS1_3genE0ELNS1_11target_archE4294967295ELNS1_3gpuE0ELNS1_3repE0EEENS1_30default_config_static_selectorELNS0_4arch9wavefront6targetE0EEEvS14_.uses_flat_scratch, 0
	.set _ZN7rocprim17ROCPRIM_400000_NS6detail17trampoline_kernelINS0_14default_configENS1_22reduce_config_selectorIN6thrust23THRUST_200600_302600_NS5tupleIblNS6_9null_typeES8_S8_S8_S8_S8_S8_S8_EEEEZNS1_11reduce_implILb1ES3_NS6_12zip_iteratorINS7_INS6_11hip_rocprim26transform_input_iterator_tIbNSD_35transform_pair_of_input_iterators_tIbNS6_6detail15normal_iteratorINS6_10device_ptrIKjEEEESL_NS6_8equal_toIjEEEENSG_9not_fun_tINSD_8identityEEEEENSD_19counting_iterator_tIlEES8_S8_S8_S8_S8_S8_S8_S8_EEEEPS9_S9_NSD_9__find_if7functorIS9_EEEE10hipError_tPvRmT1_T2_T3_mT4_P12ihipStream_tbEUlT_E0_NS1_11comp_targetILNS1_3genE0ELNS1_11target_archE4294967295ELNS1_3gpuE0ELNS1_3repE0EEENS1_30default_config_static_selectorELNS0_4arch9wavefront6targetE0EEEvS14_.has_dyn_sized_stack, 0
	.set _ZN7rocprim17ROCPRIM_400000_NS6detail17trampoline_kernelINS0_14default_configENS1_22reduce_config_selectorIN6thrust23THRUST_200600_302600_NS5tupleIblNS6_9null_typeES8_S8_S8_S8_S8_S8_S8_EEEEZNS1_11reduce_implILb1ES3_NS6_12zip_iteratorINS7_INS6_11hip_rocprim26transform_input_iterator_tIbNSD_35transform_pair_of_input_iterators_tIbNS6_6detail15normal_iteratorINS6_10device_ptrIKjEEEESL_NS6_8equal_toIjEEEENSG_9not_fun_tINSD_8identityEEEEENSD_19counting_iterator_tIlEES8_S8_S8_S8_S8_S8_S8_S8_EEEEPS9_S9_NSD_9__find_if7functorIS9_EEEE10hipError_tPvRmT1_T2_T3_mT4_P12ihipStream_tbEUlT_E0_NS1_11comp_targetILNS1_3genE0ELNS1_11target_archE4294967295ELNS1_3gpuE0ELNS1_3repE0EEENS1_30default_config_static_selectorELNS0_4arch9wavefront6targetE0EEEvS14_.has_recursion, 0
	.set _ZN7rocprim17ROCPRIM_400000_NS6detail17trampoline_kernelINS0_14default_configENS1_22reduce_config_selectorIN6thrust23THRUST_200600_302600_NS5tupleIblNS6_9null_typeES8_S8_S8_S8_S8_S8_S8_EEEEZNS1_11reduce_implILb1ES3_NS6_12zip_iteratorINS7_INS6_11hip_rocprim26transform_input_iterator_tIbNSD_35transform_pair_of_input_iterators_tIbNS6_6detail15normal_iteratorINS6_10device_ptrIKjEEEESL_NS6_8equal_toIjEEEENSG_9not_fun_tINSD_8identityEEEEENSD_19counting_iterator_tIlEES8_S8_S8_S8_S8_S8_S8_S8_EEEEPS9_S9_NSD_9__find_if7functorIS9_EEEE10hipError_tPvRmT1_T2_T3_mT4_P12ihipStream_tbEUlT_E0_NS1_11comp_targetILNS1_3genE0ELNS1_11target_archE4294967295ELNS1_3gpuE0ELNS1_3repE0EEENS1_30default_config_static_selectorELNS0_4arch9wavefront6targetE0EEEvS14_.has_indirect_call, 0
	.section	.AMDGPU.csdata,"",@progbits
; Kernel info:
; codeLenInByte = 0
; TotalNumSgprs: 0
; NumVgprs: 0
; ScratchSize: 0
; MemoryBound: 0
; FloatMode: 240
; IeeeMode: 1
; LDSByteSize: 0 bytes/workgroup (compile time only)
; SGPRBlocks: 0
; VGPRBlocks: 0
; NumSGPRsForWavesPerEU: 1
; NumVGPRsForWavesPerEU: 1
; Occupancy: 16
; WaveLimiterHint : 0
; COMPUTE_PGM_RSRC2:SCRATCH_EN: 0
; COMPUTE_PGM_RSRC2:USER_SGPR: 6
; COMPUTE_PGM_RSRC2:TRAP_HANDLER: 0
; COMPUTE_PGM_RSRC2:TGID_X_EN: 1
; COMPUTE_PGM_RSRC2:TGID_Y_EN: 0
; COMPUTE_PGM_RSRC2:TGID_Z_EN: 0
; COMPUTE_PGM_RSRC2:TIDIG_COMP_CNT: 0
	.section	.text._ZN7rocprim17ROCPRIM_400000_NS6detail17trampoline_kernelINS0_14default_configENS1_22reduce_config_selectorIN6thrust23THRUST_200600_302600_NS5tupleIblNS6_9null_typeES8_S8_S8_S8_S8_S8_S8_EEEEZNS1_11reduce_implILb1ES3_NS6_12zip_iteratorINS7_INS6_11hip_rocprim26transform_input_iterator_tIbNSD_35transform_pair_of_input_iterators_tIbNS6_6detail15normal_iteratorINS6_10device_ptrIKjEEEESL_NS6_8equal_toIjEEEENSG_9not_fun_tINSD_8identityEEEEENSD_19counting_iterator_tIlEES8_S8_S8_S8_S8_S8_S8_S8_EEEEPS9_S9_NSD_9__find_if7functorIS9_EEEE10hipError_tPvRmT1_T2_T3_mT4_P12ihipStream_tbEUlT_E0_NS1_11comp_targetILNS1_3genE5ELNS1_11target_archE942ELNS1_3gpuE9ELNS1_3repE0EEENS1_30default_config_static_selectorELNS0_4arch9wavefront6targetE0EEEvS14_,"axG",@progbits,_ZN7rocprim17ROCPRIM_400000_NS6detail17trampoline_kernelINS0_14default_configENS1_22reduce_config_selectorIN6thrust23THRUST_200600_302600_NS5tupleIblNS6_9null_typeES8_S8_S8_S8_S8_S8_S8_EEEEZNS1_11reduce_implILb1ES3_NS6_12zip_iteratorINS7_INS6_11hip_rocprim26transform_input_iterator_tIbNSD_35transform_pair_of_input_iterators_tIbNS6_6detail15normal_iteratorINS6_10device_ptrIKjEEEESL_NS6_8equal_toIjEEEENSG_9not_fun_tINSD_8identityEEEEENSD_19counting_iterator_tIlEES8_S8_S8_S8_S8_S8_S8_S8_EEEEPS9_S9_NSD_9__find_if7functorIS9_EEEE10hipError_tPvRmT1_T2_T3_mT4_P12ihipStream_tbEUlT_E0_NS1_11comp_targetILNS1_3genE5ELNS1_11target_archE942ELNS1_3gpuE9ELNS1_3repE0EEENS1_30default_config_static_selectorELNS0_4arch9wavefront6targetE0EEEvS14_,comdat
	.protected	_ZN7rocprim17ROCPRIM_400000_NS6detail17trampoline_kernelINS0_14default_configENS1_22reduce_config_selectorIN6thrust23THRUST_200600_302600_NS5tupleIblNS6_9null_typeES8_S8_S8_S8_S8_S8_S8_EEEEZNS1_11reduce_implILb1ES3_NS6_12zip_iteratorINS7_INS6_11hip_rocprim26transform_input_iterator_tIbNSD_35transform_pair_of_input_iterators_tIbNS6_6detail15normal_iteratorINS6_10device_ptrIKjEEEESL_NS6_8equal_toIjEEEENSG_9not_fun_tINSD_8identityEEEEENSD_19counting_iterator_tIlEES8_S8_S8_S8_S8_S8_S8_S8_EEEEPS9_S9_NSD_9__find_if7functorIS9_EEEE10hipError_tPvRmT1_T2_T3_mT4_P12ihipStream_tbEUlT_E0_NS1_11comp_targetILNS1_3genE5ELNS1_11target_archE942ELNS1_3gpuE9ELNS1_3repE0EEENS1_30default_config_static_selectorELNS0_4arch9wavefront6targetE0EEEvS14_ ; -- Begin function _ZN7rocprim17ROCPRIM_400000_NS6detail17trampoline_kernelINS0_14default_configENS1_22reduce_config_selectorIN6thrust23THRUST_200600_302600_NS5tupleIblNS6_9null_typeES8_S8_S8_S8_S8_S8_S8_EEEEZNS1_11reduce_implILb1ES3_NS6_12zip_iteratorINS7_INS6_11hip_rocprim26transform_input_iterator_tIbNSD_35transform_pair_of_input_iterators_tIbNS6_6detail15normal_iteratorINS6_10device_ptrIKjEEEESL_NS6_8equal_toIjEEEENSG_9not_fun_tINSD_8identityEEEEENSD_19counting_iterator_tIlEES8_S8_S8_S8_S8_S8_S8_S8_EEEEPS9_S9_NSD_9__find_if7functorIS9_EEEE10hipError_tPvRmT1_T2_T3_mT4_P12ihipStream_tbEUlT_E0_NS1_11comp_targetILNS1_3genE5ELNS1_11target_archE942ELNS1_3gpuE9ELNS1_3repE0EEENS1_30default_config_static_selectorELNS0_4arch9wavefront6targetE0EEEvS14_
	.globl	_ZN7rocprim17ROCPRIM_400000_NS6detail17trampoline_kernelINS0_14default_configENS1_22reduce_config_selectorIN6thrust23THRUST_200600_302600_NS5tupleIblNS6_9null_typeES8_S8_S8_S8_S8_S8_S8_EEEEZNS1_11reduce_implILb1ES3_NS6_12zip_iteratorINS7_INS6_11hip_rocprim26transform_input_iterator_tIbNSD_35transform_pair_of_input_iterators_tIbNS6_6detail15normal_iteratorINS6_10device_ptrIKjEEEESL_NS6_8equal_toIjEEEENSG_9not_fun_tINSD_8identityEEEEENSD_19counting_iterator_tIlEES8_S8_S8_S8_S8_S8_S8_S8_EEEEPS9_S9_NSD_9__find_if7functorIS9_EEEE10hipError_tPvRmT1_T2_T3_mT4_P12ihipStream_tbEUlT_E0_NS1_11comp_targetILNS1_3genE5ELNS1_11target_archE942ELNS1_3gpuE9ELNS1_3repE0EEENS1_30default_config_static_selectorELNS0_4arch9wavefront6targetE0EEEvS14_
	.p2align	8
	.type	_ZN7rocprim17ROCPRIM_400000_NS6detail17trampoline_kernelINS0_14default_configENS1_22reduce_config_selectorIN6thrust23THRUST_200600_302600_NS5tupleIblNS6_9null_typeES8_S8_S8_S8_S8_S8_S8_EEEEZNS1_11reduce_implILb1ES3_NS6_12zip_iteratorINS7_INS6_11hip_rocprim26transform_input_iterator_tIbNSD_35transform_pair_of_input_iterators_tIbNS6_6detail15normal_iteratorINS6_10device_ptrIKjEEEESL_NS6_8equal_toIjEEEENSG_9not_fun_tINSD_8identityEEEEENSD_19counting_iterator_tIlEES8_S8_S8_S8_S8_S8_S8_S8_EEEEPS9_S9_NSD_9__find_if7functorIS9_EEEE10hipError_tPvRmT1_T2_T3_mT4_P12ihipStream_tbEUlT_E0_NS1_11comp_targetILNS1_3genE5ELNS1_11target_archE942ELNS1_3gpuE9ELNS1_3repE0EEENS1_30default_config_static_selectorELNS0_4arch9wavefront6targetE0EEEvS14_,@function
_ZN7rocprim17ROCPRIM_400000_NS6detail17trampoline_kernelINS0_14default_configENS1_22reduce_config_selectorIN6thrust23THRUST_200600_302600_NS5tupleIblNS6_9null_typeES8_S8_S8_S8_S8_S8_S8_EEEEZNS1_11reduce_implILb1ES3_NS6_12zip_iteratorINS7_INS6_11hip_rocprim26transform_input_iterator_tIbNSD_35transform_pair_of_input_iterators_tIbNS6_6detail15normal_iteratorINS6_10device_ptrIKjEEEESL_NS6_8equal_toIjEEEENSG_9not_fun_tINSD_8identityEEEEENSD_19counting_iterator_tIlEES8_S8_S8_S8_S8_S8_S8_S8_EEEEPS9_S9_NSD_9__find_if7functorIS9_EEEE10hipError_tPvRmT1_T2_T3_mT4_P12ihipStream_tbEUlT_E0_NS1_11comp_targetILNS1_3genE5ELNS1_11target_archE942ELNS1_3gpuE9ELNS1_3repE0EEENS1_30default_config_static_selectorELNS0_4arch9wavefront6targetE0EEEvS14_: ; @_ZN7rocprim17ROCPRIM_400000_NS6detail17trampoline_kernelINS0_14default_configENS1_22reduce_config_selectorIN6thrust23THRUST_200600_302600_NS5tupleIblNS6_9null_typeES8_S8_S8_S8_S8_S8_S8_EEEEZNS1_11reduce_implILb1ES3_NS6_12zip_iteratorINS7_INS6_11hip_rocprim26transform_input_iterator_tIbNSD_35transform_pair_of_input_iterators_tIbNS6_6detail15normal_iteratorINS6_10device_ptrIKjEEEESL_NS6_8equal_toIjEEEENSG_9not_fun_tINSD_8identityEEEEENSD_19counting_iterator_tIlEES8_S8_S8_S8_S8_S8_S8_S8_EEEEPS9_S9_NSD_9__find_if7functorIS9_EEEE10hipError_tPvRmT1_T2_T3_mT4_P12ihipStream_tbEUlT_E0_NS1_11comp_targetILNS1_3genE5ELNS1_11target_archE942ELNS1_3gpuE9ELNS1_3repE0EEENS1_30default_config_static_selectorELNS0_4arch9wavefront6targetE0EEEvS14_
; %bb.0:
	.section	.rodata,"a",@progbits
	.p2align	6, 0x0
	.amdhsa_kernel _ZN7rocprim17ROCPRIM_400000_NS6detail17trampoline_kernelINS0_14default_configENS1_22reduce_config_selectorIN6thrust23THRUST_200600_302600_NS5tupleIblNS6_9null_typeES8_S8_S8_S8_S8_S8_S8_EEEEZNS1_11reduce_implILb1ES3_NS6_12zip_iteratorINS7_INS6_11hip_rocprim26transform_input_iterator_tIbNSD_35transform_pair_of_input_iterators_tIbNS6_6detail15normal_iteratorINS6_10device_ptrIKjEEEESL_NS6_8equal_toIjEEEENSG_9not_fun_tINSD_8identityEEEEENSD_19counting_iterator_tIlEES8_S8_S8_S8_S8_S8_S8_S8_EEEEPS9_S9_NSD_9__find_if7functorIS9_EEEE10hipError_tPvRmT1_T2_T3_mT4_P12ihipStream_tbEUlT_E0_NS1_11comp_targetILNS1_3genE5ELNS1_11target_archE942ELNS1_3gpuE9ELNS1_3repE0EEENS1_30default_config_static_selectorELNS0_4arch9wavefront6targetE0EEEvS14_
		.amdhsa_group_segment_fixed_size 0
		.amdhsa_private_segment_fixed_size 0
		.amdhsa_kernarg_size 104
		.amdhsa_user_sgpr_count 6
		.amdhsa_user_sgpr_private_segment_buffer 1
		.amdhsa_user_sgpr_dispatch_ptr 0
		.amdhsa_user_sgpr_queue_ptr 0
		.amdhsa_user_sgpr_kernarg_segment_ptr 1
		.amdhsa_user_sgpr_dispatch_id 0
		.amdhsa_user_sgpr_flat_scratch_init 0
		.amdhsa_user_sgpr_private_segment_size 0
		.amdhsa_wavefront_size32 1
		.amdhsa_uses_dynamic_stack 0
		.amdhsa_system_sgpr_private_segment_wavefront_offset 0
		.amdhsa_system_sgpr_workgroup_id_x 1
		.amdhsa_system_sgpr_workgroup_id_y 0
		.amdhsa_system_sgpr_workgroup_id_z 0
		.amdhsa_system_sgpr_workgroup_info 0
		.amdhsa_system_vgpr_workitem_id 0
		.amdhsa_next_free_vgpr 1
		.amdhsa_next_free_sgpr 1
		.amdhsa_reserve_vcc 0
		.amdhsa_reserve_flat_scratch 0
		.amdhsa_float_round_mode_32 0
		.amdhsa_float_round_mode_16_64 0
		.amdhsa_float_denorm_mode_32 3
		.amdhsa_float_denorm_mode_16_64 3
		.amdhsa_dx10_clamp 1
		.amdhsa_ieee_mode 1
		.amdhsa_fp16_overflow 0
		.amdhsa_workgroup_processor_mode 1
		.amdhsa_memory_ordered 1
		.amdhsa_forward_progress 1
		.amdhsa_shared_vgpr_count 0
		.amdhsa_exception_fp_ieee_invalid_op 0
		.amdhsa_exception_fp_denorm_src 0
		.amdhsa_exception_fp_ieee_div_zero 0
		.amdhsa_exception_fp_ieee_overflow 0
		.amdhsa_exception_fp_ieee_underflow 0
		.amdhsa_exception_fp_ieee_inexact 0
		.amdhsa_exception_int_div_zero 0
	.end_amdhsa_kernel
	.section	.text._ZN7rocprim17ROCPRIM_400000_NS6detail17trampoline_kernelINS0_14default_configENS1_22reduce_config_selectorIN6thrust23THRUST_200600_302600_NS5tupleIblNS6_9null_typeES8_S8_S8_S8_S8_S8_S8_EEEEZNS1_11reduce_implILb1ES3_NS6_12zip_iteratorINS7_INS6_11hip_rocprim26transform_input_iterator_tIbNSD_35transform_pair_of_input_iterators_tIbNS6_6detail15normal_iteratorINS6_10device_ptrIKjEEEESL_NS6_8equal_toIjEEEENSG_9not_fun_tINSD_8identityEEEEENSD_19counting_iterator_tIlEES8_S8_S8_S8_S8_S8_S8_S8_EEEEPS9_S9_NSD_9__find_if7functorIS9_EEEE10hipError_tPvRmT1_T2_T3_mT4_P12ihipStream_tbEUlT_E0_NS1_11comp_targetILNS1_3genE5ELNS1_11target_archE942ELNS1_3gpuE9ELNS1_3repE0EEENS1_30default_config_static_selectorELNS0_4arch9wavefront6targetE0EEEvS14_,"axG",@progbits,_ZN7rocprim17ROCPRIM_400000_NS6detail17trampoline_kernelINS0_14default_configENS1_22reduce_config_selectorIN6thrust23THRUST_200600_302600_NS5tupleIblNS6_9null_typeES8_S8_S8_S8_S8_S8_S8_EEEEZNS1_11reduce_implILb1ES3_NS6_12zip_iteratorINS7_INS6_11hip_rocprim26transform_input_iterator_tIbNSD_35transform_pair_of_input_iterators_tIbNS6_6detail15normal_iteratorINS6_10device_ptrIKjEEEESL_NS6_8equal_toIjEEEENSG_9not_fun_tINSD_8identityEEEEENSD_19counting_iterator_tIlEES8_S8_S8_S8_S8_S8_S8_S8_EEEEPS9_S9_NSD_9__find_if7functorIS9_EEEE10hipError_tPvRmT1_T2_T3_mT4_P12ihipStream_tbEUlT_E0_NS1_11comp_targetILNS1_3genE5ELNS1_11target_archE942ELNS1_3gpuE9ELNS1_3repE0EEENS1_30default_config_static_selectorELNS0_4arch9wavefront6targetE0EEEvS14_,comdat
.Lfunc_end152:
	.size	_ZN7rocprim17ROCPRIM_400000_NS6detail17trampoline_kernelINS0_14default_configENS1_22reduce_config_selectorIN6thrust23THRUST_200600_302600_NS5tupleIblNS6_9null_typeES8_S8_S8_S8_S8_S8_S8_EEEEZNS1_11reduce_implILb1ES3_NS6_12zip_iteratorINS7_INS6_11hip_rocprim26transform_input_iterator_tIbNSD_35transform_pair_of_input_iterators_tIbNS6_6detail15normal_iteratorINS6_10device_ptrIKjEEEESL_NS6_8equal_toIjEEEENSG_9not_fun_tINSD_8identityEEEEENSD_19counting_iterator_tIlEES8_S8_S8_S8_S8_S8_S8_S8_EEEEPS9_S9_NSD_9__find_if7functorIS9_EEEE10hipError_tPvRmT1_T2_T3_mT4_P12ihipStream_tbEUlT_E0_NS1_11comp_targetILNS1_3genE5ELNS1_11target_archE942ELNS1_3gpuE9ELNS1_3repE0EEENS1_30default_config_static_selectorELNS0_4arch9wavefront6targetE0EEEvS14_, .Lfunc_end152-_ZN7rocprim17ROCPRIM_400000_NS6detail17trampoline_kernelINS0_14default_configENS1_22reduce_config_selectorIN6thrust23THRUST_200600_302600_NS5tupleIblNS6_9null_typeES8_S8_S8_S8_S8_S8_S8_EEEEZNS1_11reduce_implILb1ES3_NS6_12zip_iteratorINS7_INS6_11hip_rocprim26transform_input_iterator_tIbNSD_35transform_pair_of_input_iterators_tIbNS6_6detail15normal_iteratorINS6_10device_ptrIKjEEEESL_NS6_8equal_toIjEEEENSG_9not_fun_tINSD_8identityEEEEENSD_19counting_iterator_tIlEES8_S8_S8_S8_S8_S8_S8_S8_EEEEPS9_S9_NSD_9__find_if7functorIS9_EEEE10hipError_tPvRmT1_T2_T3_mT4_P12ihipStream_tbEUlT_E0_NS1_11comp_targetILNS1_3genE5ELNS1_11target_archE942ELNS1_3gpuE9ELNS1_3repE0EEENS1_30default_config_static_selectorELNS0_4arch9wavefront6targetE0EEEvS14_
                                        ; -- End function
	.set _ZN7rocprim17ROCPRIM_400000_NS6detail17trampoline_kernelINS0_14default_configENS1_22reduce_config_selectorIN6thrust23THRUST_200600_302600_NS5tupleIblNS6_9null_typeES8_S8_S8_S8_S8_S8_S8_EEEEZNS1_11reduce_implILb1ES3_NS6_12zip_iteratorINS7_INS6_11hip_rocprim26transform_input_iterator_tIbNSD_35transform_pair_of_input_iterators_tIbNS6_6detail15normal_iteratorINS6_10device_ptrIKjEEEESL_NS6_8equal_toIjEEEENSG_9not_fun_tINSD_8identityEEEEENSD_19counting_iterator_tIlEES8_S8_S8_S8_S8_S8_S8_S8_EEEEPS9_S9_NSD_9__find_if7functorIS9_EEEE10hipError_tPvRmT1_T2_T3_mT4_P12ihipStream_tbEUlT_E0_NS1_11comp_targetILNS1_3genE5ELNS1_11target_archE942ELNS1_3gpuE9ELNS1_3repE0EEENS1_30default_config_static_selectorELNS0_4arch9wavefront6targetE0EEEvS14_.num_vgpr, 0
	.set _ZN7rocprim17ROCPRIM_400000_NS6detail17trampoline_kernelINS0_14default_configENS1_22reduce_config_selectorIN6thrust23THRUST_200600_302600_NS5tupleIblNS6_9null_typeES8_S8_S8_S8_S8_S8_S8_EEEEZNS1_11reduce_implILb1ES3_NS6_12zip_iteratorINS7_INS6_11hip_rocprim26transform_input_iterator_tIbNSD_35transform_pair_of_input_iterators_tIbNS6_6detail15normal_iteratorINS6_10device_ptrIKjEEEESL_NS6_8equal_toIjEEEENSG_9not_fun_tINSD_8identityEEEEENSD_19counting_iterator_tIlEES8_S8_S8_S8_S8_S8_S8_S8_EEEEPS9_S9_NSD_9__find_if7functorIS9_EEEE10hipError_tPvRmT1_T2_T3_mT4_P12ihipStream_tbEUlT_E0_NS1_11comp_targetILNS1_3genE5ELNS1_11target_archE942ELNS1_3gpuE9ELNS1_3repE0EEENS1_30default_config_static_selectorELNS0_4arch9wavefront6targetE0EEEvS14_.num_agpr, 0
	.set _ZN7rocprim17ROCPRIM_400000_NS6detail17trampoline_kernelINS0_14default_configENS1_22reduce_config_selectorIN6thrust23THRUST_200600_302600_NS5tupleIblNS6_9null_typeES8_S8_S8_S8_S8_S8_S8_EEEEZNS1_11reduce_implILb1ES3_NS6_12zip_iteratorINS7_INS6_11hip_rocprim26transform_input_iterator_tIbNSD_35transform_pair_of_input_iterators_tIbNS6_6detail15normal_iteratorINS6_10device_ptrIKjEEEESL_NS6_8equal_toIjEEEENSG_9not_fun_tINSD_8identityEEEEENSD_19counting_iterator_tIlEES8_S8_S8_S8_S8_S8_S8_S8_EEEEPS9_S9_NSD_9__find_if7functorIS9_EEEE10hipError_tPvRmT1_T2_T3_mT4_P12ihipStream_tbEUlT_E0_NS1_11comp_targetILNS1_3genE5ELNS1_11target_archE942ELNS1_3gpuE9ELNS1_3repE0EEENS1_30default_config_static_selectorELNS0_4arch9wavefront6targetE0EEEvS14_.numbered_sgpr, 0
	.set _ZN7rocprim17ROCPRIM_400000_NS6detail17trampoline_kernelINS0_14default_configENS1_22reduce_config_selectorIN6thrust23THRUST_200600_302600_NS5tupleIblNS6_9null_typeES8_S8_S8_S8_S8_S8_S8_EEEEZNS1_11reduce_implILb1ES3_NS6_12zip_iteratorINS7_INS6_11hip_rocprim26transform_input_iterator_tIbNSD_35transform_pair_of_input_iterators_tIbNS6_6detail15normal_iteratorINS6_10device_ptrIKjEEEESL_NS6_8equal_toIjEEEENSG_9not_fun_tINSD_8identityEEEEENSD_19counting_iterator_tIlEES8_S8_S8_S8_S8_S8_S8_S8_EEEEPS9_S9_NSD_9__find_if7functorIS9_EEEE10hipError_tPvRmT1_T2_T3_mT4_P12ihipStream_tbEUlT_E0_NS1_11comp_targetILNS1_3genE5ELNS1_11target_archE942ELNS1_3gpuE9ELNS1_3repE0EEENS1_30default_config_static_selectorELNS0_4arch9wavefront6targetE0EEEvS14_.num_named_barrier, 0
	.set _ZN7rocprim17ROCPRIM_400000_NS6detail17trampoline_kernelINS0_14default_configENS1_22reduce_config_selectorIN6thrust23THRUST_200600_302600_NS5tupleIblNS6_9null_typeES8_S8_S8_S8_S8_S8_S8_EEEEZNS1_11reduce_implILb1ES3_NS6_12zip_iteratorINS7_INS6_11hip_rocprim26transform_input_iterator_tIbNSD_35transform_pair_of_input_iterators_tIbNS6_6detail15normal_iteratorINS6_10device_ptrIKjEEEESL_NS6_8equal_toIjEEEENSG_9not_fun_tINSD_8identityEEEEENSD_19counting_iterator_tIlEES8_S8_S8_S8_S8_S8_S8_S8_EEEEPS9_S9_NSD_9__find_if7functorIS9_EEEE10hipError_tPvRmT1_T2_T3_mT4_P12ihipStream_tbEUlT_E0_NS1_11comp_targetILNS1_3genE5ELNS1_11target_archE942ELNS1_3gpuE9ELNS1_3repE0EEENS1_30default_config_static_selectorELNS0_4arch9wavefront6targetE0EEEvS14_.private_seg_size, 0
	.set _ZN7rocprim17ROCPRIM_400000_NS6detail17trampoline_kernelINS0_14default_configENS1_22reduce_config_selectorIN6thrust23THRUST_200600_302600_NS5tupleIblNS6_9null_typeES8_S8_S8_S8_S8_S8_S8_EEEEZNS1_11reduce_implILb1ES3_NS6_12zip_iteratorINS7_INS6_11hip_rocprim26transform_input_iterator_tIbNSD_35transform_pair_of_input_iterators_tIbNS6_6detail15normal_iteratorINS6_10device_ptrIKjEEEESL_NS6_8equal_toIjEEEENSG_9not_fun_tINSD_8identityEEEEENSD_19counting_iterator_tIlEES8_S8_S8_S8_S8_S8_S8_S8_EEEEPS9_S9_NSD_9__find_if7functorIS9_EEEE10hipError_tPvRmT1_T2_T3_mT4_P12ihipStream_tbEUlT_E0_NS1_11comp_targetILNS1_3genE5ELNS1_11target_archE942ELNS1_3gpuE9ELNS1_3repE0EEENS1_30default_config_static_selectorELNS0_4arch9wavefront6targetE0EEEvS14_.uses_vcc, 0
	.set _ZN7rocprim17ROCPRIM_400000_NS6detail17trampoline_kernelINS0_14default_configENS1_22reduce_config_selectorIN6thrust23THRUST_200600_302600_NS5tupleIblNS6_9null_typeES8_S8_S8_S8_S8_S8_S8_EEEEZNS1_11reduce_implILb1ES3_NS6_12zip_iteratorINS7_INS6_11hip_rocprim26transform_input_iterator_tIbNSD_35transform_pair_of_input_iterators_tIbNS6_6detail15normal_iteratorINS6_10device_ptrIKjEEEESL_NS6_8equal_toIjEEEENSG_9not_fun_tINSD_8identityEEEEENSD_19counting_iterator_tIlEES8_S8_S8_S8_S8_S8_S8_S8_EEEEPS9_S9_NSD_9__find_if7functorIS9_EEEE10hipError_tPvRmT1_T2_T3_mT4_P12ihipStream_tbEUlT_E0_NS1_11comp_targetILNS1_3genE5ELNS1_11target_archE942ELNS1_3gpuE9ELNS1_3repE0EEENS1_30default_config_static_selectorELNS0_4arch9wavefront6targetE0EEEvS14_.uses_flat_scratch, 0
	.set _ZN7rocprim17ROCPRIM_400000_NS6detail17trampoline_kernelINS0_14default_configENS1_22reduce_config_selectorIN6thrust23THRUST_200600_302600_NS5tupleIblNS6_9null_typeES8_S8_S8_S8_S8_S8_S8_EEEEZNS1_11reduce_implILb1ES3_NS6_12zip_iteratorINS7_INS6_11hip_rocprim26transform_input_iterator_tIbNSD_35transform_pair_of_input_iterators_tIbNS6_6detail15normal_iteratorINS6_10device_ptrIKjEEEESL_NS6_8equal_toIjEEEENSG_9not_fun_tINSD_8identityEEEEENSD_19counting_iterator_tIlEES8_S8_S8_S8_S8_S8_S8_S8_EEEEPS9_S9_NSD_9__find_if7functorIS9_EEEE10hipError_tPvRmT1_T2_T3_mT4_P12ihipStream_tbEUlT_E0_NS1_11comp_targetILNS1_3genE5ELNS1_11target_archE942ELNS1_3gpuE9ELNS1_3repE0EEENS1_30default_config_static_selectorELNS0_4arch9wavefront6targetE0EEEvS14_.has_dyn_sized_stack, 0
	.set _ZN7rocprim17ROCPRIM_400000_NS6detail17trampoline_kernelINS0_14default_configENS1_22reduce_config_selectorIN6thrust23THRUST_200600_302600_NS5tupleIblNS6_9null_typeES8_S8_S8_S8_S8_S8_S8_EEEEZNS1_11reduce_implILb1ES3_NS6_12zip_iteratorINS7_INS6_11hip_rocprim26transform_input_iterator_tIbNSD_35transform_pair_of_input_iterators_tIbNS6_6detail15normal_iteratorINS6_10device_ptrIKjEEEESL_NS6_8equal_toIjEEEENSG_9not_fun_tINSD_8identityEEEEENSD_19counting_iterator_tIlEES8_S8_S8_S8_S8_S8_S8_S8_EEEEPS9_S9_NSD_9__find_if7functorIS9_EEEE10hipError_tPvRmT1_T2_T3_mT4_P12ihipStream_tbEUlT_E0_NS1_11comp_targetILNS1_3genE5ELNS1_11target_archE942ELNS1_3gpuE9ELNS1_3repE0EEENS1_30default_config_static_selectorELNS0_4arch9wavefront6targetE0EEEvS14_.has_recursion, 0
	.set _ZN7rocprim17ROCPRIM_400000_NS6detail17trampoline_kernelINS0_14default_configENS1_22reduce_config_selectorIN6thrust23THRUST_200600_302600_NS5tupleIblNS6_9null_typeES8_S8_S8_S8_S8_S8_S8_EEEEZNS1_11reduce_implILb1ES3_NS6_12zip_iteratorINS7_INS6_11hip_rocprim26transform_input_iterator_tIbNSD_35transform_pair_of_input_iterators_tIbNS6_6detail15normal_iteratorINS6_10device_ptrIKjEEEESL_NS6_8equal_toIjEEEENSG_9not_fun_tINSD_8identityEEEEENSD_19counting_iterator_tIlEES8_S8_S8_S8_S8_S8_S8_S8_EEEEPS9_S9_NSD_9__find_if7functorIS9_EEEE10hipError_tPvRmT1_T2_T3_mT4_P12ihipStream_tbEUlT_E0_NS1_11comp_targetILNS1_3genE5ELNS1_11target_archE942ELNS1_3gpuE9ELNS1_3repE0EEENS1_30default_config_static_selectorELNS0_4arch9wavefront6targetE0EEEvS14_.has_indirect_call, 0
	.section	.AMDGPU.csdata,"",@progbits
; Kernel info:
; codeLenInByte = 0
; TotalNumSgprs: 0
; NumVgprs: 0
; ScratchSize: 0
; MemoryBound: 0
; FloatMode: 240
; IeeeMode: 1
; LDSByteSize: 0 bytes/workgroup (compile time only)
; SGPRBlocks: 0
; VGPRBlocks: 0
; NumSGPRsForWavesPerEU: 1
; NumVGPRsForWavesPerEU: 1
; Occupancy: 16
; WaveLimiterHint : 0
; COMPUTE_PGM_RSRC2:SCRATCH_EN: 0
; COMPUTE_PGM_RSRC2:USER_SGPR: 6
; COMPUTE_PGM_RSRC2:TRAP_HANDLER: 0
; COMPUTE_PGM_RSRC2:TGID_X_EN: 1
; COMPUTE_PGM_RSRC2:TGID_Y_EN: 0
; COMPUTE_PGM_RSRC2:TGID_Z_EN: 0
; COMPUTE_PGM_RSRC2:TIDIG_COMP_CNT: 0
	.section	.text._ZN7rocprim17ROCPRIM_400000_NS6detail17trampoline_kernelINS0_14default_configENS1_22reduce_config_selectorIN6thrust23THRUST_200600_302600_NS5tupleIblNS6_9null_typeES8_S8_S8_S8_S8_S8_S8_EEEEZNS1_11reduce_implILb1ES3_NS6_12zip_iteratorINS7_INS6_11hip_rocprim26transform_input_iterator_tIbNSD_35transform_pair_of_input_iterators_tIbNS6_6detail15normal_iteratorINS6_10device_ptrIKjEEEESL_NS6_8equal_toIjEEEENSG_9not_fun_tINSD_8identityEEEEENSD_19counting_iterator_tIlEES8_S8_S8_S8_S8_S8_S8_S8_EEEEPS9_S9_NSD_9__find_if7functorIS9_EEEE10hipError_tPvRmT1_T2_T3_mT4_P12ihipStream_tbEUlT_E0_NS1_11comp_targetILNS1_3genE4ELNS1_11target_archE910ELNS1_3gpuE8ELNS1_3repE0EEENS1_30default_config_static_selectorELNS0_4arch9wavefront6targetE0EEEvS14_,"axG",@progbits,_ZN7rocprim17ROCPRIM_400000_NS6detail17trampoline_kernelINS0_14default_configENS1_22reduce_config_selectorIN6thrust23THRUST_200600_302600_NS5tupleIblNS6_9null_typeES8_S8_S8_S8_S8_S8_S8_EEEEZNS1_11reduce_implILb1ES3_NS6_12zip_iteratorINS7_INS6_11hip_rocprim26transform_input_iterator_tIbNSD_35transform_pair_of_input_iterators_tIbNS6_6detail15normal_iteratorINS6_10device_ptrIKjEEEESL_NS6_8equal_toIjEEEENSG_9not_fun_tINSD_8identityEEEEENSD_19counting_iterator_tIlEES8_S8_S8_S8_S8_S8_S8_S8_EEEEPS9_S9_NSD_9__find_if7functorIS9_EEEE10hipError_tPvRmT1_T2_T3_mT4_P12ihipStream_tbEUlT_E0_NS1_11comp_targetILNS1_3genE4ELNS1_11target_archE910ELNS1_3gpuE8ELNS1_3repE0EEENS1_30default_config_static_selectorELNS0_4arch9wavefront6targetE0EEEvS14_,comdat
	.protected	_ZN7rocprim17ROCPRIM_400000_NS6detail17trampoline_kernelINS0_14default_configENS1_22reduce_config_selectorIN6thrust23THRUST_200600_302600_NS5tupleIblNS6_9null_typeES8_S8_S8_S8_S8_S8_S8_EEEEZNS1_11reduce_implILb1ES3_NS6_12zip_iteratorINS7_INS6_11hip_rocprim26transform_input_iterator_tIbNSD_35transform_pair_of_input_iterators_tIbNS6_6detail15normal_iteratorINS6_10device_ptrIKjEEEESL_NS6_8equal_toIjEEEENSG_9not_fun_tINSD_8identityEEEEENSD_19counting_iterator_tIlEES8_S8_S8_S8_S8_S8_S8_S8_EEEEPS9_S9_NSD_9__find_if7functorIS9_EEEE10hipError_tPvRmT1_T2_T3_mT4_P12ihipStream_tbEUlT_E0_NS1_11comp_targetILNS1_3genE4ELNS1_11target_archE910ELNS1_3gpuE8ELNS1_3repE0EEENS1_30default_config_static_selectorELNS0_4arch9wavefront6targetE0EEEvS14_ ; -- Begin function _ZN7rocprim17ROCPRIM_400000_NS6detail17trampoline_kernelINS0_14default_configENS1_22reduce_config_selectorIN6thrust23THRUST_200600_302600_NS5tupleIblNS6_9null_typeES8_S8_S8_S8_S8_S8_S8_EEEEZNS1_11reduce_implILb1ES3_NS6_12zip_iteratorINS7_INS6_11hip_rocprim26transform_input_iterator_tIbNSD_35transform_pair_of_input_iterators_tIbNS6_6detail15normal_iteratorINS6_10device_ptrIKjEEEESL_NS6_8equal_toIjEEEENSG_9not_fun_tINSD_8identityEEEEENSD_19counting_iterator_tIlEES8_S8_S8_S8_S8_S8_S8_S8_EEEEPS9_S9_NSD_9__find_if7functorIS9_EEEE10hipError_tPvRmT1_T2_T3_mT4_P12ihipStream_tbEUlT_E0_NS1_11comp_targetILNS1_3genE4ELNS1_11target_archE910ELNS1_3gpuE8ELNS1_3repE0EEENS1_30default_config_static_selectorELNS0_4arch9wavefront6targetE0EEEvS14_
	.globl	_ZN7rocprim17ROCPRIM_400000_NS6detail17trampoline_kernelINS0_14default_configENS1_22reduce_config_selectorIN6thrust23THRUST_200600_302600_NS5tupleIblNS6_9null_typeES8_S8_S8_S8_S8_S8_S8_EEEEZNS1_11reduce_implILb1ES3_NS6_12zip_iteratorINS7_INS6_11hip_rocprim26transform_input_iterator_tIbNSD_35transform_pair_of_input_iterators_tIbNS6_6detail15normal_iteratorINS6_10device_ptrIKjEEEESL_NS6_8equal_toIjEEEENSG_9not_fun_tINSD_8identityEEEEENSD_19counting_iterator_tIlEES8_S8_S8_S8_S8_S8_S8_S8_EEEEPS9_S9_NSD_9__find_if7functorIS9_EEEE10hipError_tPvRmT1_T2_T3_mT4_P12ihipStream_tbEUlT_E0_NS1_11comp_targetILNS1_3genE4ELNS1_11target_archE910ELNS1_3gpuE8ELNS1_3repE0EEENS1_30default_config_static_selectorELNS0_4arch9wavefront6targetE0EEEvS14_
	.p2align	8
	.type	_ZN7rocprim17ROCPRIM_400000_NS6detail17trampoline_kernelINS0_14default_configENS1_22reduce_config_selectorIN6thrust23THRUST_200600_302600_NS5tupleIblNS6_9null_typeES8_S8_S8_S8_S8_S8_S8_EEEEZNS1_11reduce_implILb1ES3_NS6_12zip_iteratorINS7_INS6_11hip_rocprim26transform_input_iterator_tIbNSD_35transform_pair_of_input_iterators_tIbNS6_6detail15normal_iteratorINS6_10device_ptrIKjEEEESL_NS6_8equal_toIjEEEENSG_9not_fun_tINSD_8identityEEEEENSD_19counting_iterator_tIlEES8_S8_S8_S8_S8_S8_S8_S8_EEEEPS9_S9_NSD_9__find_if7functorIS9_EEEE10hipError_tPvRmT1_T2_T3_mT4_P12ihipStream_tbEUlT_E0_NS1_11comp_targetILNS1_3genE4ELNS1_11target_archE910ELNS1_3gpuE8ELNS1_3repE0EEENS1_30default_config_static_selectorELNS0_4arch9wavefront6targetE0EEEvS14_,@function
_ZN7rocprim17ROCPRIM_400000_NS6detail17trampoline_kernelINS0_14default_configENS1_22reduce_config_selectorIN6thrust23THRUST_200600_302600_NS5tupleIblNS6_9null_typeES8_S8_S8_S8_S8_S8_S8_EEEEZNS1_11reduce_implILb1ES3_NS6_12zip_iteratorINS7_INS6_11hip_rocprim26transform_input_iterator_tIbNSD_35transform_pair_of_input_iterators_tIbNS6_6detail15normal_iteratorINS6_10device_ptrIKjEEEESL_NS6_8equal_toIjEEEENSG_9not_fun_tINSD_8identityEEEEENSD_19counting_iterator_tIlEES8_S8_S8_S8_S8_S8_S8_S8_EEEEPS9_S9_NSD_9__find_if7functorIS9_EEEE10hipError_tPvRmT1_T2_T3_mT4_P12ihipStream_tbEUlT_E0_NS1_11comp_targetILNS1_3genE4ELNS1_11target_archE910ELNS1_3gpuE8ELNS1_3repE0EEENS1_30default_config_static_selectorELNS0_4arch9wavefront6targetE0EEEvS14_: ; @_ZN7rocprim17ROCPRIM_400000_NS6detail17trampoline_kernelINS0_14default_configENS1_22reduce_config_selectorIN6thrust23THRUST_200600_302600_NS5tupleIblNS6_9null_typeES8_S8_S8_S8_S8_S8_S8_EEEEZNS1_11reduce_implILb1ES3_NS6_12zip_iteratorINS7_INS6_11hip_rocprim26transform_input_iterator_tIbNSD_35transform_pair_of_input_iterators_tIbNS6_6detail15normal_iteratorINS6_10device_ptrIKjEEEESL_NS6_8equal_toIjEEEENSG_9not_fun_tINSD_8identityEEEEENSD_19counting_iterator_tIlEES8_S8_S8_S8_S8_S8_S8_S8_EEEEPS9_S9_NSD_9__find_if7functorIS9_EEEE10hipError_tPvRmT1_T2_T3_mT4_P12ihipStream_tbEUlT_E0_NS1_11comp_targetILNS1_3genE4ELNS1_11target_archE910ELNS1_3gpuE8ELNS1_3repE0EEENS1_30default_config_static_selectorELNS0_4arch9wavefront6targetE0EEEvS14_
; %bb.0:
	.section	.rodata,"a",@progbits
	.p2align	6, 0x0
	.amdhsa_kernel _ZN7rocprim17ROCPRIM_400000_NS6detail17trampoline_kernelINS0_14default_configENS1_22reduce_config_selectorIN6thrust23THRUST_200600_302600_NS5tupleIblNS6_9null_typeES8_S8_S8_S8_S8_S8_S8_EEEEZNS1_11reduce_implILb1ES3_NS6_12zip_iteratorINS7_INS6_11hip_rocprim26transform_input_iterator_tIbNSD_35transform_pair_of_input_iterators_tIbNS6_6detail15normal_iteratorINS6_10device_ptrIKjEEEESL_NS6_8equal_toIjEEEENSG_9not_fun_tINSD_8identityEEEEENSD_19counting_iterator_tIlEES8_S8_S8_S8_S8_S8_S8_S8_EEEEPS9_S9_NSD_9__find_if7functorIS9_EEEE10hipError_tPvRmT1_T2_T3_mT4_P12ihipStream_tbEUlT_E0_NS1_11comp_targetILNS1_3genE4ELNS1_11target_archE910ELNS1_3gpuE8ELNS1_3repE0EEENS1_30default_config_static_selectorELNS0_4arch9wavefront6targetE0EEEvS14_
		.amdhsa_group_segment_fixed_size 0
		.amdhsa_private_segment_fixed_size 0
		.amdhsa_kernarg_size 104
		.amdhsa_user_sgpr_count 6
		.amdhsa_user_sgpr_private_segment_buffer 1
		.amdhsa_user_sgpr_dispatch_ptr 0
		.amdhsa_user_sgpr_queue_ptr 0
		.amdhsa_user_sgpr_kernarg_segment_ptr 1
		.amdhsa_user_sgpr_dispatch_id 0
		.amdhsa_user_sgpr_flat_scratch_init 0
		.amdhsa_user_sgpr_private_segment_size 0
		.amdhsa_wavefront_size32 1
		.amdhsa_uses_dynamic_stack 0
		.amdhsa_system_sgpr_private_segment_wavefront_offset 0
		.amdhsa_system_sgpr_workgroup_id_x 1
		.amdhsa_system_sgpr_workgroup_id_y 0
		.amdhsa_system_sgpr_workgroup_id_z 0
		.amdhsa_system_sgpr_workgroup_info 0
		.amdhsa_system_vgpr_workitem_id 0
		.amdhsa_next_free_vgpr 1
		.amdhsa_next_free_sgpr 1
		.amdhsa_reserve_vcc 0
		.amdhsa_reserve_flat_scratch 0
		.amdhsa_float_round_mode_32 0
		.amdhsa_float_round_mode_16_64 0
		.amdhsa_float_denorm_mode_32 3
		.amdhsa_float_denorm_mode_16_64 3
		.amdhsa_dx10_clamp 1
		.amdhsa_ieee_mode 1
		.amdhsa_fp16_overflow 0
		.amdhsa_workgroup_processor_mode 1
		.amdhsa_memory_ordered 1
		.amdhsa_forward_progress 1
		.amdhsa_shared_vgpr_count 0
		.amdhsa_exception_fp_ieee_invalid_op 0
		.amdhsa_exception_fp_denorm_src 0
		.amdhsa_exception_fp_ieee_div_zero 0
		.amdhsa_exception_fp_ieee_overflow 0
		.amdhsa_exception_fp_ieee_underflow 0
		.amdhsa_exception_fp_ieee_inexact 0
		.amdhsa_exception_int_div_zero 0
	.end_amdhsa_kernel
	.section	.text._ZN7rocprim17ROCPRIM_400000_NS6detail17trampoline_kernelINS0_14default_configENS1_22reduce_config_selectorIN6thrust23THRUST_200600_302600_NS5tupleIblNS6_9null_typeES8_S8_S8_S8_S8_S8_S8_EEEEZNS1_11reduce_implILb1ES3_NS6_12zip_iteratorINS7_INS6_11hip_rocprim26transform_input_iterator_tIbNSD_35transform_pair_of_input_iterators_tIbNS6_6detail15normal_iteratorINS6_10device_ptrIKjEEEESL_NS6_8equal_toIjEEEENSG_9not_fun_tINSD_8identityEEEEENSD_19counting_iterator_tIlEES8_S8_S8_S8_S8_S8_S8_S8_EEEEPS9_S9_NSD_9__find_if7functorIS9_EEEE10hipError_tPvRmT1_T2_T3_mT4_P12ihipStream_tbEUlT_E0_NS1_11comp_targetILNS1_3genE4ELNS1_11target_archE910ELNS1_3gpuE8ELNS1_3repE0EEENS1_30default_config_static_selectorELNS0_4arch9wavefront6targetE0EEEvS14_,"axG",@progbits,_ZN7rocprim17ROCPRIM_400000_NS6detail17trampoline_kernelINS0_14default_configENS1_22reduce_config_selectorIN6thrust23THRUST_200600_302600_NS5tupleIblNS6_9null_typeES8_S8_S8_S8_S8_S8_S8_EEEEZNS1_11reduce_implILb1ES3_NS6_12zip_iteratorINS7_INS6_11hip_rocprim26transform_input_iterator_tIbNSD_35transform_pair_of_input_iterators_tIbNS6_6detail15normal_iteratorINS6_10device_ptrIKjEEEESL_NS6_8equal_toIjEEEENSG_9not_fun_tINSD_8identityEEEEENSD_19counting_iterator_tIlEES8_S8_S8_S8_S8_S8_S8_S8_EEEEPS9_S9_NSD_9__find_if7functorIS9_EEEE10hipError_tPvRmT1_T2_T3_mT4_P12ihipStream_tbEUlT_E0_NS1_11comp_targetILNS1_3genE4ELNS1_11target_archE910ELNS1_3gpuE8ELNS1_3repE0EEENS1_30default_config_static_selectorELNS0_4arch9wavefront6targetE0EEEvS14_,comdat
.Lfunc_end153:
	.size	_ZN7rocprim17ROCPRIM_400000_NS6detail17trampoline_kernelINS0_14default_configENS1_22reduce_config_selectorIN6thrust23THRUST_200600_302600_NS5tupleIblNS6_9null_typeES8_S8_S8_S8_S8_S8_S8_EEEEZNS1_11reduce_implILb1ES3_NS6_12zip_iteratorINS7_INS6_11hip_rocprim26transform_input_iterator_tIbNSD_35transform_pair_of_input_iterators_tIbNS6_6detail15normal_iteratorINS6_10device_ptrIKjEEEESL_NS6_8equal_toIjEEEENSG_9not_fun_tINSD_8identityEEEEENSD_19counting_iterator_tIlEES8_S8_S8_S8_S8_S8_S8_S8_EEEEPS9_S9_NSD_9__find_if7functorIS9_EEEE10hipError_tPvRmT1_T2_T3_mT4_P12ihipStream_tbEUlT_E0_NS1_11comp_targetILNS1_3genE4ELNS1_11target_archE910ELNS1_3gpuE8ELNS1_3repE0EEENS1_30default_config_static_selectorELNS0_4arch9wavefront6targetE0EEEvS14_, .Lfunc_end153-_ZN7rocprim17ROCPRIM_400000_NS6detail17trampoline_kernelINS0_14default_configENS1_22reduce_config_selectorIN6thrust23THRUST_200600_302600_NS5tupleIblNS6_9null_typeES8_S8_S8_S8_S8_S8_S8_EEEEZNS1_11reduce_implILb1ES3_NS6_12zip_iteratorINS7_INS6_11hip_rocprim26transform_input_iterator_tIbNSD_35transform_pair_of_input_iterators_tIbNS6_6detail15normal_iteratorINS6_10device_ptrIKjEEEESL_NS6_8equal_toIjEEEENSG_9not_fun_tINSD_8identityEEEEENSD_19counting_iterator_tIlEES8_S8_S8_S8_S8_S8_S8_S8_EEEEPS9_S9_NSD_9__find_if7functorIS9_EEEE10hipError_tPvRmT1_T2_T3_mT4_P12ihipStream_tbEUlT_E0_NS1_11comp_targetILNS1_3genE4ELNS1_11target_archE910ELNS1_3gpuE8ELNS1_3repE0EEENS1_30default_config_static_selectorELNS0_4arch9wavefront6targetE0EEEvS14_
                                        ; -- End function
	.set _ZN7rocprim17ROCPRIM_400000_NS6detail17trampoline_kernelINS0_14default_configENS1_22reduce_config_selectorIN6thrust23THRUST_200600_302600_NS5tupleIblNS6_9null_typeES8_S8_S8_S8_S8_S8_S8_EEEEZNS1_11reduce_implILb1ES3_NS6_12zip_iteratorINS7_INS6_11hip_rocprim26transform_input_iterator_tIbNSD_35transform_pair_of_input_iterators_tIbNS6_6detail15normal_iteratorINS6_10device_ptrIKjEEEESL_NS6_8equal_toIjEEEENSG_9not_fun_tINSD_8identityEEEEENSD_19counting_iterator_tIlEES8_S8_S8_S8_S8_S8_S8_S8_EEEEPS9_S9_NSD_9__find_if7functorIS9_EEEE10hipError_tPvRmT1_T2_T3_mT4_P12ihipStream_tbEUlT_E0_NS1_11comp_targetILNS1_3genE4ELNS1_11target_archE910ELNS1_3gpuE8ELNS1_3repE0EEENS1_30default_config_static_selectorELNS0_4arch9wavefront6targetE0EEEvS14_.num_vgpr, 0
	.set _ZN7rocprim17ROCPRIM_400000_NS6detail17trampoline_kernelINS0_14default_configENS1_22reduce_config_selectorIN6thrust23THRUST_200600_302600_NS5tupleIblNS6_9null_typeES8_S8_S8_S8_S8_S8_S8_EEEEZNS1_11reduce_implILb1ES3_NS6_12zip_iteratorINS7_INS6_11hip_rocprim26transform_input_iterator_tIbNSD_35transform_pair_of_input_iterators_tIbNS6_6detail15normal_iteratorINS6_10device_ptrIKjEEEESL_NS6_8equal_toIjEEEENSG_9not_fun_tINSD_8identityEEEEENSD_19counting_iterator_tIlEES8_S8_S8_S8_S8_S8_S8_S8_EEEEPS9_S9_NSD_9__find_if7functorIS9_EEEE10hipError_tPvRmT1_T2_T3_mT4_P12ihipStream_tbEUlT_E0_NS1_11comp_targetILNS1_3genE4ELNS1_11target_archE910ELNS1_3gpuE8ELNS1_3repE0EEENS1_30default_config_static_selectorELNS0_4arch9wavefront6targetE0EEEvS14_.num_agpr, 0
	.set _ZN7rocprim17ROCPRIM_400000_NS6detail17trampoline_kernelINS0_14default_configENS1_22reduce_config_selectorIN6thrust23THRUST_200600_302600_NS5tupleIblNS6_9null_typeES8_S8_S8_S8_S8_S8_S8_EEEEZNS1_11reduce_implILb1ES3_NS6_12zip_iteratorINS7_INS6_11hip_rocprim26transform_input_iterator_tIbNSD_35transform_pair_of_input_iterators_tIbNS6_6detail15normal_iteratorINS6_10device_ptrIKjEEEESL_NS6_8equal_toIjEEEENSG_9not_fun_tINSD_8identityEEEEENSD_19counting_iterator_tIlEES8_S8_S8_S8_S8_S8_S8_S8_EEEEPS9_S9_NSD_9__find_if7functorIS9_EEEE10hipError_tPvRmT1_T2_T3_mT4_P12ihipStream_tbEUlT_E0_NS1_11comp_targetILNS1_3genE4ELNS1_11target_archE910ELNS1_3gpuE8ELNS1_3repE0EEENS1_30default_config_static_selectorELNS0_4arch9wavefront6targetE0EEEvS14_.numbered_sgpr, 0
	.set _ZN7rocprim17ROCPRIM_400000_NS6detail17trampoline_kernelINS0_14default_configENS1_22reduce_config_selectorIN6thrust23THRUST_200600_302600_NS5tupleIblNS6_9null_typeES8_S8_S8_S8_S8_S8_S8_EEEEZNS1_11reduce_implILb1ES3_NS6_12zip_iteratorINS7_INS6_11hip_rocprim26transform_input_iterator_tIbNSD_35transform_pair_of_input_iterators_tIbNS6_6detail15normal_iteratorINS6_10device_ptrIKjEEEESL_NS6_8equal_toIjEEEENSG_9not_fun_tINSD_8identityEEEEENSD_19counting_iterator_tIlEES8_S8_S8_S8_S8_S8_S8_S8_EEEEPS9_S9_NSD_9__find_if7functorIS9_EEEE10hipError_tPvRmT1_T2_T3_mT4_P12ihipStream_tbEUlT_E0_NS1_11comp_targetILNS1_3genE4ELNS1_11target_archE910ELNS1_3gpuE8ELNS1_3repE0EEENS1_30default_config_static_selectorELNS0_4arch9wavefront6targetE0EEEvS14_.num_named_barrier, 0
	.set _ZN7rocprim17ROCPRIM_400000_NS6detail17trampoline_kernelINS0_14default_configENS1_22reduce_config_selectorIN6thrust23THRUST_200600_302600_NS5tupleIblNS6_9null_typeES8_S8_S8_S8_S8_S8_S8_EEEEZNS1_11reduce_implILb1ES3_NS6_12zip_iteratorINS7_INS6_11hip_rocprim26transform_input_iterator_tIbNSD_35transform_pair_of_input_iterators_tIbNS6_6detail15normal_iteratorINS6_10device_ptrIKjEEEESL_NS6_8equal_toIjEEEENSG_9not_fun_tINSD_8identityEEEEENSD_19counting_iterator_tIlEES8_S8_S8_S8_S8_S8_S8_S8_EEEEPS9_S9_NSD_9__find_if7functorIS9_EEEE10hipError_tPvRmT1_T2_T3_mT4_P12ihipStream_tbEUlT_E0_NS1_11comp_targetILNS1_3genE4ELNS1_11target_archE910ELNS1_3gpuE8ELNS1_3repE0EEENS1_30default_config_static_selectorELNS0_4arch9wavefront6targetE0EEEvS14_.private_seg_size, 0
	.set _ZN7rocprim17ROCPRIM_400000_NS6detail17trampoline_kernelINS0_14default_configENS1_22reduce_config_selectorIN6thrust23THRUST_200600_302600_NS5tupleIblNS6_9null_typeES8_S8_S8_S8_S8_S8_S8_EEEEZNS1_11reduce_implILb1ES3_NS6_12zip_iteratorINS7_INS6_11hip_rocprim26transform_input_iterator_tIbNSD_35transform_pair_of_input_iterators_tIbNS6_6detail15normal_iteratorINS6_10device_ptrIKjEEEESL_NS6_8equal_toIjEEEENSG_9not_fun_tINSD_8identityEEEEENSD_19counting_iterator_tIlEES8_S8_S8_S8_S8_S8_S8_S8_EEEEPS9_S9_NSD_9__find_if7functorIS9_EEEE10hipError_tPvRmT1_T2_T3_mT4_P12ihipStream_tbEUlT_E0_NS1_11comp_targetILNS1_3genE4ELNS1_11target_archE910ELNS1_3gpuE8ELNS1_3repE0EEENS1_30default_config_static_selectorELNS0_4arch9wavefront6targetE0EEEvS14_.uses_vcc, 0
	.set _ZN7rocprim17ROCPRIM_400000_NS6detail17trampoline_kernelINS0_14default_configENS1_22reduce_config_selectorIN6thrust23THRUST_200600_302600_NS5tupleIblNS6_9null_typeES8_S8_S8_S8_S8_S8_S8_EEEEZNS1_11reduce_implILb1ES3_NS6_12zip_iteratorINS7_INS6_11hip_rocprim26transform_input_iterator_tIbNSD_35transform_pair_of_input_iterators_tIbNS6_6detail15normal_iteratorINS6_10device_ptrIKjEEEESL_NS6_8equal_toIjEEEENSG_9not_fun_tINSD_8identityEEEEENSD_19counting_iterator_tIlEES8_S8_S8_S8_S8_S8_S8_S8_EEEEPS9_S9_NSD_9__find_if7functorIS9_EEEE10hipError_tPvRmT1_T2_T3_mT4_P12ihipStream_tbEUlT_E0_NS1_11comp_targetILNS1_3genE4ELNS1_11target_archE910ELNS1_3gpuE8ELNS1_3repE0EEENS1_30default_config_static_selectorELNS0_4arch9wavefront6targetE0EEEvS14_.uses_flat_scratch, 0
	.set _ZN7rocprim17ROCPRIM_400000_NS6detail17trampoline_kernelINS0_14default_configENS1_22reduce_config_selectorIN6thrust23THRUST_200600_302600_NS5tupleIblNS6_9null_typeES8_S8_S8_S8_S8_S8_S8_EEEEZNS1_11reduce_implILb1ES3_NS6_12zip_iteratorINS7_INS6_11hip_rocprim26transform_input_iterator_tIbNSD_35transform_pair_of_input_iterators_tIbNS6_6detail15normal_iteratorINS6_10device_ptrIKjEEEESL_NS6_8equal_toIjEEEENSG_9not_fun_tINSD_8identityEEEEENSD_19counting_iterator_tIlEES8_S8_S8_S8_S8_S8_S8_S8_EEEEPS9_S9_NSD_9__find_if7functorIS9_EEEE10hipError_tPvRmT1_T2_T3_mT4_P12ihipStream_tbEUlT_E0_NS1_11comp_targetILNS1_3genE4ELNS1_11target_archE910ELNS1_3gpuE8ELNS1_3repE0EEENS1_30default_config_static_selectorELNS0_4arch9wavefront6targetE0EEEvS14_.has_dyn_sized_stack, 0
	.set _ZN7rocprim17ROCPRIM_400000_NS6detail17trampoline_kernelINS0_14default_configENS1_22reduce_config_selectorIN6thrust23THRUST_200600_302600_NS5tupleIblNS6_9null_typeES8_S8_S8_S8_S8_S8_S8_EEEEZNS1_11reduce_implILb1ES3_NS6_12zip_iteratorINS7_INS6_11hip_rocprim26transform_input_iterator_tIbNSD_35transform_pair_of_input_iterators_tIbNS6_6detail15normal_iteratorINS6_10device_ptrIKjEEEESL_NS6_8equal_toIjEEEENSG_9not_fun_tINSD_8identityEEEEENSD_19counting_iterator_tIlEES8_S8_S8_S8_S8_S8_S8_S8_EEEEPS9_S9_NSD_9__find_if7functorIS9_EEEE10hipError_tPvRmT1_T2_T3_mT4_P12ihipStream_tbEUlT_E0_NS1_11comp_targetILNS1_3genE4ELNS1_11target_archE910ELNS1_3gpuE8ELNS1_3repE0EEENS1_30default_config_static_selectorELNS0_4arch9wavefront6targetE0EEEvS14_.has_recursion, 0
	.set _ZN7rocprim17ROCPRIM_400000_NS6detail17trampoline_kernelINS0_14default_configENS1_22reduce_config_selectorIN6thrust23THRUST_200600_302600_NS5tupleIblNS6_9null_typeES8_S8_S8_S8_S8_S8_S8_EEEEZNS1_11reduce_implILb1ES3_NS6_12zip_iteratorINS7_INS6_11hip_rocprim26transform_input_iterator_tIbNSD_35transform_pair_of_input_iterators_tIbNS6_6detail15normal_iteratorINS6_10device_ptrIKjEEEESL_NS6_8equal_toIjEEEENSG_9not_fun_tINSD_8identityEEEEENSD_19counting_iterator_tIlEES8_S8_S8_S8_S8_S8_S8_S8_EEEEPS9_S9_NSD_9__find_if7functorIS9_EEEE10hipError_tPvRmT1_T2_T3_mT4_P12ihipStream_tbEUlT_E0_NS1_11comp_targetILNS1_3genE4ELNS1_11target_archE910ELNS1_3gpuE8ELNS1_3repE0EEENS1_30default_config_static_selectorELNS0_4arch9wavefront6targetE0EEEvS14_.has_indirect_call, 0
	.section	.AMDGPU.csdata,"",@progbits
; Kernel info:
; codeLenInByte = 0
; TotalNumSgprs: 0
; NumVgprs: 0
; ScratchSize: 0
; MemoryBound: 0
; FloatMode: 240
; IeeeMode: 1
; LDSByteSize: 0 bytes/workgroup (compile time only)
; SGPRBlocks: 0
; VGPRBlocks: 0
; NumSGPRsForWavesPerEU: 1
; NumVGPRsForWavesPerEU: 1
; Occupancy: 16
; WaveLimiterHint : 0
; COMPUTE_PGM_RSRC2:SCRATCH_EN: 0
; COMPUTE_PGM_RSRC2:USER_SGPR: 6
; COMPUTE_PGM_RSRC2:TRAP_HANDLER: 0
; COMPUTE_PGM_RSRC2:TGID_X_EN: 1
; COMPUTE_PGM_RSRC2:TGID_Y_EN: 0
; COMPUTE_PGM_RSRC2:TGID_Z_EN: 0
; COMPUTE_PGM_RSRC2:TIDIG_COMP_CNT: 0
	.section	.text._ZN7rocprim17ROCPRIM_400000_NS6detail17trampoline_kernelINS0_14default_configENS1_22reduce_config_selectorIN6thrust23THRUST_200600_302600_NS5tupleIblNS6_9null_typeES8_S8_S8_S8_S8_S8_S8_EEEEZNS1_11reduce_implILb1ES3_NS6_12zip_iteratorINS7_INS6_11hip_rocprim26transform_input_iterator_tIbNSD_35transform_pair_of_input_iterators_tIbNS6_6detail15normal_iteratorINS6_10device_ptrIKjEEEESL_NS6_8equal_toIjEEEENSG_9not_fun_tINSD_8identityEEEEENSD_19counting_iterator_tIlEES8_S8_S8_S8_S8_S8_S8_S8_EEEEPS9_S9_NSD_9__find_if7functorIS9_EEEE10hipError_tPvRmT1_T2_T3_mT4_P12ihipStream_tbEUlT_E0_NS1_11comp_targetILNS1_3genE3ELNS1_11target_archE908ELNS1_3gpuE7ELNS1_3repE0EEENS1_30default_config_static_selectorELNS0_4arch9wavefront6targetE0EEEvS14_,"axG",@progbits,_ZN7rocprim17ROCPRIM_400000_NS6detail17trampoline_kernelINS0_14default_configENS1_22reduce_config_selectorIN6thrust23THRUST_200600_302600_NS5tupleIblNS6_9null_typeES8_S8_S8_S8_S8_S8_S8_EEEEZNS1_11reduce_implILb1ES3_NS6_12zip_iteratorINS7_INS6_11hip_rocprim26transform_input_iterator_tIbNSD_35transform_pair_of_input_iterators_tIbNS6_6detail15normal_iteratorINS6_10device_ptrIKjEEEESL_NS6_8equal_toIjEEEENSG_9not_fun_tINSD_8identityEEEEENSD_19counting_iterator_tIlEES8_S8_S8_S8_S8_S8_S8_S8_EEEEPS9_S9_NSD_9__find_if7functorIS9_EEEE10hipError_tPvRmT1_T2_T3_mT4_P12ihipStream_tbEUlT_E0_NS1_11comp_targetILNS1_3genE3ELNS1_11target_archE908ELNS1_3gpuE7ELNS1_3repE0EEENS1_30default_config_static_selectorELNS0_4arch9wavefront6targetE0EEEvS14_,comdat
	.protected	_ZN7rocprim17ROCPRIM_400000_NS6detail17trampoline_kernelINS0_14default_configENS1_22reduce_config_selectorIN6thrust23THRUST_200600_302600_NS5tupleIblNS6_9null_typeES8_S8_S8_S8_S8_S8_S8_EEEEZNS1_11reduce_implILb1ES3_NS6_12zip_iteratorINS7_INS6_11hip_rocprim26transform_input_iterator_tIbNSD_35transform_pair_of_input_iterators_tIbNS6_6detail15normal_iteratorINS6_10device_ptrIKjEEEESL_NS6_8equal_toIjEEEENSG_9not_fun_tINSD_8identityEEEEENSD_19counting_iterator_tIlEES8_S8_S8_S8_S8_S8_S8_S8_EEEEPS9_S9_NSD_9__find_if7functorIS9_EEEE10hipError_tPvRmT1_T2_T3_mT4_P12ihipStream_tbEUlT_E0_NS1_11comp_targetILNS1_3genE3ELNS1_11target_archE908ELNS1_3gpuE7ELNS1_3repE0EEENS1_30default_config_static_selectorELNS0_4arch9wavefront6targetE0EEEvS14_ ; -- Begin function _ZN7rocprim17ROCPRIM_400000_NS6detail17trampoline_kernelINS0_14default_configENS1_22reduce_config_selectorIN6thrust23THRUST_200600_302600_NS5tupleIblNS6_9null_typeES8_S8_S8_S8_S8_S8_S8_EEEEZNS1_11reduce_implILb1ES3_NS6_12zip_iteratorINS7_INS6_11hip_rocprim26transform_input_iterator_tIbNSD_35transform_pair_of_input_iterators_tIbNS6_6detail15normal_iteratorINS6_10device_ptrIKjEEEESL_NS6_8equal_toIjEEEENSG_9not_fun_tINSD_8identityEEEEENSD_19counting_iterator_tIlEES8_S8_S8_S8_S8_S8_S8_S8_EEEEPS9_S9_NSD_9__find_if7functorIS9_EEEE10hipError_tPvRmT1_T2_T3_mT4_P12ihipStream_tbEUlT_E0_NS1_11comp_targetILNS1_3genE3ELNS1_11target_archE908ELNS1_3gpuE7ELNS1_3repE0EEENS1_30default_config_static_selectorELNS0_4arch9wavefront6targetE0EEEvS14_
	.globl	_ZN7rocprim17ROCPRIM_400000_NS6detail17trampoline_kernelINS0_14default_configENS1_22reduce_config_selectorIN6thrust23THRUST_200600_302600_NS5tupleIblNS6_9null_typeES8_S8_S8_S8_S8_S8_S8_EEEEZNS1_11reduce_implILb1ES3_NS6_12zip_iteratorINS7_INS6_11hip_rocprim26transform_input_iterator_tIbNSD_35transform_pair_of_input_iterators_tIbNS6_6detail15normal_iteratorINS6_10device_ptrIKjEEEESL_NS6_8equal_toIjEEEENSG_9not_fun_tINSD_8identityEEEEENSD_19counting_iterator_tIlEES8_S8_S8_S8_S8_S8_S8_S8_EEEEPS9_S9_NSD_9__find_if7functorIS9_EEEE10hipError_tPvRmT1_T2_T3_mT4_P12ihipStream_tbEUlT_E0_NS1_11comp_targetILNS1_3genE3ELNS1_11target_archE908ELNS1_3gpuE7ELNS1_3repE0EEENS1_30default_config_static_selectorELNS0_4arch9wavefront6targetE0EEEvS14_
	.p2align	8
	.type	_ZN7rocprim17ROCPRIM_400000_NS6detail17trampoline_kernelINS0_14default_configENS1_22reduce_config_selectorIN6thrust23THRUST_200600_302600_NS5tupleIblNS6_9null_typeES8_S8_S8_S8_S8_S8_S8_EEEEZNS1_11reduce_implILb1ES3_NS6_12zip_iteratorINS7_INS6_11hip_rocprim26transform_input_iterator_tIbNSD_35transform_pair_of_input_iterators_tIbNS6_6detail15normal_iteratorINS6_10device_ptrIKjEEEESL_NS6_8equal_toIjEEEENSG_9not_fun_tINSD_8identityEEEEENSD_19counting_iterator_tIlEES8_S8_S8_S8_S8_S8_S8_S8_EEEEPS9_S9_NSD_9__find_if7functorIS9_EEEE10hipError_tPvRmT1_T2_T3_mT4_P12ihipStream_tbEUlT_E0_NS1_11comp_targetILNS1_3genE3ELNS1_11target_archE908ELNS1_3gpuE7ELNS1_3repE0EEENS1_30default_config_static_selectorELNS0_4arch9wavefront6targetE0EEEvS14_,@function
_ZN7rocprim17ROCPRIM_400000_NS6detail17trampoline_kernelINS0_14default_configENS1_22reduce_config_selectorIN6thrust23THRUST_200600_302600_NS5tupleIblNS6_9null_typeES8_S8_S8_S8_S8_S8_S8_EEEEZNS1_11reduce_implILb1ES3_NS6_12zip_iteratorINS7_INS6_11hip_rocprim26transform_input_iterator_tIbNSD_35transform_pair_of_input_iterators_tIbNS6_6detail15normal_iteratorINS6_10device_ptrIKjEEEESL_NS6_8equal_toIjEEEENSG_9not_fun_tINSD_8identityEEEEENSD_19counting_iterator_tIlEES8_S8_S8_S8_S8_S8_S8_S8_EEEEPS9_S9_NSD_9__find_if7functorIS9_EEEE10hipError_tPvRmT1_T2_T3_mT4_P12ihipStream_tbEUlT_E0_NS1_11comp_targetILNS1_3genE3ELNS1_11target_archE908ELNS1_3gpuE7ELNS1_3repE0EEENS1_30default_config_static_selectorELNS0_4arch9wavefront6targetE0EEEvS14_: ; @_ZN7rocprim17ROCPRIM_400000_NS6detail17trampoline_kernelINS0_14default_configENS1_22reduce_config_selectorIN6thrust23THRUST_200600_302600_NS5tupleIblNS6_9null_typeES8_S8_S8_S8_S8_S8_S8_EEEEZNS1_11reduce_implILb1ES3_NS6_12zip_iteratorINS7_INS6_11hip_rocprim26transform_input_iterator_tIbNSD_35transform_pair_of_input_iterators_tIbNS6_6detail15normal_iteratorINS6_10device_ptrIKjEEEESL_NS6_8equal_toIjEEEENSG_9not_fun_tINSD_8identityEEEEENSD_19counting_iterator_tIlEES8_S8_S8_S8_S8_S8_S8_S8_EEEEPS9_S9_NSD_9__find_if7functorIS9_EEEE10hipError_tPvRmT1_T2_T3_mT4_P12ihipStream_tbEUlT_E0_NS1_11comp_targetILNS1_3genE3ELNS1_11target_archE908ELNS1_3gpuE7ELNS1_3repE0EEENS1_30default_config_static_selectorELNS0_4arch9wavefront6targetE0EEEvS14_
; %bb.0:
	.section	.rodata,"a",@progbits
	.p2align	6, 0x0
	.amdhsa_kernel _ZN7rocprim17ROCPRIM_400000_NS6detail17trampoline_kernelINS0_14default_configENS1_22reduce_config_selectorIN6thrust23THRUST_200600_302600_NS5tupleIblNS6_9null_typeES8_S8_S8_S8_S8_S8_S8_EEEEZNS1_11reduce_implILb1ES3_NS6_12zip_iteratorINS7_INS6_11hip_rocprim26transform_input_iterator_tIbNSD_35transform_pair_of_input_iterators_tIbNS6_6detail15normal_iteratorINS6_10device_ptrIKjEEEESL_NS6_8equal_toIjEEEENSG_9not_fun_tINSD_8identityEEEEENSD_19counting_iterator_tIlEES8_S8_S8_S8_S8_S8_S8_S8_EEEEPS9_S9_NSD_9__find_if7functorIS9_EEEE10hipError_tPvRmT1_T2_T3_mT4_P12ihipStream_tbEUlT_E0_NS1_11comp_targetILNS1_3genE3ELNS1_11target_archE908ELNS1_3gpuE7ELNS1_3repE0EEENS1_30default_config_static_selectorELNS0_4arch9wavefront6targetE0EEEvS14_
		.amdhsa_group_segment_fixed_size 0
		.amdhsa_private_segment_fixed_size 0
		.amdhsa_kernarg_size 104
		.amdhsa_user_sgpr_count 6
		.amdhsa_user_sgpr_private_segment_buffer 1
		.amdhsa_user_sgpr_dispatch_ptr 0
		.amdhsa_user_sgpr_queue_ptr 0
		.amdhsa_user_sgpr_kernarg_segment_ptr 1
		.amdhsa_user_sgpr_dispatch_id 0
		.amdhsa_user_sgpr_flat_scratch_init 0
		.amdhsa_user_sgpr_private_segment_size 0
		.amdhsa_wavefront_size32 1
		.amdhsa_uses_dynamic_stack 0
		.amdhsa_system_sgpr_private_segment_wavefront_offset 0
		.amdhsa_system_sgpr_workgroup_id_x 1
		.amdhsa_system_sgpr_workgroup_id_y 0
		.amdhsa_system_sgpr_workgroup_id_z 0
		.amdhsa_system_sgpr_workgroup_info 0
		.amdhsa_system_vgpr_workitem_id 0
		.amdhsa_next_free_vgpr 1
		.amdhsa_next_free_sgpr 1
		.amdhsa_reserve_vcc 0
		.amdhsa_reserve_flat_scratch 0
		.amdhsa_float_round_mode_32 0
		.amdhsa_float_round_mode_16_64 0
		.amdhsa_float_denorm_mode_32 3
		.amdhsa_float_denorm_mode_16_64 3
		.amdhsa_dx10_clamp 1
		.amdhsa_ieee_mode 1
		.amdhsa_fp16_overflow 0
		.amdhsa_workgroup_processor_mode 1
		.amdhsa_memory_ordered 1
		.amdhsa_forward_progress 1
		.amdhsa_shared_vgpr_count 0
		.amdhsa_exception_fp_ieee_invalid_op 0
		.amdhsa_exception_fp_denorm_src 0
		.amdhsa_exception_fp_ieee_div_zero 0
		.amdhsa_exception_fp_ieee_overflow 0
		.amdhsa_exception_fp_ieee_underflow 0
		.amdhsa_exception_fp_ieee_inexact 0
		.amdhsa_exception_int_div_zero 0
	.end_amdhsa_kernel
	.section	.text._ZN7rocprim17ROCPRIM_400000_NS6detail17trampoline_kernelINS0_14default_configENS1_22reduce_config_selectorIN6thrust23THRUST_200600_302600_NS5tupleIblNS6_9null_typeES8_S8_S8_S8_S8_S8_S8_EEEEZNS1_11reduce_implILb1ES3_NS6_12zip_iteratorINS7_INS6_11hip_rocprim26transform_input_iterator_tIbNSD_35transform_pair_of_input_iterators_tIbNS6_6detail15normal_iteratorINS6_10device_ptrIKjEEEESL_NS6_8equal_toIjEEEENSG_9not_fun_tINSD_8identityEEEEENSD_19counting_iterator_tIlEES8_S8_S8_S8_S8_S8_S8_S8_EEEEPS9_S9_NSD_9__find_if7functorIS9_EEEE10hipError_tPvRmT1_T2_T3_mT4_P12ihipStream_tbEUlT_E0_NS1_11comp_targetILNS1_3genE3ELNS1_11target_archE908ELNS1_3gpuE7ELNS1_3repE0EEENS1_30default_config_static_selectorELNS0_4arch9wavefront6targetE0EEEvS14_,"axG",@progbits,_ZN7rocprim17ROCPRIM_400000_NS6detail17trampoline_kernelINS0_14default_configENS1_22reduce_config_selectorIN6thrust23THRUST_200600_302600_NS5tupleIblNS6_9null_typeES8_S8_S8_S8_S8_S8_S8_EEEEZNS1_11reduce_implILb1ES3_NS6_12zip_iteratorINS7_INS6_11hip_rocprim26transform_input_iterator_tIbNSD_35transform_pair_of_input_iterators_tIbNS6_6detail15normal_iteratorINS6_10device_ptrIKjEEEESL_NS6_8equal_toIjEEEENSG_9not_fun_tINSD_8identityEEEEENSD_19counting_iterator_tIlEES8_S8_S8_S8_S8_S8_S8_S8_EEEEPS9_S9_NSD_9__find_if7functorIS9_EEEE10hipError_tPvRmT1_T2_T3_mT4_P12ihipStream_tbEUlT_E0_NS1_11comp_targetILNS1_3genE3ELNS1_11target_archE908ELNS1_3gpuE7ELNS1_3repE0EEENS1_30default_config_static_selectorELNS0_4arch9wavefront6targetE0EEEvS14_,comdat
.Lfunc_end154:
	.size	_ZN7rocprim17ROCPRIM_400000_NS6detail17trampoline_kernelINS0_14default_configENS1_22reduce_config_selectorIN6thrust23THRUST_200600_302600_NS5tupleIblNS6_9null_typeES8_S8_S8_S8_S8_S8_S8_EEEEZNS1_11reduce_implILb1ES3_NS6_12zip_iteratorINS7_INS6_11hip_rocprim26transform_input_iterator_tIbNSD_35transform_pair_of_input_iterators_tIbNS6_6detail15normal_iteratorINS6_10device_ptrIKjEEEESL_NS6_8equal_toIjEEEENSG_9not_fun_tINSD_8identityEEEEENSD_19counting_iterator_tIlEES8_S8_S8_S8_S8_S8_S8_S8_EEEEPS9_S9_NSD_9__find_if7functorIS9_EEEE10hipError_tPvRmT1_T2_T3_mT4_P12ihipStream_tbEUlT_E0_NS1_11comp_targetILNS1_3genE3ELNS1_11target_archE908ELNS1_3gpuE7ELNS1_3repE0EEENS1_30default_config_static_selectorELNS0_4arch9wavefront6targetE0EEEvS14_, .Lfunc_end154-_ZN7rocprim17ROCPRIM_400000_NS6detail17trampoline_kernelINS0_14default_configENS1_22reduce_config_selectorIN6thrust23THRUST_200600_302600_NS5tupleIblNS6_9null_typeES8_S8_S8_S8_S8_S8_S8_EEEEZNS1_11reduce_implILb1ES3_NS6_12zip_iteratorINS7_INS6_11hip_rocprim26transform_input_iterator_tIbNSD_35transform_pair_of_input_iterators_tIbNS6_6detail15normal_iteratorINS6_10device_ptrIKjEEEESL_NS6_8equal_toIjEEEENSG_9not_fun_tINSD_8identityEEEEENSD_19counting_iterator_tIlEES8_S8_S8_S8_S8_S8_S8_S8_EEEEPS9_S9_NSD_9__find_if7functorIS9_EEEE10hipError_tPvRmT1_T2_T3_mT4_P12ihipStream_tbEUlT_E0_NS1_11comp_targetILNS1_3genE3ELNS1_11target_archE908ELNS1_3gpuE7ELNS1_3repE0EEENS1_30default_config_static_selectorELNS0_4arch9wavefront6targetE0EEEvS14_
                                        ; -- End function
	.set _ZN7rocprim17ROCPRIM_400000_NS6detail17trampoline_kernelINS0_14default_configENS1_22reduce_config_selectorIN6thrust23THRUST_200600_302600_NS5tupleIblNS6_9null_typeES8_S8_S8_S8_S8_S8_S8_EEEEZNS1_11reduce_implILb1ES3_NS6_12zip_iteratorINS7_INS6_11hip_rocprim26transform_input_iterator_tIbNSD_35transform_pair_of_input_iterators_tIbNS6_6detail15normal_iteratorINS6_10device_ptrIKjEEEESL_NS6_8equal_toIjEEEENSG_9not_fun_tINSD_8identityEEEEENSD_19counting_iterator_tIlEES8_S8_S8_S8_S8_S8_S8_S8_EEEEPS9_S9_NSD_9__find_if7functorIS9_EEEE10hipError_tPvRmT1_T2_T3_mT4_P12ihipStream_tbEUlT_E0_NS1_11comp_targetILNS1_3genE3ELNS1_11target_archE908ELNS1_3gpuE7ELNS1_3repE0EEENS1_30default_config_static_selectorELNS0_4arch9wavefront6targetE0EEEvS14_.num_vgpr, 0
	.set _ZN7rocprim17ROCPRIM_400000_NS6detail17trampoline_kernelINS0_14default_configENS1_22reduce_config_selectorIN6thrust23THRUST_200600_302600_NS5tupleIblNS6_9null_typeES8_S8_S8_S8_S8_S8_S8_EEEEZNS1_11reduce_implILb1ES3_NS6_12zip_iteratorINS7_INS6_11hip_rocprim26transform_input_iterator_tIbNSD_35transform_pair_of_input_iterators_tIbNS6_6detail15normal_iteratorINS6_10device_ptrIKjEEEESL_NS6_8equal_toIjEEEENSG_9not_fun_tINSD_8identityEEEEENSD_19counting_iterator_tIlEES8_S8_S8_S8_S8_S8_S8_S8_EEEEPS9_S9_NSD_9__find_if7functorIS9_EEEE10hipError_tPvRmT1_T2_T3_mT4_P12ihipStream_tbEUlT_E0_NS1_11comp_targetILNS1_3genE3ELNS1_11target_archE908ELNS1_3gpuE7ELNS1_3repE0EEENS1_30default_config_static_selectorELNS0_4arch9wavefront6targetE0EEEvS14_.num_agpr, 0
	.set _ZN7rocprim17ROCPRIM_400000_NS6detail17trampoline_kernelINS0_14default_configENS1_22reduce_config_selectorIN6thrust23THRUST_200600_302600_NS5tupleIblNS6_9null_typeES8_S8_S8_S8_S8_S8_S8_EEEEZNS1_11reduce_implILb1ES3_NS6_12zip_iteratorINS7_INS6_11hip_rocprim26transform_input_iterator_tIbNSD_35transform_pair_of_input_iterators_tIbNS6_6detail15normal_iteratorINS6_10device_ptrIKjEEEESL_NS6_8equal_toIjEEEENSG_9not_fun_tINSD_8identityEEEEENSD_19counting_iterator_tIlEES8_S8_S8_S8_S8_S8_S8_S8_EEEEPS9_S9_NSD_9__find_if7functorIS9_EEEE10hipError_tPvRmT1_T2_T3_mT4_P12ihipStream_tbEUlT_E0_NS1_11comp_targetILNS1_3genE3ELNS1_11target_archE908ELNS1_3gpuE7ELNS1_3repE0EEENS1_30default_config_static_selectorELNS0_4arch9wavefront6targetE0EEEvS14_.numbered_sgpr, 0
	.set _ZN7rocprim17ROCPRIM_400000_NS6detail17trampoline_kernelINS0_14default_configENS1_22reduce_config_selectorIN6thrust23THRUST_200600_302600_NS5tupleIblNS6_9null_typeES8_S8_S8_S8_S8_S8_S8_EEEEZNS1_11reduce_implILb1ES3_NS6_12zip_iteratorINS7_INS6_11hip_rocprim26transform_input_iterator_tIbNSD_35transform_pair_of_input_iterators_tIbNS6_6detail15normal_iteratorINS6_10device_ptrIKjEEEESL_NS6_8equal_toIjEEEENSG_9not_fun_tINSD_8identityEEEEENSD_19counting_iterator_tIlEES8_S8_S8_S8_S8_S8_S8_S8_EEEEPS9_S9_NSD_9__find_if7functorIS9_EEEE10hipError_tPvRmT1_T2_T3_mT4_P12ihipStream_tbEUlT_E0_NS1_11comp_targetILNS1_3genE3ELNS1_11target_archE908ELNS1_3gpuE7ELNS1_3repE0EEENS1_30default_config_static_selectorELNS0_4arch9wavefront6targetE0EEEvS14_.num_named_barrier, 0
	.set _ZN7rocprim17ROCPRIM_400000_NS6detail17trampoline_kernelINS0_14default_configENS1_22reduce_config_selectorIN6thrust23THRUST_200600_302600_NS5tupleIblNS6_9null_typeES8_S8_S8_S8_S8_S8_S8_EEEEZNS1_11reduce_implILb1ES3_NS6_12zip_iteratorINS7_INS6_11hip_rocprim26transform_input_iterator_tIbNSD_35transform_pair_of_input_iterators_tIbNS6_6detail15normal_iteratorINS6_10device_ptrIKjEEEESL_NS6_8equal_toIjEEEENSG_9not_fun_tINSD_8identityEEEEENSD_19counting_iterator_tIlEES8_S8_S8_S8_S8_S8_S8_S8_EEEEPS9_S9_NSD_9__find_if7functorIS9_EEEE10hipError_tPvRmT1_T2_T3_mT4_P12ihipStream_tbEUlT_E0_NS1_11comp_targetILNS1_3genE3ELNS1_11target_archE908ELNS1_3gpuE7ELNS1_3repE0EEENS1_30default_config_static_selectorELNS0_4arch9wavefront6targetE0EEEvS14_.private_seg_size, 0
	.set _ZN7rocprim17ROCPRIM_400000_NS6detail17trampoline_kernelINS0_14default_configENS1_22reduce_config_selectorIN6thrust23THRUST_200600_302600_NS5tupleIblNS6_9null_typeES8_S8_S8_S8_S8_S8_S8_EEEEZNS1_11reduce_implILb1ES3_NS6_12zip_iteratorINS7_INS6_11hip_rocprim26transform_input_iterator_tIbNSD_35transform_pair_of_input_iterators_tIbNS6_6detail15normal_iteratorINS6_10device_ptrIKjEEEESL_NS6_8equal_toIjEEEENSG_9not_fun_tINSD_8identityEEEEENSD_19counting_iterator_tIlEES8_S8_S8_S8_S8_S8_S8_S8_EEEEPS9_S9_NSD_9__find_if7functorIS9_EEEE10hipError_tPvRmT1_T2_T3_mT4_P12ihipStream_tbEUlT_E0_NS1_11comp_targetILNS1_3genE3ELNS1_11target_archE908ELNS1_3gpuE7ELNS1_3repE0EEENS1_30default_config_static_selectorELNS0_4arch9wavefront6targetE0EEEvS14_.uses_vcc, 0
	.set _ZN7rocprim17ROCPRIM_400000_NS6detail17trampoline_kernelINS0_14default_configENS1_22reduce_config_selectorIN6thrust23THRUST_200600_302600_NS5tupleIblNS6_9null_typeES8_S8_S8_S8_S8_S8_S8_EEEEZNS1_11reduce_implILb1ES3_NS6_12zip_iteratorINS7_INS6_11hip_rocprim26transform_input_iterator_tIbNSD_35transform_pair_of_input_iterators_tIbNS6_6detail15normal_iteratorINS6_10device_ptrIKjEEEESL_NS6_8equal_toIjEEEENSG_9not_fun_tINSD_8identityEEEEENSD_19counting_iterator_tIlEES8_S8_S8_S8_S8_S8_S8_S8_EEEEPS9_S9_NSD_9__find_if7functorIS9_EEEE10hipError_tPvRmT1_T2_T3_mT4_P12ihipStream_tbEUlT_E0_NS1_11comp_targetILNS1_3genE3ELNS1_11target_archE908ELNS1_3gpuE7ELNS1_3repE0EEENS1_30default_config_static_selectorELNS0_4arch9wavefront6targetE0EEEvS14_.uses_flat_scratch, 0
	.set _ZN7rocprim17ROCPRIM_400000_NS6detail17trampoline_kernelINS0_14default_configENS1_22reduce_config_selectorIN6thrust23THRUST_200600_302600_NS5tupleIblNS6_9null_typeES8_S8_S8_S8_S8_S8_S8_EEEEZNS1_11reduce_implILb1ES3_NS6_12zip_iteratorINS7_INS6_11hip_rocprim26transform_input_iterator_tIbNSD_35transform_pair_of_input_iterators_tIbNS6_6detail15normal_iteratorINS6_10device_ptrIKjEEEESL_NS6_8equal_toIjEEEENSG_9not_fun_tINSD_8identityEEEEENSD_19counting_iterator_tIlEES8_S8_S8_S8_S8_S8_S8_S8_EEEEPS9_S9_NSD_9__find_if7functorIS9_EEEE10hipError_tPvRmT1_T2_T3_mT4_P12ihipStream_tbEUlT_E0_NS1_11comp_targetILNS1_3genE3ELNS1_11target_archE908ELNS1_3gpuE7ELNS1_3repE0EEENS1_30default_config_static_selectorELNS0_4arch9wavefront6targetE0EEEvS14_.has_dyn_sized_stack, 0
	.set _ZN7rocprim17ROCPRIM_400000_NS6detail17trampoline_kernelINS0_14default_configENS1_22reduce_config_selectorIN6thrust23THRUST_200600_302600_NS5tupleIblNS6_9null_typeES8_S8_S8_S8_S8_S8_S8_EEEEZNS1_11reduce_implILb1ES3_NS6_12zip_iteratorINS7_INS6_11hip_rocprim26transform_input_iterator_tIbNSD_35transform_pair_of_input_iterators_tIbNS6_6detail15normal_iteratorINS6_10device_ptrIKjEEEESL_NS6_8equal_toIjEEEENSG_9not_fun_tINSD_8identityEEEEENSD_19counting_iterator_tIlEES8_S8_S8_S8_S8_S8_S8_S8_EEEEPS9_S9_NSD_9__find_if7functorIS9_EEEE10hipError_tPvRmT1_T2_T3_mT4_P12ihipStream_tbEUlT_E0_NS1_11comp_targetILNS1_3genE3ELNS1_11target_archE908ELNS1_3gpuE7ELNS1_3repE0EEENS1_30default_config_static_selectorELNS0_4arch9wavefront6targetE0EEEvS14_.has_recursion, 0
	.set _ZN7rocprim17ROCPRIM_400000_NS6detail17trampoline_kernelINS0_14default_configENS1_22reduce_config_selectorIN6thrust23THRUST_200600_302600_NS5tupleIblNS6_9null_typeES8_S8_S8_S8_S8_S8_S8_EEEEZNS1_11reduce_implILb1ES3_NS6_12zip_iteratorINS7_INS6_11hip_rocprim26transform_input_iterator_tIbNSD_35transform_pair_of_input_iterators_tIbNS6_6detail15normal_iteratorINS6_10device_ptrIKjEEEESL_NS6_8equal_toIjEEEENSG_9not_fun_tINSD_8identityEEEEENSD_19counting_iterator_tIlEES8_S8_S8_S8_S8_S8_S8_S8_EEEEPS9_S9_NSD_9__find_if7functorIS9_EEEE10hipError_tPvRmT1_T2_T3_mT4_P12ihipStream_tbEUlT_E0_NS1_11comp_targetILNS1_3genE3ELNS1_11target_archE908ELNS1_3gpuE7ELNS1_3repE0EEENS1_30default_config_static_selectorELNS0_4arch9wavefront6targetE0EEEvS14_.has_indirect_call, 0
	.section	.AMDGPU.csdata,"",@progbits
; Kernel info:
; codeLenInByte = 0
; TotalNumSgprs: 0
; NumVgprs: 0
; ScratchSize: 0
; MemoryBound: 0
; FloatMode: 240
; IeeeMode: 1
; LDSByteSize: 0 bytes/workgroup (compile time only)
; SGPRBlocks: 0
; VGPRBlocks: 0
; NumSGPRsForWavesPerEU: 1
; NumVGPRsForWavesPerEU: 1
; Occupancy: 16
; WaveLimiterHint : 0
; COMPUTE_PGM_RSRC2:SCRATCH_EN: 0
; COMPUTE_PGM_RSRC2:USER_SGPR: 6
; COMPUTE_PGM_RSRC2:TRAP_HANDLER: 0
; COMPUTE_PGM_RSRC2:TGID_X_EN: 1
; COMPUTE_PGM_RSRC2:TGID_Y_EN: 0
; COMPUTE_PGM_RSRC2:TGID_Z_EN: 0
; COMPUTE_PGM_RSRC2:TIDIG_COMP_CNT: 0
	.section	.text._ZN7rocprim17ROCPRIM_400000_NS6detail17trampoline_kernelINS0_14default_configENS1_22reduce_config_selectorIN6thrust23THRUST_200600_302600_NS5tupleIblNS6_9null_typeES8_S8_S8_S8_S8_S8_S8_EEEEZNS1_11reduce_implILb1ES3_NS6_12zip_iteratorINS7_INS6_11hip_rocprim26transform_input_iterator_tIbNSD_35transform_pair_of_input_iterators_tIbNS6_6detail15normal_iteratorINS6_10device_ptrIKjEEEESL_NS6_8equal_toIjEEEENSG_9not_fun_tINSD_8identityEEEEENSD_19counting_iterator_tIlEES8_S8_S8_S8_S8_S8_S8_S8_EEEEPS9_S9_NSD_9__find_if7functorIS9_EEEE10hipError_tPvRmT1_T2_T3_mT4_P12ihipStream_tbEUlT_E0_NS1_11comp_targetILNS1_3genE2ELNS1_11target_archE906ELNS1_3gpuE6ELNS1_3repE0EEENS1_30default_config_static_selectorELNS0_4arch9wavefront6targetE0EEEvS14_,"axG",@progbits,_ZN7rocprim17ROCPRIM_400000_NS6detail17trampoline_kernelINS0_14default_configENS1_22reduce_config_selectorIN6thrust23THRUST_200600_302600_NS5tupleIblNS6_9null_typeES8_S8_S8_S8_S8_S8_S8_EEEEZNS1_11reduce_implILb1ES3_NS6_12zip_iteratorINS7_INS6_11hip_rocprim26transform_input_iterator_tIbNSD_35transform_pair_of_input_iterators_tIbNS6_6detail15normal_iteratorINS6_10device_ptrIKjEEEESL_NS6_8equal_toIjEEEENSG_9not_fun_tINSD_8identityEEEEENSD_19counting_iterator_tIlEES8_S8_S8_S8_S8_S8_S8_S8_EEEEPS9_S9_NSD_9__find_if7functorIS9_EEEE10hipError_tPvRmT1_T2_T3_mT4_P12ihipStream_tbEUlT_E0_NS1_11comp_targetILNS1_3genE2ELNS1_11target_archE906ELNS1_3gpuE6ELNS1_3repE0EEENS1_30default_config_static_selectorELNS0_4arch9wavefront6targetE0EEEvS14_,comdat
	.protected	_ZN7rocprim17ROCPRIM_400000_NS6detail17trampoline_kernelINS0_14default_configENS1_22reduce_config_selectorIN6thrust23THRUST_200600_302600_NS5tupleIblNS6_9null_typeES8_S8_S8_S8_S8_S8_S8_EEEEZNS1_11reduce_implILb1ES3_NS6_12zip_iteratorINS7_INS6_11hip_rocprim26transform_input_iterator_tIbNSD_35transform_pair_of_input_iterators_tIbNS6_6detail15normal_iteratorINS6_10device_ptrIKjEEEESL_NS6_8equal_toIjEEEENSG_9not_fun_tINSD_8identityEEEEENSD_19counting_iterator_tIlEES8_S8_S8_S8_S8_S8_S8_S8_EEEEPS9_S9_NSD_9__find_if7functorIS9_EEEE10hipError_tPvRmT1_T2_T3_mT4_P12ihipStream_tbEUlT_E0_NS1_11comp_targetILNS1_3genE2ELNS1_11target_archE906ELNS1_3gpuE6ELNS1_3repE0EEENS1_30default_config_static_selectorELNS0_4arch9wavefront6targetE0EEEvS14_ ; -- Begin function _ZN7rocprim17ROCPRIM_400000_NS6detail17trampoline_kernelINS0_14default_configENS1_22reduce_config_selectorIN6thrust23THRUST_200600_302600_NS5tupleIblNS6_9null_typeES8_S8_S8_S8_S8_S8_S8_EEEEZNS1_11reduce_implILb1ES3_NS6_12zip_iteratorINS7_INS6_11hip_rocprim26transform_input_iterator_tIbNSD_35transform_pair_of_input_iterators_tIbNS6_6detail15normal_iteratorINS6_10device_ptrIKjEEEESL_NS6_8equal_toIjEEEENSG_9not_fun_tINSD_8identityEEEEENSD_19counting_iterator_tIlEES8_S8_S8_S8_S8_S8_S8_S8_EEEEPS9_S9_NSD_9__find_if7functorIS9_EEEE10hipError_tPvRmT1_T2_T3_mT4_P12ihipStream_tbEUlT_E0_NS1_11comp_targetILNS1_3genE2ELNS1_11target_archE906ELNS1_3gpuE6ELNS1_3repE0EEENS1_30default_config_static_selectorELNS0_4arch9wavefront6targetE0EEEvS14_
	.globl	_ZN7rocprim17ROCPRIM_400000_NS6detail17trampoline_kernelINS0_14default_configENS1_22reduce_config_selectorIN6thrust23THRUST_200600_302600_NS5tupleIblNS6_9null_typeES8_S8_S8_S8_S8_S8_S8_EEEEZNS1_11reduce_implILb1ES3_NS6_12zip_iteratorINS7_INS6_11hip_rocprim26transform_input_iterator_tIbNSD_35transform_pair_of_input_iterators_tIbNS6_6detail15normal_iteratorINS6_10device_ptrIKjEEEESL_NS6_8equal_toIjEEEENSG_9not_fun_tINSD_8identityEEEEENSD_19counting_iterator_tIlEES8_S8_S8_S8_S8_S8_S8_S8_EEEEPS9_S9_NSD_9__find_if7functorIS9_EEEE10hipError_tPvRmT1_T2_T3_mT4_P12ihipStream_tbEUlT_E0_NS1_11comp_targetILNS1_3genE2ELNS1_11target_archE906ELNS1_3gpuE6ELNS1_3repE0EEENS1_30default_config_static_selectorELNS0_4arch9wavefront6targetE0EEEvS14_
	.p2align	8
	.type	_ZN7rocprim17ROCPRIM_400000_NS6detail17trampoline_kernelINS0_14default_configENS1_22reduce_config_selectorIN6thrust23THRUST_200600_302600_NS5tupleIblNS6_9null_typeES8_S8_S8_S8_S8_S8_S8_EEEEZNS1_11reduce_implILb1ES3_NS6_12zip_iteratorINS7_INS6_11hip_rocprim26transform_input_iterator_tIbNSD_35transform_pair_of_input_iterators_tIbNS6_6detail15normal_iteratorINS6_10device_ptrIKjEEEESL_NS6_8equal_toIjEEEENSG_9not_fun_tINSD_8identityEEEEENSD_19counting_iterator_tIlEES8_S8_S8_S8_S8_S8_S8_S8_EEEEPS9_S9_NSD_9__find_if7functorIS9_EEEE10hipError_tPvRmT1_T2_T3_mT4_P12ihipStream_tbEUlT_E0_NS1_11comp_targetILNS1_3genE2ELNS1_11target_archE906ELNS1_3gpuE6ELNS1_3repE0EEENS1_30default_config_static_selectorELNS0_4arch9wavefront6targetE0EEEvS14_,@function
_ZN7rocprim17ROCPRIM_400000_NS6detail17trampoline_kernelINS0_14default_configENS1_22reduce_config_selectorIN6thrust23THRUST_200600_302600_NS5tupleIblNS6_9null_typeES8_S8_S8_S8_S8_S8_S8_EEEEZNS1_11reduce_implILb1ES3_NS6_12zip_iteratorINS7_INS6_11hip_rocprim26transform_input_iterator_tIbNSD_35transform_pair_of_input_iterators_tIbNS6_6detail15normal_iteratorINS6_10device_ptrIKjEEEESL_NS6_8equal_toIjEEEENSG_9not_fun_tINSD_8identityEEEEENSD_19counting_iterator_tIlEES8_S8_S8_S8_S8_S8_S8_S8_EEEEPS9_S9_NSD_9__find_if7functorIS9_EEEE10hipError_tPvRmT1_T2_T3_mT4_P12ihipStream_tbEUlT_E0_NS1_11comp_targetILNS1_3genE2ELNS1_11target_archE906ELNS1_3gpuE6ELNS1_3repE0EEENS1_30default_config_static_selectorELNS0_4arch9wavefront6targetE0EEEvS14_: ; @_ZN7rocprim17ROCPRIM_400000_NS6detail17trampoline_kernelINS0_14default_configENS1_22reduce_config_selectorIN6thrust23THRUST_200600_302600_NS5tupleIblNS6_9null_typeES8_S8_S8_S8_S8_S8_S8_EEEEZNS1_11reduce_implILb1ES3_NS6_12zip_iteratorINS7_INS6_11hip_rocprim26transform_input_iterator_tIbNSD_35transform_pair_of_input_iterators_tIbNS6_6detail15normal_iteratorINS6_10device_ptrIKjEEEESL_NS6_8equal_toIjEEEENSG_9not_fun_tINSD_8identityEEEEENSD_19counting_iterator_tIlEES8_S8_S8_S8_S8_S8_S8_S8_EEEEPS9_S9_NSD_9__find_if7functorIS9_EEEE10hipError_tPvRmT1_T2_T3_mT4_P12ihipStream_tbEUlT_E0_NS1_11comp_targetILNS1_3genE2ELNS1_11target_archE906ELNS1_3gpuE6ELNS1_3repE0EEENS1_30default_config_static_selectorELNS0_4arch9wavefront6targetE0EEEvS14_
; %bb.0:
	.section	.rodata,"a",@progbits
	.p2align	6, 0x0
	.amdhsa_kernel _ZN7rocprim17ROCPRIM_400000_NS6detail17trampoline_kernelINS0_14default_configENS1_22reduce_config_selectorIN6thrust23THRUST_200600_302600_NS5tupleIblNS6_9null_typeES8_S8_S8_S8_S8_S8_S8_EEEEZNS1_11reduce_implILb1ES3_NS6_12zip_iteratorINS7_INS6_11hip_rocprim26transform_input_iterator_tIbNSD_35transform_pair_of_input_iterators_tIbNS6_6detail15normal_iteratorINS6_10device_ptrIKjEEEESL_NS6_8equal_toIjEEEENSG_9not_fun_tINSD_8identityEEEEENSD_19counting_iterator_tIlEES8_S8_S8_S8_S8_S8_S8_S8_EEEEPS9_S9_NSD_9__find_if7functorIS9_EEEE10hipError_tPvRmT1_T2_T3_mT4_P12ihipStream_tbEUlT_E0_NS1_11comp_targetILNS1_3genE2ELNS1_11target_archE906ELNS1_3gpuE6ELNS1_3repE0EEENS1_30default_config_static_selectorELNS0_4arch9wavefront6targetE0EEEvS14_
		.amdhsa_group_segment_fixed_size 0
		.amdhsa_private_segment_fixed_size 0
		.amdhsa_kernarg_size 104
		.amdhsa_user_sgpr_count 6
		.amdhsa_user_sgpr_private_segment_buffer 1
		.amdhsa_user_sgpr_dispatch_ptr 0
		.amdhsa_user_sgpr_queue_ptr 0
		.amdhsa_user_sgpr_kernarg_segment_ptr 1
		.amdhsa_user_sgpr_dispatch_id 0
		.amdhsa_user_sgpr_flat_scratch_init 0
		.amdhsa_user_sgpr_private_segment_size 0
		.amdhsa_wavefront_size32 1
		.amdhsa_uses_dynamic_stack 0
		.amdhsa_system_sgpr_private_segment_wavefront_offset 0
		.amdhsa_system_sgpr_workgroup_id_x 1
		.amdhsa_system_sgpr_workgroup_id_y 0
		.amdhsa_system_sgpr_workgroup_id_z 0
		.amdhsa_system_sgpr_workgroup_info 0
		.amdhsa_system_vgpr_workitem_id 0
		.amdhsa_next_free_vgpr 1
		.amdhsa_next_free_sgpr 1
		.amdhsa_reserve_vcc 0
		.amdhsa_reserve_flat_scratch 0
		.amdhsa_float_round_mode_32 0
		.amdhsa_float_round_mode_16_64 0
		.amdhsa_float_denorm_mode_32 3
		.amdhsa_float_denorm_mode_16_64 3
		.amdhsa_dx10_clamp 1
		.amdhsa_ieee_mode 1
		.amdhsa_fp16_overflow 0
		.amdhsa_workgroup_processor_mode 1
		.amdhsa_memory_ordered 1
		.amdhsa_forward_progress 1
		.amdhsa_shared_vgpr_count 0
		.amdhsa_exception_fp_ieee_invalid_op 0
		.amdhsa_exception_fp_denorm_src 0
		.amdhsa_exception_fp_ieee_div_zero 0
		.amdhsa_exception_fp_ieee_overflow 0
		.amdhsa_exception_fp_ieee_underflow 0
		.amdhsa_exception_fp_ieee_inexact 0
		.amdhsa_exception_int_div_zero 0
	.end_amdhsa_kernel
	.section	.text._ZN7rocprim17ROCPRIM_400000_NS6detail17trampoline_kernelINS0_14default_configENS1_22reduce_config_selectorIN6thrust23THRUST_200600_302600_NS5tupleIblNS6_9null_typeES8_S8_S8_S8_S8_S8_S8_EEEEZNS1_11reduce_implILb1ES3_NS6_12zip_iteratorINS7_INS6_11hip_rocprim26transform_input_iterator_tIbNSD_35transform_pair_of_input_iterators_tIbNS6_6detail15normal_iteratorINS6_10device_ptrIKjEEEESL_NS6_8equal_toIjEEEENSG_9not_fun_tINSD_8identityEEEEENSD_19counting_iterator_tIlEES8_S8_S8_S8_S8_S8_S8_S8_EEEEPS9_S9_NSD_9__find_if7functorIS9_EEEE10hipError_tPvRmT1_T2_T3_mT4_P12ihipStream_tbEUlT_E0_NS1_11comp_targetILNS1_3genE2ELNS1_11target_archE906ELNS1_3gpuE6ELNS1_3repE0EEENS1_30default_config_static_selectorELNS0_4arch9wavefront6targetE0EEEvS14_,"axG",@progbits,_ZN7rocprim17ROCPRIM_400000_NS6detail17trampoline_kernelINS0_14default_configENS1_22reduce_config_selectorIN6thrust23THRUST_200600_302600_NS5tupleIblNS6_9null_typeES8_S8_S8_S8_S8_S8_S8_EEEEZNS1_11reduce_implILb1ES3_NS6_12zip_iteratorINS7_INS6_11hip_rocprim26transform_input_iterator_tIbNSD_35transform_pair_of_input_iterators_tIbNS6_6detail15normal_iteratorINS6_10device_ptrIKjEEEESL_NS6_8equal_toIjEEEENSG_9not_fun_tINSD_8identityEEEEENSD_19counting_iterator_tIlEES8_S8_S8_S8_S8_S8_S8_S8_EEEEPS9_S9_NSD_9__find_if7functorIS9_EEEE10hipError_tPvRmT1_T2_T3_mT4_P12ihipStream_tbEUlT_E0_NS1_11comp_targetILNS1_3genE2ELNS1_11target_archE906ELNS1_3gpuE6ELNS1_3repE0EEENS1_30default_config_static_selectorELNS0_4arch9wavefront6targetE0EEEvS14_,comdat
.Lfunc_end155:
	.size	_ZN7rocprim17ROCPRIM_400000_NS6detail17trampoline_kernelINS0_14default_configENS1_22reduce_config_selectorIN6thrust23THRUST_200600_302600_NS5tupleIblNS6_9null_typeES8_S8_S8_S8_S8_S8_S8_EEEEZNS1_11reduce_implILb1ES3_NS6_12zip_iteratorINS7_INS6_11hip_rocprim26transform_input_iterator_tIbNSD_35transform_pair_of_input_iterators_tIbNS6_6detail15normal_iteratorINS6_10device_ptrIKjEEEESL_NS6_8equal_toIjEEEENSG_9not_fun_tINSD_8identityEEEEENSD_19counting_iterator_tIlEES8_S8_S8_S8_S8_S8_S8_S8_EEEEPS9_S9_NSD_9__find_if7functorIS9_EEEE10hipError_tPvRmT1_T2_T3_mT4_P12ihipStream_tbEUlT_E0_NS1_11comp_targetILNS1_3genE2ELNS1_11target_archE906ELNS1_3gpuE6ELNS1_3repE0EEENS1_30default_config_static_selectorELNS0_4arch9wavefront6targetE0EEEvS14_, .Lfunc_end155-_ZN7rocprim17ROCPRIM_400000_NS6detail17trampoline_kernelINS0_14default_configENS1_22reduce_config_selectorIN6thrust23THRUST_200600_302600_NS5tupleIblNS6_9null_typeES8_S8_S8_S8_S8_S8_S8_EEEEZNS1_11reduce_implILb1ES3_NS6_12zip_iteratorINS7_INS6_11hip_rocprim26transform_input_iterator_tIbNSD_35transform_pair_of_input_iterators_tIbNS6_6detail15normal_iteratorINS6_10device_ptrIKjEEEESL_NS6_8equal_toIjEEEENSG_9not_fun_tINSD_8identityEEEEENSD_19counting_iterator_tIlEES8_S8_S8_S8_S8_S8_S8_S8_EEEEPS9_S9_NSD_9__find_if7functorIS9_EEEE10hipError_tPvRmT1_T2_T3_mT4_P12ihipStream_tbEUlT_E0_NS1_11comp_targetILNS1_3genE2ELNS1_11target_archE906ELNS1_3gpuE6ELNS1_3repE0EEENS1_30default_config_static_selectorELNS0_4arch9wavefront6targetE0EEEvS14_
                                        ; -- End function
	.set _ZN7rocprim17ROCPRIM_400000_NS6detail17trampoline_kernelINS0_14default_configENS1_22reduce_config_selectorIN6thrust23THRUST_200600_302600_NS5tupleIblNS6_9null_typeES8_S8_S8_S8_S8_S8_S8_EEEEZNS1_11reduce_implILb1ES3_NS6_12zip_iteratorINS7_INS6_11hip_rocprim26transform_input_iterator_tIbNSD_35transform_pair_of_input_iterators_tIbNS6_6detail15normal_iteratorINS6_10device_ptrIKjEEEESL_NS6_8equal_toIjEEEENSG_9not_fun_tINSD_8identityEEEEENSD_19counting_iterator_tIlEES8_S8_S8_S8_S8_S8_S8_S8_EEEEPS9_S9_NSD_9__find_if7functorIS9_EEEE10hipError_tPvRmT1_T2_T3_mT4_P12ihipStream_tbEUlT_E0_NS1_11comp_targetILNS1_3genE2ELNS1_11target_archE906ELNS1_3gpuE6ELNS1_3repE0EEENS1_30default_config_static_selectorELNS0_4arch9wavefront6targetE0EEEvS14_.num_vgpr, 0
	.set _ZN7rocprim17ROCPRIM_400000_NS6detail17trampoline_kernelINS0_14default_configENS1_22reduce_config_selectorIN6thrust23THRUST_200600_302600_NS5tupleIblNS6_9null_typeES8_S8_S8_S8_S8_S8_S8_EEEEZNS1_11reduce_implILb1ES3_NS6_12zip_iteratorINS7_INS6_11hip_rocprim26transform_input_iterator_tIbNSD_35transform_pair_of_input_iterators_tIbNS6_6detail15normal_iteratorINS6_10device_ptrIKjEEEESL_NS6_8equal_toIjEEEENSG_9not_fun_tINSD_8identityEEEEENSD_19counting_iterator_tIlEES8_S8_S8_S8_S8_S8_S8_S8_EEEEPS9_S9_NSD_9__find_if7functorIS9_EEEE10hipError_tPvRmT1_T2_T3_mT4_P12ihipStream_tbEUlT_E0_NS1_11comp_targetILNS1_3genE2ELNS1_11target_archE906ELNS1_3gpuE6ELNS1_3repE0EEENS1_30default_config_static_selectorELNS0_4arch9wavefront6targetE0EEEvS14_.num_agpr, 0
	.set _ZN7rocprim17ROCPRIM_400000_NS6detail17trampoline_kernelINS0_14default_configENS1_22reduce_config_selectorIN6thrust23THRUST_200600_302600_NS5tupleIblNS6_9null_typeES8_S8_S8_S8_S8_S8_S8_EEEEZNS1_11reduce_implILb1ES3_NS6_12zip_iteratorINS7_INS6_11hip_rocprim26transform_input_iterator_tIbNSD_35transform_pair_of_input_iterators_tIbNS6_6detail15normal_iteratorINS6_10device_ptrIKjEEEESL_NS6_8equal_toIjEEEENSG_9not_fun_tINSD_8identityEEEEENSD_19counting_iterator_tIlEES8_S8_S8_S8_S8_S8_S8_S8_EEEEPS9_S9_NSD_9__find_if7functorIS9_EEEE10hipError_tPvRmT1_T2_T3_mT4_P12ihipStream_tbEUlT_E0_NS1_11comp_targetILNS1_3genE2ELNS1_11target_archE906ELNS1_3gpuE6ELNS1_3repE0EEENS1_30default_config_static_selectorELNS0_4arch9wavefront6targetE0EEEvS14_.numbered_sgpr, 0
	.set _ZN7rocprim17ROCPRIM_400000_NS6detail17trampoline_kernelINS0_14default_configENS1_22reduce_config_selectorIN6thrust23THRUST_200600_302600_NS5tupleIblNS6_9null_typeES8_S8_S8_S8_S8_S8_S8_EEEEZNS1_11reduce_implILb1ES3_NS6_12zip_iteratorINS7_INS6_11hip_rocprim26transform_input_iterator_tIbNSD_35transform_pair_of_input_iterators_tIbNS6_6detail15normal_iteratorINS6_10device_ptrIKjEEEESL_NS6_8equal_toIjEEEENSG_9not_fun_tINSD_8identityEEEEENSD_19counting_iterator_tIlEES8_S8_S8_S8_S8_S8_S8_S8_EEEEPS9_S9_NSD_9__find_if7functorIS9_EEEE10hipError_tPvRmT1_T2_T3_mT4_P12ihipStream_tbEUlT_E0_NS1_11comp_targetILNS1_3genE2ELNS1_11target_archE906ELNS1_3gpuE6ELNS1_3repE0EEENS1_30default_config_static_selectorELNS0_4arch9wavefront6targetE0EEEvS14_.num_named_barrier, 0
	.set _ZN7rocprim17ROCPRIM_400000_NS6detail17trampoline_kernelINS0_14default_configENS1_22reduce_config_selectorIN6thrust23THRUST_200600_302600_NS5tupleIblNS6_9null_typeES8_S8_S8_S8_S8_S8_S8_EEEEZNS1_11reduce_implILb1ES3_NS6_12zip_iteratorINS7_INS6_11hip_rocprim26transform_input_iterator_tIbNSD_35transform_pair_of_input_iterators_tIbNS6_6detail15normal_iteratorINS6_10device_ptrIKjEEEESL_NS6_8equal_toIjEEEENSG_9not_fun_tINSD_8identityEEEEENSD_19counting_iterator_tIlEES8_S8_S8_S8_S8_S8_S8_S8_EEEEPS9_S9_NSD_9__find_if7functorIS9_EEEE10hipError_tPvRmT1_T2_T3_mT4_P12ihipStream_tbEUlT_E0_NS1_11comp_targetILNS1_3genE2ELNS1_11target_archE906ELNS1_3gpuE6ELNS1_3repE0EEENS1_30default_config_static_selectorELNS0_4arch9wavefront6targetE0EEEvS14_.private_seg_size, 0
	.set _ZN7rocprim17ROCPRIM_400000_NS6detail17trampoline_kernelINS0_14default_configENS1_22reduce_config_selectorIN6thrust23THRUST_200600_302600_NS5tupleIblNS6_9null_typeES8_S8_S8_S8_S8_S8_S8_EEEEZNS1_11reduce_implILb1ES3_NS6_12zip_iteratorINS7_INS6_11hip_rocprim26transform_input_iterator_tIbNSD_35transform_pair_of_input_iterators_tIbNS6_6detail15normal_iteratorINS6_10device_ptrIKjEEEESL_NS6_8equal_toIjEEEENSG_9not_fun_tINSD_8identityEEEEENSD_19counting_iterator_tIlEES8_S8_S8_S8_S8_S8_S8_S8_EEEEPS9_S9_NSD_9__find_if7functorIS9_EEEE10hipError_tPvRmT1_T2_T3_mT4_P12ihipStream_tbEUlT_E0_NS1_11comp_targetILNS1_3genE2ELNS1_11target_archE906ELNS1_3gpuE6ELNS1_3repE0EEENS1_30default_config_static_selectorELNS0_4arch9wavefront6targetE0EEEvS14_.uses_vcc, 0
	.set _ZN7rocprim17ROCPRIM_400000_NS6detail17trampoline_kernelINS0_14default_configENS1_22reduce_config_selectorIN6thrust23THRUST_200600_302600_NS5tupleIblNS6_9null_typeES8_S8_S8_S8_S8_S8_S8_EEEEZNS1_11reduce_implILb1ES3_NS6_12zip_iteratorINS7_INS6_11hip_rocprim26transform_input_iterator_tIbNSD_35transform_pair_of_input_iterators_tIbNS6_6detail15normal_iteratorINS6_10device_ptrIKjEEEESL_NS6_8equal_toIjEEEENSG_9not_fun_tINSD_8identityEEEEENSD_19counting_iterator_tIlEES8_S8_S8_S8_S8_S8_S8_S8_EEEEPS9_S9_NSD_9__find_if7functorIS9_EEEE10hipError_tPvRmT1_T2_T3_mT4_P12ihipStream_tbEUlT_E0_NS1_11comp_targetILNS1_3genE2ELNS1_11target_archE906ELNS1_3gpuE6ELNS1_3repE0EEENS1_30default_config_static_selectorELNS0_4arch9wavefront6targetE0EEEvS14_.uses_flat_scratch, 0
	.set _ZN7rocprim17ROCPRIM_400000_NS6detail17trampoline_kernelINS0_14default_configENS1_22reduce_config_selectorIN6thrust23THRUST_200600_302600_NS5tupleIblNS6_9null_typeES8_S8_S8_S8_S8_S8_S8_EEEEZNS1_11reduce_implILb1ES3_NS6_12zip_iteratorINS7_INS6_11hip_rocprim26transform_input_iterator_tIbNSD_35transform_pair_of_input_iterators_tIbNS6_6detail15normal_iteratorINS6_10device_ptrIKjEEEESL_NS6_8equal_toIjEEEENSG_9not_fun_tINSD_8identityEEEEENSD_19counting_iterator_tIlEES8_S8_S8_S8_S8_S8_S8_S8_EEEEPS9_S9_NSD_9__find_if7functorIS9_EEEE10hipError_tPvRmT1_T2_T3_mT4_P12ihipStream_tbEUlT_E0_NS1_11comp_targetILNS1_3genE2ELNS1_11target_archE906ELNS1_3gpuE6ELNS1_3repE0EEENS1_30default_config_static_selectorELNS0_4arch9wavefront6targetE0EEEvS14_.has_dyn_sized_stack, 0
	.set _ZN7rocprim17ROCPRIM_400000_NS6detail17trampoline_kernelINS0_14default_configENS1_22reduce_config_selectorIN6thrust23THRUST_200600_302600_NS5tupleIblNS6_9null_typeES8_S8_S8_S8_S8_S8_S8_EEEEZNS1_11reduce_implILb1ES3_NS6_12zip_iteratorINS7_INS6_11hip_rocprim26transform_input_iterator_tIbNSD_35transform_pair_of_input_iterators_tIbNS6_6detail15normal_iteratorINS6_10device_ptrIKjEEEESL_NS6_8equal_toIjEEEENSG_9not_fun_tINSD_8identityEEEEENSD_19counting_iterator_tIlEES8_S8_S8_S8_S8_S8_S8_S8_EEEEPS9_S9_NSD_9__find_if7functorIS9_EEEE10hipError_tPvRmT1_T2_T3_mT4_P12ihipStream_tbEUlT_E0_NS1_11comp_targetILNS1_3genE2ELNS1_11target_archE906ELNS1_3gpuE6ELNS1_3repE0EEENS1_30default_config_static_selectorELNS0_4arch9wavefront6targetE0EEEvS14_.has_recursion, 0
	.set _ZN7rocprim17ROCPRIM_400000_NS6detail17trampoline_kernelINS0_14default_configENS1_22reduce_config_selectorIN6thrust23THRUST_200600_302600_NS5tupleIblNS6_9null_typeES8_S8_S8_S8_S8_S8_S8_EEEEZNS1_11reduce_implILb1ES3_NS6_12zip_iteratorINS7_INS6_11hip_rocprim26transform_input_iterator_tIbNSD_35transform_pair_of_input_iterators_tIbNS6_6detail15normal_iteratorINS6_10device_ptrIKjEEEESL_NS6_8equal_toIjEEEENSG_9not_fun_tINSD_8identityEEEEENSD_19counting_iterator_tIlEES8_S8_S8_S8_S8_S8_S8_S8_EEEEPS9_S9_NSD_9__find_if7functorIS9_EEEE10hipError_tPvRmT1_T2_T3_mT4_P12ihipStream_tbEUlT_E0_NS1_11comp_targetILNS1_3genE2ELNS1_11target_archE906ELNS1_3gpuE6ELNS1_3repE0EEENS1_30default_config_static_selectorELNS0_4arch9wavefront6targetE0EEEvS14_.has_indirect_call, 0
	.section	.AMDGPU.csdata,"",@progbits
; Kernel info:
; codeLenInByte = 0
; TotalNumSgprs: 0
; NumVgprs: 0
; ScratchSize: 0
; MemoryBound: 0
; FloatMode: 240
; IeeeMode: 1
; LDSByteSize: 0 bytes/workgroup (compile time only)
; SGPRBlocks: 0
; VGPRBlocks: 0
; NumSGPRsForWavesPerEU: 1
; NumVGPRsForWavesPerEU: 1
; Occupancy: 16
; WaveLimiterHint : 0
; COMPUTE_PGM_RSRC2:SCRATCH_EN: 0
; COMPUTE_PGM_RSRC2:USER_SGPR: 6
; COMPUTE_PGM_RSRC2:TRAP_HANDLER: 0
; COMPUTE_PGM_RSRC2:TGID_X_EN: 1
; COMPUTE_PGM_RSRC2:TGID_Y_EN: 0
; COMPUTE_PGM_RSRC2:TGID_Z_EN: 0
; COMPUTE_PGM_RSRC2:TIDIG_COMP_CNT: 0
	.section	.text._ZN7rocprim17ROCPRIM_400000_NS6detail17trampoline_kernelINS0_14default_configENS1_22reduce_config_selectorIN6thrust23THRUST_200600_302600_NS5tupleIblNS6_9null_typeES8_S8_S8_S8_S8_S8_S8_EEEEZNS1_11reduce_implILb1ES3_NS6_12zip_iteratorINS7_INS6_11hip_rocprim26transform_input_iterator_tIbNSD_35transform_pair_of_input_iterators_tIbNS6_6detail15normal_iteratorINS6_10device_ptrIKjEEEESL_NS6_8equal_toIjEEEENSG_9not_fun_tINSD_8identityEEEEENSD_19counting_iterator_tIlEES8_S8_S8_S8_S8_S8_S8_S8_EEEEPS9_S9_NSD_9__find_if7functorIS9_EEEE10hipError_tPvRmT1_T2_T3_mT4_P12ihipStream_tbEUlT_E0_NS1_11comp_targetILNS1_3genE10ELNS1_11target_archE1201ELNS1_3gpuE5ELNS1_3repE0EEENS1_30default_config_static_selectorELNS0_4arch9wavefront6targetE0EEEvS14_,"axG",@progbits,_ZN7rocprim17ROCPRIM_400000_NS6detail17trampoline_kernelINS0_14default_configENS1_22reduce_config_selectorIN6thrust23THRUST_200600_302600_NS5tupleIblNS6_9null_typeES8_S8_S8_S8_S8_S8_S8_EEEEZNS1_11reduce_implILb1ES3_NS6_12zip_iteratorINS7_INS6_11hip_rocprim26transform_input_iterator_tIbNSD_35transform_pair_of_input_iterators_tIbNS6_6detail15normal_iteratorINS6_10device_ptrIKjEEEESL_NS6_8equal_toIjEEEENSG_9not_fun_tINSD_8identityEEEEENSD_19counting_iterator_tIlEES8_S8_S8_S8_S8_S8_S8_S8_EEEEPS9_S9_NSD_9__find_if7functorIS9_EEEE10hipError_tPvRmT1_T2_T3_mT4_P12ihipStream_tbEUlT_E0_NS1_11comp_targetILNS1_3genE10ELNS1_11target_archE1201ELNS1_3gpuE5ELNS1_3repE0EEENS1_30default_config_static_selectorELNS0_4arch9wavefront6targetE0EEEvS14_,comdat
	.protected	_ZN7rocprim17ROCPRIM_400000_NS6detail17trampoline_kernelINS0_14default_configENS1_22reduce_config_selectorIN6thrust23THRUST_200600_302600_NS5tupleIblNS6_9null_typeES8_S8_S8_S8_S8_S8_S8_EEEEZNS1_11reduce_implILb1ES3_NS6_12zip_iteratorINS7_INS6_11hip_rocprim26transform_input_iterator_tIbNSD_35transform_pair_of_input_iterators_tIbNS6_6detail15normal_iteratorINS6_10device_ptrIKjEEEESL_NS6_8equal_toIjEEEENSG_9not_fun_tINSD_8identityEEEEENSD_19counting_iterator_tIlEES8_S8_S8_S8_S8_S8_S8_S8_EEEEPS9_S9_NSD_9__find_if7functorIS9_EEEE10hipError_tPvRmT1_T2_T3_mT4_P12ihipStream_tbEUlT_E0_NS1_11comp_targetILNS1_3genE10ELNS1_11target_archE1201ELNS1_3gpuE5ELNS1_3repE0EEENS1_30default_config_static_selectorELNS0_4arch9wavefront6targetE0EEEvS14_ ; -- Begin function _ZN7rocprim17ROCPRIM_400000_NS6detail17trampoline_kernelINS0_14default_configENS1_22reduce_config_selectorIN6thrust23THRUST_200600_302600_NS5tupleIblNS6_9null_typeES8_S8_S8_S8_S8_S8_S8_EEEEZNS1_11reduce_implILb1ES3_NS6_12zip_iteratorINS7_INS6_11hip_rocprim26transform_input_iterator_tIbNSD_35transform_pair_of_input_iterators_tIbNS6_6detail15normal_iteratorINS6_10device_ptrIKjEEEESL_NS6_8equal_toIjEEEENSG_9not_fun_tINSD_8identityEEEEENSD_19counting_iterator_tIlEES8_S8_S8_S8_S8_S8_S8_S8_EEEEPS9_S9_NSD_9__find_if7functorIS9_EEEE10hipError_tPvRmT1_T2_T3_mT4_P12ihipStream_tbEUlT_E0_NS1_11comp_targetILNS1_3genE10ELNS1_11target_archE1201ELNS1_3gpuE5ELNS1_3repE0EEENS1_30default_config_static_selectorELNS0_4arch9wavefront6targetE0EEEvS14_
	.globl	_ZN7rocprim17ROCPRIM_400000_NS6detail17trampoline_kernelINS0_14default_configENS1_22reduce_config_selectorIN6thrust23THRUST_200600_302600_NS5tupleIblNS6_9null_typeES8_S8_S8_S8_S8_S8_S8_EEEEZNS1_11reduce_implILb1ES3_NS6_12zip_iteratorINS7_INS6_11hip_rocprim26transform_input_iterator_tIbNSD_35transform_pair_of_input_iterators_tIbNS6_6detail15normal_iteratorINS6_10device_ptrIKjEEEESL_NS6_8equal_toIjEEEENSG_9not_fun_tINSD_8identityEEEEENSD_19counting_iterator_tIlEES8_S8_S8_S8_S8_S8_S8_S8_EEEEPS9_S9_NSD_9__find_if7functorIS9_EEEE10hipError_tPvRmT1_T2_T3_mT4_P12ihipStream_tbEUlT_E0_NS1_11comp_targetILNS1_3genE10ELNS1_11target_archE1201ELNS1_3gpuE5ELNS1_3repE0EEENS1_30default_config_static_selectorELNS0_4arch9wavefront6targetE0EEEvS14_
	.p2align	8
	.type	_ZN7rocprim17ROCPRIM_400000_NS6detail17trampoline_kernelINS0_14default_configENS1_22reduce_config_selectorIN6thrust23THRUST_200600_302600_NS5tupleIblNS6_9null_typeES8_S8_S8_S8_S8_S8_S8_EEEEZNS1_11reduce_implILb1ES3_NS6_12zip_iteratorINS7_INS6_11hip_rocprim26transform_input_iterator_tIbNSD_35transform_pair_of_input_iterators_tIbNS6_6detail15normal_iteratorINS6_10device_ptrIKjEEEESL_NS6_8equal_toIjEEEENSG_9not_fun_tINSD_8identityEEEEENSD_19counting_iterator_tIlEES8_S8_S8_S8_S8_S8_S8_S8_EEEEPS9_S9_NSD_9__find_if7functorIS9_EEEE10hipError_tPvRmT1_T2_T3_mT4_P12ihipStream_tbEUlT_E0_NS1_11comp_targetILNS1_3genE10ELNS1_11target_archE1201ELNS1_3gpuE5ELNS1_3repE0EEENS1_30default_config_static_selectorELNS0_4arch9wavefront6targetE0EEEvS14_,@function
_ZN7rocprim17ROCPRIM_400000_NS6detail17trampoline_kernelINS0_14default_configENS1_22reduce_config_selectorIN6thrust23THRUST_200600_302600_NS5tupleIblNS6_9null_typeES8_S8_S8_S8_S8_S8_S8_EEEEZNS1_11reduce_implILb1ES3_NS6_12zip_iteratorINS7_INS6_11hip_rocprim26transform_input_iterator_tIbNSD_35transform_pair_of_input_iterators_tIbNS6_6detail15normal_iteratorINS6_10device_ptrIKjEEEESL_NS6_8equal_toIjEEEENSG_9not_fun_tINSD_8identityEEEEENSD_19counting_iterator_tIlEES8_S8_S8_S8_S8_S8_S8_S8_EEEEPS9_S9_NSD_9__find_if7functorIS9_EEEE10hipError_tPvRmT1_T2_T3_mT4_P12ihipStream_tbEUlT_E0_NS1_11comp_targetILNS1_3genE10ELNS1_11target_archE1201ELNS1_3gpuE5ELNS1_3repE0EEENS1_30default_config_static_selectorELNS0_4arch9wavefront6targetE0EEEvS14_: ; @_ZN7rocprim17ROCPRIM_400000_NS6detail17trampoline_kernelINS0_14default_configENS1_22reduce_config_selectorIN6thrust23THRUST_200600_302600_NS5tupleIblNS6_9null_typeES8_S8_S8_S8_S8_S8_S8_EEEEZNS1_11reduce_implILb1ES3_NS6_12zip_iteratorINS7_INS6_11hip_rocprim26transform_input_iterator_tIbNSD_35transform_pair_of_input_iterators_tIbNS6_6detail15normal_iteratorINS6_10device_ptrIKjEEEESL_NS6_8equal_toIjEEEENSG_9not_fun_tINSD_8identityEEEEENSD_19counting_iterator_tIlEES8_S8_S8_S8_S8_S8_S8_S8_EEEEPS9_S9_NSD_9__find_if7functorIS9_EEEE10hipError_tPvRmT1_T2_T3_mT4_P12ihipStream_tbEUlT_E0_NS1_11comp_targetILNS1_3genE10ELNS1_11target_archE1201ELNS1_3gpuE5ELNS1_3repE0EEENS1_30default_config_static_selectorELNS0_4arch9wavefront6targetE0EEEvS14_
; %bb.0:
	.section	.rodata,"a",@progbits
	.p2align	6, 0x0
	.amdhsa_kernel _ZN7rocprim17ROCPRIM_400000_NS6detail17trampoline_kernelINS0_14default_configENS1_22reduce_config_selectorIN6thrust23THRUST_200600_302600_NS5tupleIblNS6_9null_typeES8_S8_S8_S8_S8_S8_S8_EEEEZNS1_11reduce_implILb1ES3_NS6_12zip_iteratorINS7_INS6_11hip_rocprim26transform_input_iterator_tIbNSD_35transform_pair_of_input_iterators_tIbNS6_6detail15normal_iteratorINS6_10device_ptrIKjEEEESL_NS6_8equal_toIjEEEENSG_9not_fun_tINSD_8identityEEEEENSD_19counting_iterator_tIlEES8_S8_S8_S8_S8_S8_S8_S8_EEEEPS9_S9_NSD_9__find_if7functorIS9_EEEE10hipError_tPvRmT1_T2_T3_mT4_P12ihipStream_tbEUlT_E0_NS1_11comp_targetILNS1_3genE10ELNS1_11target_archE1201ELNS1_3gpuE5ELNS1_3repE0EEENS1_30default_config_static_selectorELNS0_4arch9wavefront6targetE0EEEvS14_
		.amdhsa_group_segment_fixed_size 0
		.amdhsa_private_segment_fixed_size 0
		.amdhsa_kernarg_size 104
		.amdhsa_user_sgpr_count 6
		.amdhsa_user_sgpr_private_segment_buffer 1
		.amdhsa_user_sgpr_dispatch_ptr 0
		.amdhsa_user_sgpr_queue_ptr 0
		.amdhsa_user_sgpr_kernarg_segment_ptr 1
		.amdhsa_user_sgpr_dispatch_id 0
		.amdhsa_user_sgpr_flat_scratch_init 0
		.amdhsa_user_sgpr_private_segment_size 0
		.amdhsa_wavefront_size32 1
		.amdhsa_uses_dynamic_stack 0
		.amdhsa_system_sgpr_private_segment_wavefront_offset 0
		.amdhsa_system_sgpr_workgroup_id_x 1
		.amdhsa_system_sgpr_workgroup_id_y 0
		.amdhsa_system_sgpr_workgroup_id_z 0
		.amdhsa_system_sgpr_workgroup_info 0
		.amdhsa_system_vgpr_workitem_id 0
		.amdhsa_next_free_vgpr 1
		.amdhsa_next_free_sgpr 1
		.amdhsa_reserve_vcc 0
		.amdhsa_reserve_flat_scratch 0
		.amdhsa_float_round_mode_32 0
		.amdhsa_float_round_mode_16_64 0
		.amdhsa_float_denorm_mode_32 3
		.amdhsa_float_denorm_mode_16_64 3
		.amdhsa_dx10_clamp 1
		.amdhsa_ieee_mode 1
		.amdhsa_fp16_overflow 0
		.amdhsa_workgroup_processor_mode 1
		.amdhsa_memory_ordered 1
		.amdhsa_forward_progress 1
		.amdhsa_shared_vgpr_count 0
		.amdhsa_exception_fp_ieee_invalid_op 0
		.amdhsa_exception_fp_denorm_src 0
		.amdhsa_exception_fp_ieee_div_zero 0
		.amdhsa_exception_fp_ieee_overflow 0
		.amdhsa_exception_fp_ieee_underflow 0
		.amdhsa_exception_fp_ieee_inexact 0
		.amdhsa_exception_int_div_zero 0
	.end_amdhsa_kernel
	.section	.text._ZN7rocprim17ROCPRIM_400000_NS6detail17trampoline_kernelINS0_14default_configENS1_22reduce_config_selectorIN6thrust23THRUST_200600_302600_NS5tupleIblNS6_9null_typeES8_S8_S8_S8_S8_S8_S8_EEEEZNS1_11reduce_implILb1ES3_NS6_12zip_iteratorINS7_INS6_11hip_rocprim26transform_input_iterator_tIbNSD_35transform_pair_of_input_iterators_tIbNS6_6detail15normal_iteratorINS6_10device_ptrIKjEEEESL_NS6_8equal_toIjEEEENSG_9not_fun_tINSD_8identityEEEEENSD_19counting_iterator_tIlEES8_S8_S8_S8_S8_S8_S8_S8_EEEEPS9_S9_NSD_9__find_if7functorIS9_EEEE10hipError_tPvRmT1_T2_T3_mT4_P12ihipStream_tbEUlT_E0_NS1_11comp_targetILNS1_3genE10ELNS1_11target_archE1201ELNS1_3gpuE5ELNS1_3repE0EEENS1_30default_config_static_selectorELNS0_4arch9wavefront6targetE0EEEvS14_,"axG",@progbits,_ZN7rocprim17ROCPRIM_400000_NS6detail17trampoline_kernelINS0_14default_configENS1_22reduce_config_selectorIN6thrust23THRUST_200600_302600_NS5tupleIblNS6_9null_typeES8_S8_S8_S8_S8_S8_S8_EEEEZNS1_11reduce_implILb1ES3_NS6_12zip_iteratorINS7_INS6_11hip_rocprim26transform_input_iterator_tIbNSD_35transform_pair_of_input_iterators_tIbNS6_6detail15normal_iteratorINS6_10device_ptrIKjEEEESL_NS6_8equal_toIjEEEENSG_9not_fun_tINSD_8identityEEEEENSD_19counting_iterator_tIlEES8_S8_S8_S8_S8_S8_S8_S8_EEEEPS9_S9_NSD_9__find_if7functorIS9_EEEE10hipError_tPvRmT1_T2_T3_mT4_P12ihipStream_tbEUlT_E0_NS1_11comp_targetILNS1_3genE10ELNS1_11target_archE1201ELNS1_3gpuE5ELNS1_3repE0EEENS1_30default_config_static_selectorELNS0_4arch9wavefront6targetE0EEEvS14_,comdat
.Lfunc_end156:
	.size	_ZN7rocprim17ROCPRIM_400000_NS6detail17trampoline_kernelINS0_14default_configENS1_22reduce_config_selectorIN6thrust23THRUST_200600_302600_NS5tupleIblNS6_9null_typeES8_S8_S8_S8_S8_S8_S8_EEEEZNS1_11reduce_implILb1ES3_NS6_12zip_iteratorINS7_INS6_11hip_rocprim26transform_input_iterator_tIbNSD_35transform_pair_of_input_iterators_tIbNS6_6detail15normal_iteratorINS6_10device_ptrIKjEEEESL_NS6_8equal_toIjEEEENSG_9not_fun_tINSD_8identityEEEEENSD_19counting_iterator_tIlEES8_S8_S8_S8_S8_S8_S8_S8_EEEEPS9_S9_NSD_9__find_if7functorIS9_EEEE10hipError_tPvRmT1_T2_T3_mT4_P12ihipStream_tbEUlT_E0_NS1_11comp_targetILNS1_3genE10ELNS1_11target_archE1201ELNS1_3gpuE5ELNS1_3repE0EEENS1_30default_config_static_selectorELNS0_4arch9wavefront6targetE0EEEvS14_, .Lfunc_end156-_ZN7rocprim17ROCPRIM_400000_NS6detail17trampoline_kernelINS0_14default_configENS1_22reduce_config_selectorIN6thrust23THRUST_200600_302600_NS5tupleIblNS6_9null_typeES8_S8_S8_S8_S8_S8_S8_EEEEZNS1_11reduce_implILb1ES3_NS6_12zip_iteratorINS7_INS6_11hip_rocprim26transform_input_iterator_tIbNSD_35transform_pair_of_input_iterators_tIbNS6_6detail15normal_iteratorINS6_10device_ptrIKjEEEESL_NS6_8equal_toIjEEEENSG_9not_fun_tINSD_8identityEEEEENSD_19counting_iterator_tIlEES8_S8_S8_S8_S8_S8_S8_S8_EEEEPS9_S9_NSD_9__find_if7functorIS9_EEEE10hipError_tPvRmT1_T2_T3_mT4_P12ihipStream_tbEUlT_E0_NS1_11comp_targetILNS1_3genE10ELNS1_11target_archE1201ELNS1_3gpuE5ELNS1_3repE0EEENS1_30default_config_static_selectorELNS0_4arch9wavefront6targetE0EEEvS14_
                                        ; -- End function
	.set _ZN7rocprim17ROCPRIM_400000_NS6detail17trampoline_kernelINS0_14default_configENS1_22reduce_config_selectorIN6thrust23THRUST_200600_302600_NS5tupleIblNS6_9null_typeES8_S8_S8_S8_S8_S8_S8_EEEEZNS1_11reduce_implILb1ES3_NS6_12zip_iteratorINS7_INS6_11hip_rocprim26transform_input_iterator_tIbNSD_35transform_pair_of_input_iterators_tIbNS6_6detail15normal_iteratorINS6_10device_ptrIKjEEEESL_NS6_8equal_toIjEEEENSG_9not_fun_tINSD_8identityEEEEENSD_19counting_iterator_tIlEES8_S8_S8_S8_S8_S8_S8_S8_EEEEPS9_S9_NSD_9__find_if7functorIS9_EEEE10hipError_tPvRmT1_T2_T3_mT4_P12ihipStream_tbEUlT_E0_NS1_11comp_targetILNS1_3genE10ELNS1_11target_archE1201ELNS1_3gpuE5ELNS1_3repE0EEENS1_30default_config_static_selectorELNS0_4arch9wavefront6targetE0EEEvS14_.num_vgpr, 0
	.set _ZN7rocprim17ROCPRIM_400000_NS6detail17trampoline_kernelINS0_14default_configENS1_22reduce_config_selectorIN6thrust23THRUST_200600_302600_NS5tupleIblNS6_9null_typeES8_S8_S8_S8_S8_S8_S8_EEEEZNS1_11reduce_implILb1ES3_NS6_12zip_iteratorINS7_INS6_11hip_rocprim26transform_input_iterator_tIbNSD_35transform_pair_of_input_iterators_tIbNS6_6detail15normal_iteratorINS6_10device_ptrIKjEEEESL_NS6_8equal_toIjEEEENSG_9not_fun_tINSD_8identityEEEEENSD_19counting_iterator_tIlEES8_S8_S8_S8_S8_S8_S8_S8_EEEEPS9_S9_NSD_9__find_if7functorIS9_EEEE10hipError_tPvRmT1_T2_T3_mT4_P12ihipStream_tbEUlT_E0_NS1_11comp_targetILNS1_3genE10ELNS1_11target_archE1201ELNS1_3gpuE5ELNS1_3repE0EEENS1_30default_config_static_selectorELNS0_4arch9wavefront6targetE0EEEvS14_.num_agpr, 0
	.set _ZN7rocprim17ROCPRIM_400000_NS6detail17trampoline_kernelINS0_14default_configENS1_22reduce_config_selectorIN6thrust23THRUST_200600_302600_NS5tupleIblNS6_9null_typeES8_S8_S8_S8_S8_S8_S8_EEEEZNS1_11reduce_implILb1ES3_NS6_12zip_iteratorINS7_INS6_11hip_rocprim26transform_input_iterator_tIbNSD_35transform_pair_of_input_iterators_tIbNS6_6detail15normal_iteratorINS6_10device_ptrIKjEEEESL_NS6_8equal_toIjEEEENSG_9not_fun_tINSD_8identityEEEEENSD_19counting_iterator_tIlEES8_S8_S8_S8_S8_S8_S8_S8_EEEEPS9_S9_NSD_9__find_if7functorIS9_EEEE10hipError_tPvRmT1_T2_T3_mT4_P12ihipStream_tbEUlT_E0_NS1_11comp_targetILNS1_3genE10ELNS1_11target_archE1201ELNS1_3gpuE5ELNS1_3repE0EEENS1_30default_config_static_selectorELNS0_4arch9wavefront6targetE0EEEvS14_.numbered_sgpr, 0
	.set _ZN7rocprim17ROCPRIM_400000_NS6detail17trampoline_kernelINS0_14default_configENS1_22reduce_config_selectorIN6thrust23THRUST_200600_302600_NS5tupleIblNS6_9null_typeES8_S8_S8_S8_S8_S8_S8_EEEEZNS1_11reduce_implILb1ES3_NS6_12zip_iteratorINS7_INS6_11hip_rocprim26transform_input_iterator_tIbNSD_35transform_pair_of_input_iterators_tIbNS6_6detail15normal_iteratorINS6_10device_ptrIKjEEEESL_NS6_8equal_toIjEEEENSG_9not_fun_tINSD_8identityEEEEENSD_19counting_iterator_tIlEES8_S8_S8_S8_S8_S8_S8_S8_EEEEPS9_S9_NSD_9__find_if7functorIS9_EEEE10hipError_tPvRmT1_T2_T3_mT4_P12ihipStream_tbEUlT_E0_NS1_11comp_targetILNS1_3genE10ELNS1_11target_archE1201ELNS1_3gpuE5ELNS1_3repE0EEENS1_30default_config_static_selectorELNS0_4arch9wavefront6targetE0EEEvS14_.num_named_barrier, 0
	.set _ZN7rocprim17ROCPRIM_400000_NS6detail17trampoline_kernelINS0_14default_configENS1_22reduce_config_selectorIN6thrust23THRUST_200600_302600_NS5tupleIblNS6_9null_typeES8_S8_S8_S8_S8_S8_S8_EEEEZNS1_11reduce_implILb1ES3_NS6_12zip_iteratorINS7_INS6_11hip_rocprim26transform_input_iterator_tIbNSD_35transform_pair_of_input_iterators_tIbNS6_6detail15normal_iteratorINS6_10device_ptrIKjEEEESL_NS6_8equal_toIjEEEENSG_9not_fun_tINSD_8identityEEEEENSD_19counting_iterator_tIlEES8_S8_S8_S8_S8_S8_S8_S8_EEEEPS9_S9_NSD_9__find_if7functorIS9_EEEE10hipError_tPvRmT1_T2_T3_mT4_P12ihipStream_tbEUlT_E0_NS1_11comp_targetILNS1_3genE10ELNS1_11target_archE1201ELNS1_3gpuE5ELNS1_3repE0EEENS1_30default_config_static_selectorELNS0_4arch9wavefront6targetE0EEEvS14_.private_seg_size, 0
	.set _ZN7rocprim17ROCPRIM_400000_NS6detail17trampoline_kernelINS0_14default_configENS1_22reduce_config_selectorIN6thrust23THRUST_200600_302600_NS5tupleIblNS6_9null_typeES8_S8_S8_S8_S8_S8_S8_EEEEZNS1_11reduce_implILb1ES3_NS6_12zip_iteratorINS7_INS6_11hip_rocprim26transform_input_iterator_tIbNSD_35transform_pair_of_input_iterators_tIbNS6_6detail15normal_iteratorINS6_10device_ptrIKjEEEESL_NS6_8equal_toIjEEEENSG_9not_fun_tINSD_8identityEEEEENSD_19counting_iterator_tIlEES8_S8_S8_S8_S8_S8_S8_S8_EEEEPS9_S9_NSD_9__find_if7functorIS9_EEEE10hipError_tPvRmT1_T2_T3_mT4_P12ihipStream_tbEUlT_E0_NS1_11comp_targetILNS1_3genE10ELNS1_11target_archE1201ELNS1_3gpuE5ELNS1_3repE0EEENS1_30default_config_static_selectorELNS0_4arch9wavefront6targetE0EEEvS14_.uses_vcc, 0
	.set _ZN7rocprim17ROCPRIM_400000_NS6detail17trampoline_kernelINS0_14default_configENS1_22reduce_config_selectorIN6thrust23THRUST_200600_302600_NS5tupleIblNS6_9null_typeES8_S8_S8_S8_S8_S8_S8_EEEEZNS1_11reduce_implILb1ES3_NS6_12zip_iteratorINS7_INS6_11hip_rocprim26transform_input_iterator_tIbNSD_35transform_pair_of_input_iterators_tIbNS6_6detail15normal_iteratorINS6_10device_ptrIKjEEEESL_NS6_8equal_toIjEEEENSG_9not_fun_tINSD_8identityEEEEENSD_19counting_iterator_tIlEES8_S8_S8_S8_S8_S8_S8_S8_EEEEPS9_S9_NSD_9__find_if7functorIS9_EEEE10hipError_tPvRmT1_T2_T3_mT4_P12ihipStream_tbEUlT_E0_NS1_11comp_targetILNS1_3genE10ELNS1_11target_archE1201ELNS1_3gpuE5ELNS1_3repE0EEENS1_30default_config_static_selectorELNS0_4arch9wavefront6targetE0EEEvS14_.uses_flat_scratch, 0
	.set _ZN7rocprim17ROCPRIM_400000_NS6detail17trampoline_kernelINS0_14default_configENS1_22reduce_config_selectorIN6thrust23THRUST_200600_302600_NS5tupleIblNS6_9null_typeES8_S8_S8_S8_S8_S8_S8_EEEEZNS1_11reduce_implILb1ES3_NS6_12zip_iteratorINS7_INS6_11hip_rocprim26transform_input_iterator_tIbNSD_35transform_pair_of_input_iterators_tIbNS6_6detail15normal_iteratorINS6_10device_ptrIKjEEEESL_NS6_8equal_toIjEEEENSG_9not_fun_tINSD_8identityEEEEENSD_19counting_iterator_tIlEES8_S8_S8_S8_S8_S8_S8_S8_EEEEPS9_S9_NSD_9__find_if7functorIS9_EEEE10hipError_tPvRmT1_T2_T3_mT4_P12ihipStream_tbEUlT_E0_NS1_11comp_targetILNS1_3genE10ELNS1_11target_archE1201ELNS1_3gpuE5ELNS1_3repE0EEENS1_30default_config_static_selectorELNS0_4arch9wavefront6targetE0EEEvS14_.has_dyn_sized_stack, 0
	.set _ZN7rocprim17ROCPRIM_400000_NS6detail17trampoline_kernelINS0_14default_configENS1_22reduce_config_selectorIN6thrust23THRUST_200600_302600_NS5tupleIblNS6_9null_typeES8_S8_S8_S8_S8_S8_S8_EEEEZNS1_11reduce_implILb1ES3_NS6_12zip_iteratorINS7_INS6_11hip_rocprim26transform_input_iterator_tIbNSD_35transform_pair_of_input_iterators_tIbNS6_6detail15normal_iteratorINS6_10device_ptrIKjEEEESL_NS6_8equal_toIjEEEENSG_9not_fun_tINSD_8identityEEEEENSD_19counting_iterator_tIlEES8_S8_S8_S8_S8_S8_S8_S8_EEEEPS9_S9_NSD_9__find_if7functorIS9_EEEE10hipError_tPvRmT1_T2_T3_mT4_P12ihipStream_tbEUlT_E0_NS1_11comp_targetILNS1_3genE10ELNS1_11target_archE1201ELNS1_3gpuE5ELNS1_3repE0EEENS1_30default_config_static_selectorELNS0_4arch9wavefront6targetE0EEEvS14_.has_recursion, 0
	.set _ZN7rocprim17ROCPRIM_400000_NS6detail17trampoline_kernelINS0_14default_configENS1_22reduce_config_selectorIN6thrust23THRUST_200600_302600_NS5tupleIblNS6_9null_typeES8_S8_S8_S8_S8_S8_S8_EEEEZNS1_11reduce_implILb1ES3_NS6_12zip_iteratorINS7_INS6_11hip_rocprim26transform_input_iterator_tIbNSD_35transform_pair_of_input_iterators_tIbNS6_6detail15normal_iteratorINS6_10device_ptrIKjEEEESL_NS6_8equal_toIjEEEENSG_9not_fun_tINSD_8identityEEEEENSD_19counting_iterator_tIlEES8_S8_S8_S8_S8_S8_S8_S8_EEEEPS9_S9_NSD_9__find_if7functorIS9_EEEE10hipError_tPvRmT1_T2_T3_mT4_P12ihipStream_tbEUlT_E0_NS1_11comp_targetILNS1_3genE10ELNS1_11target_archE1201ELNS1_3gpuE5ELNS1_3repE0EEENS1_30default_config_static_selectorELNS0_4arch9wavefront6targetE0EEEvS14_.has_indirect_call, 0
	.section	.AMDGPU.csdata,"",@progbits
; Kernel info:
; codeLenInByte = 0
; TotalNumSgprs: 0
; NumVgprs: 0
; ScratchSize: 0
; MemoryBound: 0
; FloatMode: 240
; IeeeMode: 1
; LDSByteSize: 0 bytes/workgroup (compile time only)
; SGPRBlocks: 0
; VGPRBlocks: 0
; NumSGPRsForWavesPerEU: 1
; NumVGPRsForWavesPerEU: 1
; Occupancy: 16
; WaveLimiterHint : 0
; COMPUTE_PGM_RSRC2:SCRATCH_EN: 0
; COMPUTE_PGM_RSRC2:USER_SGPR: 6
; COMPUTE_PGM_RSRC2:TRAP_HANDLER: 0
; COMPUTE_PGM_RSRC2:TGID_X_EN: 1
; COMPUTE_PGM_RSRC2:TGID_Y_EN: 0
; COMPUTE_PGM_RSRC2:TGID_Z_EN: 0
; COMPUTE_PGM_RSRC2:TIDIG_COMP_CNT: 0
	.section	.text._ZN7rocprim17ROCPRIM_400000_NS6detail17trampoline_kernelINS0_14default_configENS1_22reduce_config_selectorIN6thrust23THRUST_200600_302600_NS5tupleIblNS6_9null_typeES8_S8_S8_S8_S8_S8_S8_EEEEZNS1_11reduce_implILb1ES3_NS6_12zip_iteratorINS7_INS6_11hip_rocprim26transform_input_iterator_tIbNSD_35transform_pair_of_input_iterators_tIbNS6_6detail15normal_iteratorINS6_10device_ptrIKjEEEESL_NS6_8equal_toIjEEEENSG_9not_fun_tINSD_8identityEEEEENSD_19counting_iterator_tIlEES8_S8_S8_S8_S8_S8_S8_S8_EEEEPS9_S9_NSD_9__find_if7functorIS9_EEEE10hipError_tPvRmT1_T2_T3_mT4_P12ihipStream_tbEUlT_E0_NS1_11comp_targetILNS1_3genE10ELNS1_11target_archE1200ELNS1_3gpuE4ELNS1_3repE0EEENS1_30default_config_static_selectorELNS0_4arch9wavefront6targetE0EEEvS14_,"axG",@progbits,_ZN7rocprim17ROCPRIM_400000_NS6detail17trampoline_kernelINS0_14default_configENS1_22reduce_config_selectorIN6thrust23THRUST_200600_302600_NS5tupleIblNS6_9null_typeES8_S8_S8_S8_S8_S8_S8_EEEEZNS1_11reduce_implILb1ES3_NS6_12zip_iteratorINS7_INS6_11hip_rocprim26transform_input_iterator_tIbNSD_35transform_pair_of_input_iterators_tIbNS6_6detail15normal_iteratorINS6_10device_ptrIKjEEEESL_NS6_8equal_toIjEEEENSG_9not_fun_tINSD_8identityEEEEENSD_19counting_iterator_tIlEES8_S8_S8_S8_S8_S8_S8_S8_EEEEPS9_S9_NSD_9__find_if7functorIS9_EEEE10hipError_tPvRmT1_T2_T3_mT4_P12ihipStream_tbEUlT_E0_NS1_11comp_targetILNS1_3genE10ELNS1_11target_archE1200ELNS1_3gpuE4ELNS1_3repE0EEENS1_30default_config_static_selectorELNS0_4arch9wavefront6targetE0EEEvS14_,comdat
	.protected	_ZN7rocprim17ROCPRIM_400000_NS6detail17trampoline_kernelINS0_14default_configENS1_22reduce_config_selectorIN6thrust23THRUST_200600_302600_NS5tupleIblNS6_9null_typeES8_S8_S8_S8_S8_S8_S8_EEEEZNS1_11reduce_implILb1ES3_NS6_12zip_iteratorINS7_INS6_11hip_rocprim26transform_input_iterator_tIbNSD_35transform_pair_of_input_iterators_tIbNS6_6detail15normal_iteratorINS6_10device_ptrIKjEEEESL_NS6_8equal_toIjEEEENSG_9not_fun_tINSD_8identityEEEEENSD_19counting_iterator_tIlEES8_S8_S8_S8_S8_S8_S8_S8_EEEEPS9_S9_NSD_9__find_if7functorIS9_EEEE10hipError_tPvRmT1_T2_T3_mT4_P12ihipStream_tbEUlT_E0_NS1_11comp_targetILNS1_3genE10ELNS1_11target_archE1200ELNS1_3gpuE4ELNS1_3repE0EEENS1_30default_config_static_selectorELNS0_4arch9wavefront6targetE0EEEvS14_ ; -- Begin function _ZN7rocprim17ROCPRIM_400000_NS6detail17trampoline_kernelINS0_14default_configENS1_22reduce_config_selectorIN6thrust23THRUST_200600_302600_NS5tupleIblNS6_9null_typeES8_S8_S8_S8_S8_S8_S8_EEEEZNS1_11reduce_implILb1ES3_NS6_12zip_iteratorINS7_INS6_11hip_rocprim26transform_input_iterator_tIbNSD_35transform_pair_of_input_iterators_tIbNS6_6detail15normal_iteratorINS6_10device_ptrIKjEEEESL_NS6_8equal_toIjEEEENSG_9not_fun_tINSD_8identityEEEEENSD_19counting_iterator_tIlEES8_S8_S8_S8_S8_S8_S8_S8_EEEEPS9_S9_NSD_9__find_if7functorIS9_EEEE10hipError_tPvRmT1_T2_T3_mT4_P12ihipStream_tbEUlT_E0_NS1_11comp_targetILNS1_3genE10ELNS1_11target_archE1200ELNS1_3gpuE4ELNS1_3repE0EEENS1_30default_config_static_selectorELNS0_4arch9wavefront6targetE0EEEvS14_
	.globl	_ZN7rocprim17ROCPRIM_400000_NS6detail17trampoline_kernelINS0_14default_configENS1_22reduce_config_selectorIN6thrust23THRUST_200600_302600_NS5tupleIblNS6_9null_typeES8_S8_S8_S8_S8_S8_S8_EEEEZNS1_11reduce_implILb1ES3_NS6_12zip_iteratorINS7_INS6_11hip_rocprim26transform_input_iterator_tIbNSD_35transform_pair_of_input_iterators_tIbNS6_6detail15normal_iteratorINS6_10device_ptrIKjEEEESL_NS6_8equal_toIjEEEENSG_9not_fun_tINSD_8identityEEEEENSD_19counting_iterator_tIlEES8_S8_S8_S8_S8_S8_S8_S8_EEEEPS9_S9_NSD_9__find_if7functorIS9_EEEE10hipError_tPvRmT1_T2_T3_mT4_P12ihipStream_tbEUlT_E0_NS1_11comp_targetILNS1_3genE10ELNS1_11target_archE1200ELNS1_3gpuE4ELNS1_3repE0EEENS1_30default_config_static_selectorELNS0_4arch9wavefront6targetE0EEEvS14_
	.p2align	8
	.type	_ZN7rocprim17ROCPRIM_400000_NS6detail17trampoline_kernelINS0_14default_configENS1_22reduce_config_selectorIN6thrust23THRUST_200600_302600_NS5tupleIblNS6_9null_typeES8_S8_S8_S8_S8_S8_S8_EEEEZNS1_11reduce_implILb1ES3_NS6_12zip_iteratorINS7_INS6_11hip_rocprim26transform_input_iterator_tIbNSD_35transform_pair_of_input_iterators_tIbNS6_6detail15normal_iteratorINS6_10device_ptrIKjEEEESL_NS6_8equal_toIjEEEENSG_9not_fun_tINSD_8identityEEEEENSD_19counting_iterator_tIlEES8_S8_S8_S8_S8_S8_S8_S8_EEEEPS9_S9_NSD_9__find_if7functorIS9_EEEE10hipError_tPvRmT1_T2_T3_mT4_P12ihipStream_tbEUlT_E0_NS1_11comp_targetILNS1_3genE10ELNS1_11target_archE1200ELNS1_3gpuE4ELNS1_3repE0EEENS1_30default_config_static_selectorELNS0_4arch9wavefront6targetE0EEEvS14_,@function
_ZN7rocprim17ROCPRIM_400000_NS6detail17trampoline_kernelINS0_14default_configENS1_22reduce_config_selectorIN6thrust23THRUST_200600_302600_NS5tupleIblNS6_9null_typeES8_S8_S8_S8_S8_S8_S8_EEEEZNS1_11reduce_implILb1ES3_NS6_12zip_iteratorINS7_INS6_11hip_rocprim26transform_input_iterator_tIbNSD_35transform_pair_of_input_iterators_tIbNS6_6detail15normal_iteratorINS6_10device_ptrIKjEEEESL_NS6_8equal_toIjEEEENSG_9not_fun_tINSD_8identityEEEEENSD_19counting_iterator_tIlEES8_S8_S8_S8_S8_S8_S8_S8_EEEEPS9_S9_NSD_9__find_if7functorIS9_EEEE10hipError_tPvRmT1_T2_T3_mT4_P12ihipStream_tbEUlT_E0_NS1_11comp_targetILNS1_3genE10ELNS1_11target_archE1200ELNS1_3gpuE4ELNS1_3repE0EEENS1_30default_config_static_selectorELNS0_4arch9wavefront6targetE0EEEvS14_: ; @_ZN7rocprim17ROCPRIM_400000_NS6detail17trampoline_kernelINS0_14default_configENS1_22reduce_config_selectorIN6thrust23THRUST_200600_302600_NS5tupleIblNS6_9null_typeES8_S8_S8_S8_S8_S8_S8_EEEEZNS1_11reduce_implILb1ES3_NS6_12zip_iteratorINS7_INS6_11hip_rocprim26transform_input_iterator_tIbNSD_35transform_pair_of_input_iterators_tIbNS6_6detail15normal_iteratorINS6_10device_ptrIKjEEEESL_NS6_8equal_toIjEEEENSG_9not_fun_tINSD_8identityEEEEENSD_19counting_iterator_tIlEES8_S8_S8_S8_S8_S8_S8_S8_EEEEPS9_S9_NSD_9__find_if7functorIS9_EEEE10hipError_tPvRmT1_T2_T3_mT4_P12ihipStream_tbEUlT_E0_NS1_11comp_targetILNS1_3genE10ELNS1_11target_archE1200ELNS1_3gpuE4ELNS1_3repE0EEENS1_30default_config_static_selectorELNS0_4arch9wavefront6targetE0EEEvS14_
; %bb.0:
	.section	.rodata,"a",@progbits
	.p2align	6, 0x0
	.amdhsa_kernel _ZN7rocprim17ROCPRIM_400000_NS6detail17trampoline_kernelINS0_14default_configENS1_22reduce_config_selectorIN6thrust23THRUST_200600_302600_NS5tupleIblNS6_9null_typeES8_S8_S8_S8_S8_S8_S8_EEEEZNS1_11reduce_implILb1ES3_NS6_12zip_iteratorINS7_INS6_11hip_rocprim26transform_input_iterator_tIbNSD_35transform_pair_of_input_iterators_tIbNS6_6detail15normal_iteratorINS6_10device_ptrIKjEEEESL_NS6_8equal_toIjEEEENSG_9not_fun_tINSD_8identityEEEEENSD_19counting_iterator_tIlEES8_S8_S8_S8_S8_S8_S8_S8_EEEEPS9_S9_NSD_9__find_if7functorIS9_EEEE10hipError_tPvRmT1_T2_T3_mT4_P12ihipStream_tbEUlT_E0_NS1_11comp_targetILNS1_3genE10ELNS1_11target_archE1200ELNS1_3gpuE4ELNS1_3repE0EEENS1_30default_config_static_selectorELNS0_4arch9wavefront6targetE0EEEvS14_
		.amdhsa_group_segment_fixed_size 0
		.amdhsa_private_segment_fixed_size 0
		.amdhsa_kernarg_size 104
		.amdhsa_user_sgpr_count 6
		.amdhsa_user_sgpr_private_segment_buffer 1
		.amdhsa_user_sgpr_dispatch_ptr 0
		.amdhsa_user_sgpr_queue_ptr 0
		.amdhsa_user_sgpr_kernarg_segment_ptr 1
		.amdhsa_user_sgpr_dispatch_id 0
		.amdhsa_user_sgpr_flat_scratch_init 0
		.amdhsa_user_sgpr_private_segment_size 0
		.amdhsa_wavefront_size32 1
		.amdhsa_uses_dynamic_stack 0
		.amdhsa_system_sgpr_private_segment_wavefront_offset 0
		.amdhsa_system_sgpr_workgroup_id_x 1
		.amdhsa_system_sgpr_workgroup_id_y 0
		.amdhsa_system_sgpr_workgroup_id_z 0
		.amdhsa_system_sgpr_workgroup_info 0
		.amdhsa_system_vgpr_workitem_id 0
		.amdhsa_next_free_vgpr 1
		.amdhsa_next_free_sgpr 1
		.amdhsa_reserve_vcc 0
		.amdhsa_reserve_flat_scratch 0
		.amdhsa_float_round_mode_32 0
		.amdhsa_float_round_mode_16_64 0
		.amdhsa_float_denorm_mode_32 3
		.amdhsa_float_denorm_mode_16_64 3
		.amdhsa_dx10_clamp 1
		.amdhsa_ieee_mode 1
		.amdhsa_fp16_overflow 0
		.amdhsa_workgroup_processor_mode 1
		.amdhsa_memory_ordered 1
		.amdhsa_forward_progress 1
		.amdhsa_shared_vgpr_count 0
		.amdhsa_exception_fp_ieee_invalid_op 0
		.amdhsa_exception_fp_denorm_src 0
		.amdhsa_exception_fp_ieee_div_zero 0
		.amdhsa_exception_fp_ieee_overflow 0
		.amdhsa_exception_fp_ieee_underflow 0
		.amdhsa_exception_fp_ieee_inexact 0
		.amdhsa_exception_int_div_zero 0
	.end_amdhsa_kernel
	.section	.text._ZN7rocprim17ROCPRIM_400000_NS6detail17trampoline_kernelINS0_14default_configENS1_22reduce_config_selectorIN6thrust23THRUST_200600_302600_NS5tupleIblNS6_9null_typeES8_S8_S8_S8_S8_S8_S8_EEEEZNS1_11reduce_implILb1ES3_NS6_12zip_iteratorINS7_INS6_11hip_rocprim26transform_input_iterator_tIbNSD_35transform_pair_of_input_iterators_tIbNS6_6detail15normal_iteratorINS6_10device_ptrIKjEEEESL_NS6_8equal_toIjEEEENSG_9not_fun_tINSD_8identityEEEEENSD_19counting_iterator_tIlEES8_S8_S8_S8_S8_S8_S8_S8_EEEEPS9_S9_NSD_9__find_if7functorIS9_EEEE10hipError_tPvRmT1_T2_T3_mT4_P12ihipStream_tbEUlT_E0_NS1_11comp_targetILNS1_3genE10ELNS1_11target_archE1200ELNS1_3gpuE4ELNS1_3repE0EEENS1_30default_config_static_selectorELNS0_4arch9wavefront6targetE0EEEvS14_,"axG",@progbits,_ZN7rocprim17ROCPRIM_400000_NS6detail17trampoline_kernelINS0_14default_configENS1_22reduce_config_selectorIN6thrust23THRUST_200600_302600_NS5tupleIblNS6_9null_typeES8_S8_S8_S8_S8_S8_S8_EEEEZNS1_11reduce_implILb1ES3_NS6_12zip_iteratorINS7_INS6_11hip_rocprim26transform_input_iterator_tIbNSD_35transform_pair_of_input_iterators_tIbNS6_6detail15normal_iteratorINS6_10device_ptrIKjEEEESL_NS6_8equal_toIjEEEENSG_9not_fun_tINSD_8identityEEEEENSD_19counting_iterator_tIlEES8_S8_S8_S8_S8_S8_S8_S8_EEEEPS9_S9_NSD_9__find_if7functorIS9_EEEE10hipError_tPvRmT1_T2_T3_mT4_P12ihipStream_tbEUlT_E0_NS1_11comp_targetILNS1_3genE10ELNS1_11target_archE1200ELNS1_3gpuE4ELNS1_3repE0EEENS1_30default_config_static_selectorELNS0_4arch9wavefront6targetE0EEEvS14_,comdat
.Lfunc_end157:
	.size	_ZN7rocprim17ROCPRIM_400000_NS6detail17trampoline_kernelINS0_14default_configENS1_22reduce_config_selectorIN6thrust23THRUST_200600_302600_NS5tupleIblNS6_9null_typeES8_S8_S8_S8_S8_S8_S8_EEEEZNS1_11reduce_implILb1ES3_NS6_12zip_iteratorINS7_INS6_11hip_rocprim26transform_input_iterator_tIbNSD_35transform_pair_of_input_iterators_tIbNS6_6detail15normal_iteratorINS6_10device_ptrIKjEEEESL_NS6_8equal_toIjEEEENSG_9not_fun_tINSD_8identityEEEEENSD_19counting_iterator_tIlEES8_S8_S8_S8_S8_S8_S8_S8_EEEEPS9_S9_NSD_9__find_if7functorIS9_EEEE10hipError_tPvRmT1_T2_T3_mT4_P12ihipStream_tbEUlT_E0_NS1_11comp_targetILNS1_3genE10ELNS1_11target_archE1200ELNS1_3gpuE4ELNS1_3repE0EEENS1_30default_config_static_selectorELNS0_4arch9wavefront6targetE0EEEvS14_, .Lfunc_end157-_ZN7rocprim17ROCPRIM_400000_NS6detail17trampoline_kernelINS0_14default_configENS1_22reduce_config_selectorIN6thrust23THRUST_200600_302600_NS5tupleIblNS6_9null_typeES8_S8_S8_S8_S8_S8_S8_EEEEZNS1_11reduce_implILb1ES3_NS6_12zip_iteratorINS7_INS6_11hip_rocprim26transform_input_iterator_tIbNSD_35transform_pair_of_input_iterators_tIbNS6_6detail15normal_iteratorINS6_10device_ptrIKjEEEESL_NS6_8equal_toIjEEEENSG_9not_fun_tINSD_8identityEEEEENSD_19counting_iterator_tIlEES8_S8_S8_S8_S8_S8_S8_S8_EEEEPS9_S9_NSD_9__find_if7functorIS9_EEEE10hipError_tPvRmT1_T2_T3_mT4_P12ihipStream_tbEUlT_E0_NS1_11comp_targetILNS1_3genE10ELNS1_11target_archE1200ELNS1_3gpuE4ELNS1_3repE0EEENS1_30default_config_static_selectorELNS0_4arch9wavefront6targetE0EEEvS14_
                                        ; -- End function
	.set _ZN7rocprim17ROCPRIM_400000_NS6detail17trampoline_kernelINS0_14default_configENS1_22reduce_config_selectorIN6thrust23THRUST_200600_302600_NS5tupleIblNS6_9null_typeES8_S8_S8_S8_S8_S8_S8_EEEEZNS1_11reduce_implILb1ES3_NS6_12zip_iteratorINS7_INS6_11hip_rocprim26transform_input_iterator_tIbNSD_35transform_pair_of_input_iterators_tIbNS6_6detail15normal_iteratorINS6_10device_ptrIKjEEEESL_NS6_8equal_toIjEEEENSG_9not_fun_tINSD_8identityEEEEENSD_19counting_iterator_tIlEES8_S8_S8_S8_S8_S8_S8_S8_EEEEPS9_S9_NSD_9__find_if7functorIS9_EEEE10hipError_tPvRmT1_T2_T3_mT4_P12ihipStream_tbEUlT_E0_NS1_11comp_targetILNS1_3genE10ELNS1_11target_archE1200ELNS1_3gpuE4ELNS1_3repE0EEENS1_30default_config_static_selectorELNS0_4arch9wavefront6targetE0EEEvS14_.num_vgpr, 0
	.set _ZN7rocprim17ROCPRIM_400000_NS6detail17trampoline_kernelINS0_14default_configENS1_22reduce_config_selectorIN6thrust23THRUST_200600_302600_NS5tupleIblNS6_9null_typeES8_S8_S8_S8_S8_S8_S8_EEEEZNS1_11reduce_implILb1ES3_NS6_12zip_iteratorINS7_INS6_11hip_rocprim26transform_input_iterator_tIbNSD_35transform_pair_of_input_iterators_tIbNS6_6detail15normal_iteratorINS6_10device_ptrIKjEEEESL_NS6_8equal_toIjEEEENSG_9not_fun_tINSD_8identityEEEEENSD_19counting_iterator_tIlEES8_S8_S8_S8_S8_S8_S8_S8_EEEEPS9_S9_NSD_9__find_if7functorIS9_EEEE10hipError_tPvRmT1_T2_T3_mT4_P12ihipStream_tbEUlT_E0_NS1_11comp_targetILNS1_3genE10ELNS1_11target_archE1200ELNS1_3gpuE4ELNS1_3repE0EEENS1_30default_config_static_selectorELNS0_4arch9wavefront6targetE0EEEvS14_.num_agpr, 0
	.set _ZN7rocprim17ROCPRIM_400000_NS6detail17trampoline_kernelINS0_14default_configENS1_22reduce_config_selectorIN6thrust23THRUST_200600_302600_NS5tupleIblNS6_9null_typeES8_S8_S8_S8_S8_S8_S8_EEEEZNS1_11reduce_implILb1ES3_NS6_12zip_iteratorINS7_INS6_11hip_rocprim26transform_input_iterator_tIbNSD_35transform_pair_of_input_iterators_tIbNS6_6detail15normal_iteratorINS6_10device_ptrIKjEEEESL_NS6_8equal_toIjEEEENSG_9not_fun_tINSD_8identityEEEEENSD_19counting_iterator_tIlEES8_S8_S8_S8_S8_S8_S8_S8_EEEEPS9_S9_NSD_9__find_if7functorIS9_EEEE10hipError_tPvRmT1_T2_T3_mT4_P12ihipStream_tbEUlT_E0_NS1_11comp_targetILNS1_3genE10ELNS1_11target_archE1200ELNS1_3gpuE4ELNS1_3repE0EEENS1_30default_config_static_selectorELNS0_4arch9wavefront6targetE0EEEvS14_.numbered_sgpr, 0
	.set _ZN7rocprim17ROCPRIM_400000_NS6detail17trampoline_kernelINS0_14default_configENS1_22reduce_config_selectorIN6thrust23THRUST_200600_302600_NS5tupleIblNS6_9null_typeES8_S8_S8_S8_S8_S8_S8_EEEEZNS1_11reduce_implILb1ES3_NS6_12zip_iteratorINS7_INS6_11hip_rocprim26transform_input_iterator_tIbNSD_35transform_pair_of_input_iterators_tIbNS6_6detail15normal_iteratorINS6_10device_ptrIKjEEEESL_NS6_8equal_toIjEEEENSG_9not_fun_tINSD_8identityEEEEENSD_19counting_iterator_tIlEES8_S8_S8_S8_S8_S8_S8_S8_EEEEPS9_S9_NSD_9__find_if7functorIS9_EEEE10hipError_tPvRmT1_T2_T3_mT4_P12ihipStream_tbEUlT_E0_NS1_11comp_targetILNS1_3genE10ELNS1_11target_archE1200ELNS1_3gpuE4ELNS1_3repE0EEENS1_30default_config_static_selectorELNS0_4arch9wavefront6targetE0EEEvS14_.num_named_barrier, 0
	.set _ZN7rocprim17ROCPRIM_400000_NS6detail17trampoline_kernelINS0_14default_configENS1_22reduce_config_selectorIN6thrust23THRUST_200600_302600_NS5tupleIblNS6_9null_typeES8_S8_S8_S8_S8_S8_S8_EEEEZNS1_11reduce_implILb1ES3_NS6_12zip_iteratorINS7_INS6_11hip_rocprim26transform_input_iterator_tIbNSD_35transform_pair_of_input_iterators_tIbNS6_6detail15normal_iteratorINS6_10device_ptrIKjEEEESL_NS6_8equal_toIjEEEENSG_9not_fun_tINSD_8identityEEEEENSD_19counting_iterator_tIlEES8_S8_S8_S8_S8_S8_S8_S8_EEEEPS9_S9_NSD_9__find_if7functorIS9_EEEE10hipError_tPvRmT1_T2_T3_mT4_P12ihipStream_tbEUlT_E0_NS1_11comp_targetILNS1_3genE10ELNS1_11target_archE1200ELNS1_3gpuE4ELNS1_3repE0EEENS1_30default_config_static_selectorELNS0_4arch9wavefront6targetE0EEEvS14_.private_seg_size, 0
	.set _ZN7rocprim17ROCPRIM_400000_NS6detail17trampoline_kernelINS0_14default_configENS1_22reduce_config_selectorIN6thrust23THRUST_200600_302600_NS5tupleIblNS6_9null_typeES8_S8_S8_S8_S8_S8_S8_EEEEZNS1_11reduce_implILb1ES3_NS6_12zip_iteratorINS7_INS6_11hip_rocprim26transform_input_iterator_tIbNSD_35transform_pair_of_input_iterators_tIbNS6_6detail15normal_iteratorINS6_10device_ptrIKjEEEESL_NS6_8equal_toIjEEEENSG_9not_fun_tINSD_8identityEEEEENSD_19counting_iterator_tIlEES8_S8_S8_S8_S8_S8_S8_S8_EEEEPS9_S9_NSD_9__find_if7functorIS9_EEEE10hipError_tPvRmT1_T2_T3_mT4_P12ihipStream_tbEUlT_E0_NS1_11comp_targetILNS1_3genE10ELNS1_11target_archE1200ELNS1_3gpuE4ELNS1_3repE0EEENS1_30default_config_static_selectorELNS0_4arch9wavefront6targetE0EEEvS14_.uses_vcc, 0
	.set _ZN7rocprim17ROCPRIM_400000_NS6detail17trampoline_kernelINS0_14default_configENS1_22reduce_config_selectorIN6thrust23THRUST_200600_302600_NS5tupleIblNS6_9null_typeES8_S8_S8_S8_S8_S8_S8_EEEEZNS1_11reduce_implILb1ES3_NS6_12zip_iteratorINS7_INS6_11hip_rocprim26transform_input_iterator_tIbNSD_35transform_pair_of_input_iterators_tIbNS6_6detail15normal_iteratorINS6_10device_ptrIKjEEEESL_NS6_8equal_toIjEEEENSG_9not_fun_tINSD_8identityEEEEENSD_19counting_iterator_tIlEES8_S8_S8_S8_S8_S8_S8_S8_EEEEPS9_S9_NSD_9__find_if7functorIS9_EEEE10hipError_tPvRmT1_T2_T3_mT4_P12ihipStream_tbEUlT_E0_NS1_11comp_targetILNS1_3genE10ELNS1_11target_archE1200ELNS1_3gpuE4ELNS1_3repE0EEENS1_30default_config_static_selectorELNS0_4arch9wavefront6targetE0EEEvS14_.uses_flat_scratch, 0
	.set _ZN7rocprim17ROCPRIM_400000_NS6detail17trampoline_kernelINS0_14default_configENS1_22reduce_config_selectorIN6thrust23THRUST_200600_302600_NS5tupleIblNS6_9null_typeES8_S8_S8_S8_S8_S8_S8_EEEEZNS1_11reduce_implILb1ES3_NS6_12zip_iteratorINS7_INS6_11hip_rocprim26transform_input_iterator_tIbNSD_35transform_pair_of_input_iterators_tIbNS6_6detail15normal_iteratorINS6_10device_ptrIKjEEEESL_NS6_8equal_toIjEEEENSG_9not_fun_tINSD_8identityEEEEENSD_19counting_iterator_tIlEES8_S8_S8_S8_S8_S8_S8_S8_EEEEPS9_S9_NSD_9__find_if7functorIS9_EEEE10hipError_tPvRmT1_T2_T3_mT4_P12ihipStream_tbEUlT_E0_NS1_11comp_targetILNS1_3genE10ELNS1_11target_archE1200ELNS1_3gpuE4ELNS1_3repE0EEENS1_30default_config_static_selectorELNS0_4arch9wavefront6targetE0EEEvS14_.has_dyn_sized_stack, 0
	.set _ZN7rocprim17ROCPRIM_400000_NS6detail17trampoline_kernelINS0_14default_configENS1_22reduce_config_selectorIN6thrust23THRUST_200600_302600_NS5tupleIblNS6_9null_typeES8_S8_S8_S8_S8_S8_S8_EEEEZNS1_11reduce_implILb1ES3_NS6_12zip_iteratorINS7_INS6_11hip_rocprim26transform_input_iterator_tIbNSD_35transform_pair_of_input_iterators_tIbNS6_6detail15normal_iteratorINS6_10device_ptrIKjEEEESL_NS6_8equal_toIjEEEENSG_9not_fun_tINSD_8identityEEEEENSD_19counting_iterator_tIlEES8_S8_S8_S8_S8_S8_S8_S8_EEEEPS9_S9_NSD_9__find_if7functorIS9_EEEE10hipError_tPvRmT1_T2_T3_mT4_P12ihipStream_tbEUlT_E0_NS1_11comp_targetILNS1_3genE10ELNS1_11target_archE1200ELNS1_3gpuE4ELNS1_3repE0EEENS1_30default_config_static_selectorELNS0_4arch9wavefront6targetE0EEEvS14_.has_recursion, 0
	.set _ZN7rocprim17ROCPRIM_400000_NS6detail17trampoline_kernelINS0_14default_configENS1_22reduce_config_selectorIN6thrust23THRUST_200600_302600_NS5tupleIblNS6_9null_typeES8_S8_S8_S8_S8_S8_S8_EEEEZNS1_11reduce_implILb1ES3_NS6_12zip_iteratorINS7_INS6_11hip_rocprim26transform_input_iterator_tIbNSD_35transform_pair_of_input_iterators_tIbNS6_6detail15normal_iteratorINS6_10device_ptrIKjEEEESL_NS6_8equal_toIjEEEENSG_9not_fun_tINSD_8identityEEEEENSD_19counting_iterator_tIlEES8_S8_S8_S8_S8_S8_S8_S8_EEEEPS9_S9_NSD_9__find_if7functorIS9_EEEE10hipError_tPvRmT1_T2_T3_mT4_P12ihipStream_tbEUlT_E0_NS1_11comp_targetILNS1_3genE10ELNS1_11target_archE1200ELNS1_3gpuE4ELNS1_3repE0EEENS1_30default_config_static_selectorELNS0_4arch9wavefront6targetE0EEEvS14_.has_indirect_call, 0
	.section	.AMDGPU.csdata,"",@progbits
; Kernel info:
; codeLenInByte = 0
; TotalNumSgprs: 0
; NumVgprs: 0
; ScratchSize: 0
; MemoryBound: 0
; FloatMode: 240
; IeeeMode: 1
; LDSByteSize: 0 bytes/workgroup (compile time only)
; SGPRBlocks: 0
; VGPRBlocks: 0
; NumSGPRsForWavesPerEU: 1
; NumVGPRsForWavesPerEU: 1
; Occupancy: 16
; WaveLimiterHint : 0
; COMPUTE_PGM_RSRC2:SCRATCH_EN: 0
; COMPUTE_PGM_RSRC2:USER_SGPR: 6
; COMPUTE_PGM_RSRC2:TRAP_HANDLER: 0
; COMPUTE_PGM_RSRC2:TGID_X_EN: 1
; COMPUTE_PGM_RSRC2:TGID_Y_EN: 0
; COMPUTE_PGM_RSRC2:TGID_Z_EN: 0
; COMPUTE_PGM_RSRC2:TIDIG_COMP_CNT: 0
	.section	.text._ZN7rocprim17ROCPRIM_400000_NS6detail17trampoline_kernelINS0_14default_configENS1_22reduce_config_selectorIN6thrust23THRUST_200600_302600_NS5tupleIblNS6_9null_typeES8_S8_S8_S8_S8_S8_S8_EEEEZNS1_11reduce_implILb1ES3_NS6_12zip_iteratorINS7_INS6_11hip_rocprim26transform_input_iterator_tIbNSD_35transform_pair_of_input_iterators_tIbNS6_6detail15normal_iteratorINS6_10device_ptrIKjEEEESL_NS6_8equal_toIjEEEENSG_9not_fun_tINSD_8identityEEEEENSD_19counting_iterator_tIlEES8_S8_S8_S8_S8_S8_S8_S8_EEEEPS9_S9_NSD_9__find_if7functorIS9_EEEE10hipError_tPvRmT1_T2_T3_mT4_P12ihipStream_tbEUlT_E0_NS1_11comp_targetILNS1_3genE9ELNS1_11target_archE1100ELNS1_3gpuE3ELNS1_3repE0EEENS1_30default_config_static_selectorELNS0_4arch9wavefront6targetE0EEEvS14_,"axG",@progbits,_ZN7rocprim17ROCPRIM_400000_NS6detail17trampoline_kernelINS0_14default_configENS1_22reduce_config_selectorIN6thrust23THRUST_200600_302600_NS5tupleIblNS6_9null_typeES8_S8_S8_S8_S8_S8_S8_EEEEZNS1_11reduce_implILb1ES3_NS6_12zip_iteratorINS7_INS6_11hip_rocprim26transform_input_iterator_tIbNSD_35transform_pair_of_input_iterators_tIbNS6_6detail15normal_iteratorINS6_10device_ptrIKjEEEESL_NS6_8equal_toIjEEEENSG_9not_fun_tINSD_8identityEEEEENSD_19counting_iterator_tIlEES8_S8_S8_S8_S8_S8_S8_S8_EEEEPS9_S9_NSD_9__find_if7functorIS9_EEEE10hipError_tPvRmT1_T2_T3_mT4_P12ihipStream_tbEUlT_E0_NS1_11comp_targetILNS1_3genE9ELNS1_11target_archE1100ELNS1_3gpuE3ELNS1_3repE0EEENS1_30default_config_static_selectorELNS0_4arch9wavefront6targetE0EEEvS14_,comdat
	.protected	_ZN7rocprim17ROCPRIM_400000_NS6detail17trampoline_kernelINS0_14default_configENS1_22reduce_config_selectorIN6thrust23THRUST_200600_302600_NS5tupleIblNS6_9null_typeES8_S8_S8_S8_S8_S8_S8_EEEEZNS1_11reduce_implILb1ES3_NS6_12zip_iteratorINS7_INS6_11hip_rocprim26transform_input_iterator_tIbNSD_35transform_pair_of_input_iterators_tIbNS6_6detail15normal_iteratorINS6_10device_ptrIKjEEEESL_NS6_8equal_toIjEEEENSG_9not_fun_tINSD_8identityEEEEENSD_19counting_iterator_tIlEES8_S8_S8_S8_S8_S8_S8_S8_EEEEPS9_S9_NSD_9__find_if7functorIS9_EEEE10hipError_tPvRmT1_T2_T3_mT4_P12ihipStream_tbEUlT_E0_NS1_11comp_targetILNS1_3genE9ELNS1_11target_archE1100ELNS1_3gpuE3ELNS1_3repE0EEENS1_30default_config_static_selectorELNS0_4arch9wavefront6targetE0EEEvS14_ ; -- Begin function _ZN7rocprim17ROCPRIM_400000_NS6detail17trampoline_kernelINS0_14default_configENS1_22reduce_config_selectorIN6thrust23THRUST_200600_302600_NS5tupleIblNS6_9null_typeES8_S8_S8_S8_S8_S8_S8_EEEEZNS1_11reduce_implILb1ES3_NS6_12zip_iteratorINS7_INS6_11hip_rocprim26transform_input_iterator_tIbNSD_35transform_pair_of_input_iterators_tIbNS6_6detail15normal_iteratorINS6_10device_ptrIKjEEEESL_NS6_8equal_toIjEEEENSG_9not_fun_tINSD_8identityEEEEENSD_19counting_iterator_tIlEES8_S8_S8_S8_S8_S8_S8_S8_EEEEPS9_S9_NSD_9__find_if7functorIS9_EEEE10hipError_tPvRmT1_T2_T3_mT4_P12ihipStream_tbEUlT_E0_NS1_11comp_targetILNS1_3genE9ELNS1_11target_archE1100ELNS1_3gpuE3ELNS1_3repE0EEENS1_30default_config_static_selectorELNS0_4arch9wavefront6targetE0EEEvS14_
	.globl	_ZN7rocprim17ROCPRIM_400000_NS6detail17trampoline_kernelINS0_14default_configENS1_22reduce_config_selectorIN6thrust23THRUST_200600_302600_NS5tupleIblNS6_9null_typeES8_S8_S8_S8_S8_S8_S8_EEEEZNS1_11reduce_implILb1ES3_NS6_12zip_iteratorINS7_INS6_11hip_rocprim26transform_input_iterator_tIbNSD_35transform_pair_of_input_iterators_tIbNS6_6detail15normal_iteratorINS6_10device_ptrIKjEEEESL_NS6_8equal_toIjEEEENSG_9not_fun_tINSD_8identityEEEEENSD_19counting_iterator_tIlEES8_S8_S8_S8_S8_S8_S8_S8_EEEEPS9_S9_NSD_9__find_if7functorIS9_EEEE10hipError_tPvRmT1_T2_T3_mT4_P12ihipStream_tbEUlT_E0_NS1_11comp_targetILNS1_3genE9ELNS1_11target_archE1100ELNS1_3gpuE3ELNS1_3repE0EEENS1_30default_config_static_selectorELNS0_4arch9wavefront6targetE0EEEvS14_
	.p2align	8
	.type	_ZN7rocprim17ROCPRIM_400000_NS6detail17trampoline_kernelINS0_14default_configENS1_22reduce_config_selectorIN6thrust23THRUST_200600_302600_NS5tupleIblNS6_9null_typeES8_S8_S8_S8_S8_S8_S8_EEEEZNS1_11reduce_implILb1ES3_NS6_12zip_iteratorINS7_INS6_11hip_rocprim26transform_input_iterator_tIbNSD_35transform_pair_of_input_iterators_tIbNS6_6detail15normal_iteratorINS6_10device_ptrIKjEEEESL_NS6_8equal_toIjEEEENSG_9not_fun_tINSD_8identityEEEEENSD_19counting_iterator_tIlEES8_S8_S8_S8_S8_S8_S8_S8_EEEEPS9_S9_NSD_9__find_if7functorIS9_EEEE10hipError_tPvRmT1_T2_T3_mT4_P12ihipStream_tbEUlT_E0_NS1_11comp_targetILNS1_3genE9ELNS1_11target_archE1100ELNS1_3gpuE3ELNS1_3repE0EEENS1_30default_config_static_selectorELNS0_4arch9wavefront6targetE0EEEvS14_,@function
_ZN7rocprim17ROCPRIM_400000_NS6detail17trampoline_kernelINS0_14default_configENS1_22reduce_config_selectorIN6thrust23THRUST_200600_302600_NS5tupleIblNS6_9null_typeES8_S8_S8_S8_S8_S8_S8_EEEEZNS1_11reduce_implILb1ES3_NS6_12zip_iteratorINS7_INS6_11hip_rocprim26transform_input_iterator_tIbNSD_35transform_pair_of_input_iterators_tIbNS6_6detail15normal_iteratorINS6_10device_ptrIKjEEEESL_NS6_8equal_toIjEEEENSG_9not_fun_tINSD_8identityEEEEENSD_19counting_iterator_tIlEES8_S8_S8_S8_S8_S8_S8_S8_EEEEPS9_S9_NSD_9__find_if7functorIS9_EEEE10hipError_tPvRmT1_T2_T3_mT4_P12ihipStream_tbEUlT_E0_NS1_11comp_targetILNS1_3genE9ELNS1_11target_archE1100ELNS1_3gpuE3ELNS1_3repE0EEENS1_30default_config_static_selectorELNS0_4arch9wavefront6targetE0EEEvS14_: ; @_ZN7rocprim17ROCPRIM_400000_NS6detail17trampoline_kernelINS0_14default_configENS1_22reduce_config_selectorIN6thrust23THRUST_200600_302600_NS5tupleIblNS6_9null_typeES8_S8_S8_S8_S8_S8_S8_EEEEZNS1_11reduce_implILb1ES3_NS6_12zip_iteratorINS7_INS6_11hip_rocprim26transform_input_iterator_tIbNSD_35transform_pair_of_input_iterators_tIbNS6_6detail15normal_iteratorINS6_10device_ptrIKjEEEESL_NS6_8equal_toIjEEEENSG_9not_fun_tINSD_8identityEEEEENSD_19counting_iterator_tIlEES8_S8_S8_S8_S8_S8_S8_S8_EEEEPS9_S9_NSD_9__find_if7functorIS9_EEEE10hipError_tPvRmT1_T2_T3_mT4_P12ihipStream_tbEUlT_E0_NS1_11comp_targetILNS1_3genE9ELNS1_11target_archE1100ELNS1_3gpuE3ELNS1_3repE0EEENS1_30default_config_static_selectorELNS0_4arch9wavefront6targetE0EEEvS14_
; %bb.0:
	.section	.rodata,"a",@progbits
	.p2align	6, 0x0
	.amdhsa_kernel _ZN7rocprim17ROCPRIM_400000_NS6detail17trampoline_kernelINS0_14default_configENS1_22reduce_config_selectorIN6thrust23THRUST_200600_302600_NS5tupleIblNS6_9null_typeES8_S8_S8_S8_S8_S8_S8_EEEEZNS1_11reduce_implILb1ES3_NS6_12zip_iteratorINS7_INS6_11hip_rocprim26transform_input_iterator_tIbNSD_35transform_pair_of_input_iterators_tIbNS6_6detail15normal_iteratorINS6_10device_ptrIKjEEEESL_NS6_8equal_toIjEEEENSG_9not_fun_tINSD_8identityEEEEENSD_19counting_iterator_tIlEES8_S8_S8_S8_S8_S8_S8_S8_EEEEPS9_S9_NSD_9__find_if7functorIS9_EEEE10hipError_tPvRmT1_T2_T3_mT4_P12ihipStream_tbEUlT_E0_NS1_11comp_targetILNS1_3genE9ELNS1_11target_archE1100ELNS1_3gpuE3ELNS1_3repE0EEENS1_30default_config_static_selectorELNS0_4arch9wavefront6targetE0EEEvS14_
		.amdhsa_group_segment_fixed_size 0
		.amdhsa_private_segment_fixed_size 0
		.amdhsa_kernarg_size 104
		.amdhsa_user_sgpr_count 6
		.amdhsa_user_sgpr_private_segment_buffer 1
		.amdhsa_user_sgpr_dispatch_ptr 0
		.amdhsa_user_sgpr_queue_ptr 0
		.amdhsa_user_sgpr_kernarg_segment_ptr 1
		.amdhsa_user_sgpr_dispatch_id 0
		.amdhsa_user_sgpr_flat_scratch_init 0
		.amdhsa_user_sgpr_private_segment_size 0
		.amdhsa_wavefront_size32 1
		.amdhsa_uses_dynamic_stack 0
		.amdhsa_system_sgpr_private_segment_wavefront_offset 0
		.amdhsa_system_sgpr_workgroup_id_x 1
		.amdhsa_system_sgpr_workgroup_id_y 0
		.amdhsa_system_sgpr_workgroup_id_z 0
		.amdhsa_system_sgpr_workgroup_info 0
		.amdhsa_system_vgpr_workitem_id 0
		.amdhsa_next_free_vgpr 1
		.amdhsa_next_free_sgpr 1
		.amdhsa_reserve_vcc 0
		.amdhsa_reserve_flat_scratch 0
		.amdhsa_float_round_mode_32 0
		.amdhsa_float_round_mode_16_64 0
		.amdhsa_float_denorm_mode_32 3
		.amdhsa_float_denorm_mode_16_64 3
		.amdhsa_dx10_clamp 1
		.amdhsa_ieee_mode 1
		.amdhsa_fp16_overflow 0
		.amdhsa_workgroup_processor_mode 1
		.amdhsa_memory_ordered 1
		.amdhsa_forward_progress 1
		.amdhsa_shared_vgpr_count 0
		.amdhsa_exception_fp_ieee_invalid_op 0
		.amdhsa_exception_fp_denorm_src 0
		.amdhsa_exception_fp_ieee_div_zero 0
		.amdhsa_exception_fp_ieee_overflow 0
		.amdhsa_exception_fp_ieee_underflow 0
		.amdhsa_exception_fp_ieee_inexact 0
		.amdhsa_exception_int_div_zero 0
	.end_amdhsa_kernel
	.section	.text._ZN7rocprim17ROCPRIM_400000_NS6detail17trampoline_kernelINS0_14default_configENS1_22reduce_config_selectorIN6thrust23THRUST_200600_302600_NS5tupleIblNS6_9null_typeES8_S8_S8_S8_S8_S8_S8_EEEEZNS1_11reduce_implILb1ES3_NS6_12zip_iteratorINS7_INS6_11hip_rocprim26transform_input_iterator_tIbNSD_35transform_pair_of_input_iterators_tIbNS6_6detail15normal_iteratorINS6_10device_ptrIKjEEEESL_NS6_8equal_toIjEEEENSG_9not_fun_tINSD_8identityEEEEENSD_19counting_iterator_tIlEES8_S8_S8_S8_S8_S8_S8_S8_EEEEPS9_S9_NSD_9__find_if7functorIS9_EEEE10hipError_tPvRmT1_T2_T3_mT4_P12ihipStream_tbEUlT_E0_NS1_11comp_targetILNS1_3genE9ELNS1_11target_archE1100ELNS1_3gpuE3ELNS1_3repE0EEENS1_30default_config_static_selectorELNS0_4arch9wavefront6targetE0EEEvS14_,"axG",@progbits,_ZN7rocprim17ROCPRIM_400000_NS6detail17trampoline_kernelINS0_14default_configENS1_22reduce_config_selectorIN6thrust23THRUST_200600_302600_NS5tupleIblNS6_9null_typeES8_S8_S8_S8_S8_S8_S8_EEEEZNS1_11reduce_implILb1ES3_NS6_12zip_iteratorINS7_INS6_11hip_rocprim26transform_input_iterator_tIbNSD_35transform_pair_of_input_iterators_tIbNS6_6detail15normal_iteratorINS6_10device_ptrIKjEEEESL_NS6_8equal_toIjEEEENSG_9not_fun_tINSD_8identityEEEEENSD_19counting_iterator_tIlEES8_S8_S8_S8_S8_S8_S8_S8_EEEEPS9_S9_NSD_9__find_if7functorIS9_EEEE10hipError_tPvRmT1_T2_T3_mT4_P12ihipStream_tbEUlT_E0_NS1_11comp_targetILNS1_3genE9ELNS1_11target_archE1100ELNS1_3gpuE3ELNS1_3repE0EEENS1_30default_config_static_selectorELNS0_4arch9wavefront6targetE0EEEvS14_,comdat
.Lfunc_end158:
	.size	_ZN7rocprim17ROCPRIM_400000_NS6detail17trampoline_kernelINS0_14default_configENS1_22reduce_config_selectorIN6thrust23THRUST_200600_302600_NS5tupleIblNS6_9null_typeES8_S8_S8_S8_S8_S8_S8_EEEEZNS1_11reduce_implILb1ES3_NS6_12zip_iteratorINS7_INS6_11hip_rocprim26transform_input_iterator_tIbNSD_35transform_pair_of_input_iterators_tIbNS6_6detail15normal_iteratorINS6_10device_ptrIKjEEEESL_NS6_8equal_toIjEEEENSG_9not_fun_tINSD_8identityEEEEENSD_19counting_iterator_tIlEES8_S8_S8_S8_S8_S8_S8_S8_EEEEPS9_S9_NSD_9__find_if7functorIS9_EEEE10hipError_tPvRmT1_T2_T3_mT4_P12ihipStream_tbEUlT_E0_NS1_11comp_targetILNS1_3genE9ELNS1_11target_archE1100ELNS1_3gpuE3ELNS1_3repE0EEENS1_30default_config_static_selectorELNS0_4arch9wavefront6targetE0EEEvS14_, .Lfunc_end158-_ZN7rocprim17ROCPRIM_400000_NS6detail17trampoline_kernelINS0_14default_configENS1_22reduce_config_selectorIN6thrust23THRUST_200600_302600_NS5tupleIblNS6_9null_typeES8_S8_S8_S8_S8_S8_S8_EEEEZNS1_11reduce_implILb1ES3_NS6_12zip_iteratorINS7_INS6_11hip_rocprim26transform_input_iterator_tIbNSD_35transform_pair_of_input_iterators_tIbNS6_6detail15normal_iteratorINS6_10device_ptrIKjEEEESL_NS6_8equal_toIjEEEENSG_9not_fun_tINSD_8identityEEEEENSD_19counting_iterator_tIlEES8_S8_S8_S8_S8_S8_S8_S8_EEEEPS9_S9_NSD_9__find_if7functorIS9_EEEE10hipError_tPvRmT1_T2_T3_mT4_P12ihipStream_tbEUlT_E0_NS1_11comp_targetILNS1_3genE9ELNS1_11target_archE1100ELNS1_3gpuE3ELNS1_3repE0EEENS1_30default_config_static_selectorELNS0_4arch9wavefront6targetE0EEEvS14_
                                        ; -- End function
	.set _ZN7rocprim17ROCPRIM_400000_NS6detail17trampoline_kernelINS0_14default_configENS1_22reduce_config_selectorIN6thrust23THRUST_200600_302600_NS5tupleIblNS6_9null_typeES8_S8_S8_S8_S8_S8_S8_EEEEZNS1_11reduce_implILb1ES3_NS6_12zip_iteratorINS7_INS6_11hip_rocprim26transform_input_iterator_tIbNSD_35transform_pair_of_input_iterators_tIbNS6_6detail15normal_iteratorINS6_10device_ptrIKjEEEESL_NS6_8equal_toIjEEEENSG_9not_fun_tINSD_8identityEEEEENSD_19counting_iterator_tIlEES8_S8_S8_S8_S8_S8_S8_S8_EEEEPS9_S9_NSD_9__find_if7functorIS9_EEEE10hipError_tPvRmT1_T2_T3_mT4_P12ihipStream_tbEUlT_E0_NS1_11comp_targetILNS1_3genE9ELNS1_11target_archE1100ELNS1_3gpuE3ELNS1_3repE0EEENS1_30default_config_static_selectorELNS0_4arch9wavefront6targetE0EEEvS14_.num_vgpr, 0
	.set _ZN7rocprim17ROCPRIM_400000_NS6detail17trampoline_kernelINS0_14default_configENS1_22reduce_config_selectorIN6thrust23THRUST_200600_302600_NS5tupleIblNS6_9null_typeES8_S8_S8_S8_S8_S8_S8_EEEEZNS1_11reduce_implILb1ES3_NS6_12zip_iteratorINS7_INS6_11hip_rocprim26transform_input_iterator_tIbNSD_35transform_pair_of_input_iterators_tIbNS6_6detail15normal_iteratorINS6_10device_ptrIKjEEEESL_NS6_8equal_toIjEEEENSG_9not_fun_tINSD_8identityEEEEENSD_19counting_iterator_tIlEES8_S8_S8_S8_S8_S8_S8_S8_EEEEPS9_S9_NSD_9__find_if7functorIS9_EEEE10hipError_tPvRmT1_T2_T3_mT4_P12ihipStream_tbEUlT_E0_NS1_11comp_targetILNS1_3genE9ELNS1_11target_archE1100ELNS1_3gpuE3ELNS1_3repE0EEENS1_30default_config_static_selectorELNS0_4arch9wavefront6targetE0EEEvS14_.num_agpr, 0
	.set _ZN7rocprim17ROCPRIM_400000_NS6detail17trampoline_kernelINS0_14default_configENS1_22reduce_config_selectorIN6thrust23THRUST_200600_302600_NS5tupleIblNS6_9null_typeES8_S8_S8_S8_S8_S8_S8_EEEEZNS1_11reduce_implILb1ES3_NS6_12zip_iteratorINS7_INS6_11hip_rocprim26transform_input_iterator_tIbNSD_35transform_pair_of_input_iterators_tIbNS6_6detail15normal_iteratorINS6_10device_ptrIKjEEEESL_NS6_8equal_toIjEEEENSG_9not_fun_tINSD_8identityEEEEENSD_19counting_iterator_tIlEES8_S8_S8_S8_S8_S8_S8_S8_EEEEPS9_S9_NSD_9__find_if7functorIS9_EEEE10hipError_tPvRmT1_T2_T3_mT4_P12ihipStream_tbEUlT_E0_NS1_11comp_targetILNS1_3genE9ELNS1_11target_archE1100ELNS1_3gpuE3ELNS1_3repE0EEENS1_30default_config_static_selectorELNS0_4arch9wavefront6targetE0EEEvS14_.numbered_sgpr, 0
	.set _ZN7rocprim17ROCPRIM_400000_NS6detail17trampoline_kernelINS0_14default_configENS1_22reduce_config_selectorIN6thrust23THRUST_200600_302600_NS5tupleIblNS6_9null_typeES8_S8_S8_S8_S8_S8_S8_EEEEZNS1_11reduce_implILb1ES3_NS6_12zip_iteratorINS7_INS6_11hip_rocprim26transform_input_iterator_tIbNSD_35transform_pair_of_input_iterators_tIbNS6_6detail15normal_iteratorINS6_10device_ptrIKjEEEESL_NS6_8equal_toIjEEEENSG_9not_fun_tINSD_8identityEEEEENSD_19counting_iterator_tIlEES8_S8_S8_S8_S8_S8_S8_S8_EEEEPS9_S9_NSD_9__find_if7functorIS9_EEEE10hipError_tPvRmT1_T2_T3_mT4_P12ihipStream_tbEUlT_E0_NS1_11comp_targetILNS1_3genE9ELNS1_11target_archE1100ELNS1_3gpuE3ELNS1_3repE0EEENS1_30default_config_static_selectorELNS0_4arch9wavefront6targetE0EEEvS14_.num_named_barrier, 0
	.set _ZN7rocprim17ROCPRIM_400000_NS6detail17trampoline_kernelINS0_14default_configENS1_22reduce_config_selectorIN6thrust23THRUST_200600_302600_NS5tupleIblNS6_9null_typeES8_S8_S8_S8_S8_S8_S8_EEEEZNS1_11reduce_implILb1ES3_NS6_12zip_iteratorINS7_INS6_11hip_rocprim26transform_input_iterator_tIbNSD_35transform_pair_of_input_iterators_tIbNS6_6detail15normal_iteratorINS6_10device_ptrIKjEEEESL_NS6_8equal_toIjEEEENSG_9not_fun_tINSD_8identityEEEEENSD_19counting_iterator_tIlEES8_S8_S8_S8_S8_S8_S8_S8_EEEEPS9_S9_NSD_9__find_if7functorIS9_EEEE10hipError_tPvRmT1_T2_T3_mT4_P12ihipStream_tbEUlT_E0_NS1_11comp_targetILNS1_3genE9ELNS1_11target_archE1100ELNS1_3gpuE3ELNS1_3repE0EEENS1_30default_config_static_selectorELNS0_4arch9wavefront6targetE0EEEvS14_.private_seg_size, 0
	.set _ZN7rocprim17ROCPRIM_400000_NS6detail17trampoline_kernelINS0_14default_configENS1_22reduce_config_selectorIN6thrust23THRUST_200600_302600_NS5tupleIblNS6_9null_typeES8_S8_S8_S8_S8_S8_S8_EEEEZNS1_11reduce_implILb1ES3_NS6_12zip_iteratorINS7_INS6_11hip_rocprim26transform_input_iterator_tIbNSD_35transform_pair_of_input_iterators_tIbNS6_6detail15normal_iteratorINS6_10device_ptrIKjEEEESL_NS6_8equal_toIjEEEENSG_9not_fun_tINSD_8identityEEEEENSD_19counting_iterator_tIlEES8_S8_S8_S8_S8_S8_S8_S8_EEEEPS9_S9_NSD_9__find_if7functorIS9_EEEE10hipError_tPvRmT1_T2_T3_mT4_P12ihipStream_tbEUlT_E0_NS1_11comp_targetILNS1_3genE9ELNS1_11target_archE1100ELNS1_3gpuE3ELNS1_3repE0EEENS1_30default_config_static_selectorELNS0_4arch9wavefront6targetE0EEEvS14_.uses_vcc, 0
	.set _ZN7rocprim17ROCPRIM_400000_NS6detail17trampoline_kernelINS0_14default_configENS1_22reduce_config_selectorIN6thrust23THRUST_200600_302600_NS5tupleIblNS6_9null_typeES8_S8_S8_S8_S8_S8_S8_EEEEZNS1_11reduce_implILb1ES3_NS6_12zip_iteratorINS7_INS6_11hip_rocprim26transform_input_iterator_tIbNSD_35transform_pair_of_input_iterators_tIbNS6_6detail15normal_iteratorINS6_10device_ptrIKjEEEESL_NS6_8equal_toIjEEEENSG_9not_fun_tINSD_8identityEEEEENSD_19counting_iterator_tIlEES8_S8_S8_S8_S8_S8_S8_S8_EEEEPS9_S9_NSD_9__find_if7functorIS9_EEEE10hipError_tPvRmT1_T2_T3_mT4_P12ihipStream_tbEUlT_E0_NS1_11comp_targetILNS1_3genE9ELNS1_11target_archE1100ELNS1_3gpuE3ELNS1_3repE0EEENS1_30default_config_static_selectorELNS0_4arch9wavefront6targetE0EEEvS14_.uses_flat_scratch, 0
	.set _ZN7rocprim17ROCPRIM_400000_NS6detail17trampoline_kernelINS0_14default_configENS1_22reduce_config_selectorIN6thrust23THRUST_200600_302600_NS5tupleIblNS6_9null_typeES8_S8_S8_S8_S8_S8_S8_EEEEZNS1_11reduce_implILb1ES3_NS6_12zip_iteratorINS7_INS6_11hip_rocprim26transform_input_iterator_tIbNSD_35transform_pair_of_input_iterators_tIbNS6_6detail15normal_iteratorINS6_10device_ptrIKjEEEESL_NS6_8equal_toIjEEEENSG_9not_fun_tINSD_8identityEEEEENSD_19counting_iterator_tIlEES8_S8_S8_S8_S8_S8_S8_S8_EEEEPS9_S9_NSD_9__find_if7functorIS9_EEEE10hipError_tPvRmT1_T2_T3_mT4_P12ihipStream_tbEUlT_E0_NS1_11comp_targetILNS1_3genE9ELNS1_11target_archE1100ELNS1_3gpuE3ELNS1_3repE0EEENS1_30default_config_static_selectorELNS0_4arch9wavefront6targetE0EEEvS14_.has_dyn_sized_stack, 0
	.set _ZN7rocprim17ROCPRIM_400000_NS6detail17trampoline_kernelINS0_14default_configENS1_22reduce_config_selectorIN6thrust23THRUST_200600_302600_NS5tupleIblNS6_9null_typeES8_S8_S8_S8_S8_S8_S8_EEEEZNS1_11reduce_implILb1ES3_NS6_12zip_iteratorINS7_INS6_11hip_rocprim26transform_input_iterator_tIbNSD_35transform_pair_of_input_iterators_tIbNS6_6detail15normal_iteratorINS6_10device_ptrIKjEEEESL_NS6_8equal_toIjEEEENSG_9not_fun_tINSD_8identityEEEEENSD_19counting_iterator_tIlEES8_S8_S8_S8_S8_S8_S8_S8_EEEEPS9_S9_NSD_9__find_if7functorIS9_EEEE10hipError_tPvRmT1_T2_T3_mT4_P12ihipStream_tbEUlT_E0_NS1_11comp_targetILNS1_3genE9ELNS1_11target_archE1100ELNS1_3gpuE3ELNS1_3repE0EEENS1_30default_config_static_selectorELNS0_4arch9wavefront6targetE0EEEvS14_.has_recursion, 0
	.set _ZN7rocprim17ROCPRIM_400000_NS6detail17trampoline_kernelINS0_14default_configENS1_22reduce_config_selectorIN6thrust23THRUST_200600_302600_NS5tupleIblNS6_9null_typeES8_S8_S8_S8_S8_S8_S8_EEEEZNS1_11reduce_implILb1ES3_NS6_12zip_iteratorINS7_INS6_11hip_rocprim26transform_input_iterator_tIbNSD_35transform_pair_of_input_iterators_tIbNS6_6detail15normal_iteratorINS6_10device_ptrIKjEEEESL_NS6_8equal_toIjEEEENSG_9not_fun_tINSD_8identityEEEEENSD_19counting_iterator_tIlEES8_S8_S8_S8_S8_S8_S8_S8_EEEEPS9_S9_NSD_9__find_if7functorIS9_EEEE10hipError_tPvRmT1_T2_T3_mT4_P12ihipStream_tbEUlT_E0_NS1_11comp_targetILNS1_3genE9ELNS1_11target_archE1100ELNS1_3gpuE3ELNS1_3repE0EEENS1_30default_config_static_selectorELNS0_4arch9wavefront6targetE0EEEvS14_.has_indirect_call, 0
	.section	.AMDGPU.csdata,"",@progbits
; Kernel info:
; codeLenInByte = 0
; TotalNumSgprs: 0
; NumVgprs: 0
; ScratchSize: 0
; MemoryBound: 0
; FloatMode: 240
; IeeeMode: 1
; LDSByteSize: 0 bytes/workgroup (compile time only)
; SGPRBlocks: 0
; VGPRBlocks: 0
; NumSGPRsForWavesPerEU: 1
; NumVGPRsForWavesPerEU: 1
; Occupancy: 16
; WaveLimiterHint : 0
; COMPUTE_PGM_RSRC2:SCRATCH_EN: 0
; COMPUTE_PGM_RSRC2:USER_SGPR: 6
; COMPUTE_PGM_RSRC2:TRAP_HANDLER: 0
; COMPUTE_PGM_RSRC2:TGID_X_EN: 1
; COMPUTE_PGM_RSRC2:TGID_Y_EN: 0
; COMPUTE_PGM_RSRC2:TGID_Z_EN: 0
; COMPUTE_PGM_RSRC2:TIDIG_COMP_CNT: 0
	.section	.text._ZN7rocprim17ROCPRIM_400000_NS6detail17trampoline_kernelINS0_14default_configENS1_22reduce_config_selectorIN6thrust23THRUST_200600_302600_NS5tupleIblNS6_9null_typeES8_S8_S8_S8_S8_S8_S8_EEEEZNS1_11reduce_implILb1ES3_NS6_12zip_iteratorINS7_INS6_11hip_rocprim26transform_input_iterator_tIbNSD_35transform_pair_of_input_iterators_tIbNS6_6detail15normal_iteratorINS6_10device_ptrIKjEEEESL_NS6_8equal_toIjEEEENSG_9not_fun_tINSD_8identityEEEEENSD_19counting_iterator_tIlEES8_S8_S8_S8_S8_S8_S8_S8_EEEEPS9_S9_NSD_9__find_if7functorIS9_EEEE10hipError_tPvRmT1_T2_T3_mT4_P12ihipStream_tbEUlT_E0_NS1_11comp_targetILNS1_3genE8ELNS1_11target_archE1030ELNS1_3gpuE2ELNS1_3repE0EEENS1_30default_config_static_selectorELNS0_4arch9wavefront6targetE0EEEvS14_,"axG",@progbits,_ZN7rocprim17ROCPRIM_400000_NS6detail17trampoline_kernelINS0_14default_configENS1_22reduce_config_selectorIN6thrust23THRUST_200600_302600_NS5tupleIblNS6_9null_typeES8_S8_S8_S8_S8_S8_S8_EEEEZNS1_11reduce_implILb1ES3_NS6_12zip_iteratorINS7_INS6_11hip_rocprim26transform_input_iterator_tIbNSD_35transform_pair_of_input_iterators_tIbNS6_6detail15normal_iteratorINS6_10device_ptrIKjEEEESL_NS6_8equal_toIjEEEENSG_9not_fun_tINSD_8identityEEEEENSD_19counting_iterator_tIlEES8_S8_S8_S8_S8_S8_S8_S8_EEEEPS9_S9_NSD_9__find_if7functorIS9_EEEE10hipError_tPvRmT1_T2_T3_mT4_P12ihipStream_tbEUlT_E0_NS1_11comp_targetILNS1_3genE8ELNS1_11target_archE1030ELNS1_3gpuE2ELNS1_3repE0EEENS1_30default_config_static_selectorELNS0_4arch9wavefront6targetE0EEEvS14_,comdat
	.protected	_ZN7rocprim17ROCPRIM_400000_NS6detail17trampoline_kernelINS0_14default_configENS1_22reduce_config_selectorIN6thrust23THRUST_200600_302600_NS5tupleIblNS6_9null_typeES8_S8_S8_S8_S8_S8_S8_EEEEZNS1_11reduce_implILb1ES3_NS6_12zip_iteratorINS7_INS6_11hip_rocprim26transform_input_iterator_tIbNSD_35transform_pair_of_input_iterators_tIbNS6_6detail15normal_iteratorINS6_10device_ptrIKjEEEESL_NS6_8equal_toIjEEEENSG_9not_fun_tINSD_8identityEEEEENSD_19counting_iterator_tIlEES8_S8_S8_S8_S8_S8_S8_S8_EEEEPS9_S9_NSD_9__find_if7functorIS9_EEEE10hipError_tPvRmT1_T2_T3_mT4_P12ihipStream_tbEUlT_E0_NS1_11comp_targetILNS1_3genE8ELNS1_11target_archE1030ELNS1_3gpuE2ELNS1_3repE0EEENS1_30default_config_static_selectorELNS0_4arch9wavefront6targetE0EEEvS14_ ; -- Begin function _ZN7rocprim17ROCPRIM_400000_NS6detail17trampoline_kernelINS0_14default_configENS1_22reduce_config_selectorIN6thrust23THRUST_200600_302600_NS5tupleIblNS6_9null_typeES8_S8_S8_S8_S8_S8_S8_EEEEZNS1_11reduce_implILb1ES3_NS6_12zip_iteratorINS7_INS6_11hip_rocprim26transform_input_iterator_tIbNSD_35transform_pair_of_input_iterators_tIbNS6_6detail15normal_iteratorINS6_10device_ptrIKjEEEESL_NS6_8equal_toIjEEEENSG_9not_fun_tINSD_8identityEEEEENSD_19counting_iterator_tIlEES8_S8_S8_S8_S8_S8_S8_S8_EEEEPS9_S9_NSD_9__find_if7functorIS9_EEEE10hipError_tPvRmT1_T2_T3_mT4_P12ihipStream_tbEUlT_E0_NS1_11comp_targetILNS1_3genE8ELNS1_11target_archE1030ELNS1_3gpuE2ELNS1_3repE0EEENS1_30default_config_static_selectorELNS0_4arch9wavefront6targetE0EEEvS14_
	.globl	_ZN7rocprim17ROCPRIM_400000_NS6detail17trampoline_kernelINS0_14default_configENS1_22reduce_config_selectorIN6thrust23THRUST_200600_302600_NS5tupleIblNS6_9null_typeES8_S8_S8_S8_S8_S8_S8_EEEEZNS1_11reduce_implILb1ES3_NS6_12zip_iteratorINS7_INS6_11hip_rocprim26transform_input_iterator_tIbNSD_35transform_pair_of_input_iterators_tIbNS6_6detail15normal_iteratorINS6_10device_ptrIKjEEEESL_NS6_8equal_toIjEEEENSG_9not_fun_tINSD_8identityEEEEENSD_19counting_iterator_tIlEES8_S8_S8_S8_S8_S8_S8_S8_EEEEPS9_S9_NSD_9__find_if7functorIS9_EEEE10hipError_tPvRmT1_T2_T3_mT4_P12ihipStream_tbEUlT_E0_NS1_11comp_targetILNS1_3genE8ELNS1_11target_archE1030ELNS1_3gpuE2ELNS1_3repE0EEENS1_30default_config_static_selectorELNS0_4arch9wavefront6targetE0EEEvS14_
	.p2align	8
	.type	_ZN7rocprim17ROCPRIM_400000_NS6detail17trampoline_kernelINS0_14default_configENS1_22reduce_config_selectorIN6thrust23THRUST_200600_302600_NS5tupleIblNS6_9null_typeES8_S8_S8_S8_S8_S8_S8_EEEEZNS1_11reduce_implILb1ES3_NS6_12zip_iteratorINS7_INS6_11hip_rocprim26transform_input_iterator_tIbNSD_35transform_pair_of_input_iterators_tIbNS6_6detail15normal_iteratorINS6_10device_ptrIKjEEEESL_NS6_8equal_toIjEEEENSG_9not_fun_tINSD_8identityEEEEENSD_19counting_iterator_tIlEES8_S8_S8_S8_S8_S8_S8_S8_EEEEPS9_S9_NSD_9__find_if7functorIS9_EEEE10hipError_tPvRmT1_T2_T3_mT4_P12ihipStream_tbEUlT_E0_NS1_11comp_targetILNS1_3genE8ELNS1_11target_archE1030ELNS1_3gpuE2ELNS1_3repE0EEENS1_30default_config_static_selectorELNS0_4arch9wavefront6targetE0EEEvS14_,@function
_ZN7rocprim17ROCPRIM_400000_NS6detail17trampoline_kernelINS0_14default_configENS1_22reduce_config_selectorIN6thrust23THRUST_200600_302600_NS5tupleIblNS6_9null_typeES8_S8_S8_S8_S8_S8_S8_EEEEZNS1_11reduce_implILb1ES3_NS6_12zip_iteratorINS7_INS6_11hip_rocprim26transform_input_iterator_tIbNSD_35transform_pair_of_input_iterators_tIbNS6_6detail15normal_iteratorINS6_10device_ptrIKjEEEESL_NS6_8equal_toIjEEEENSG_9not_fun_tINSD_8identityEEEEENSD_19counting_iterator_tIlEES8_S8_S8_S8_S8_S8_S8_S8_EEEEPS9_S9_NSD_9__find_if7functorIS9_EEEE10hipError_tPvRmT1_T2_T3_mT4_P12ihipStream_tbEUlT_E0_NS1_11comp_targetILNS1_3genE8ELNS1_11target_archE1030ELNS1_3gpuE2ELNS1_3repE0EEENS1_30default_config_static_selectorELNS0_4arch9wavefront6targetE0EEEvS14_: ; @_ZN7rocprim17ROCPRIM_400000_NS6detail17trampoline_kernelINS0_14default_configENS1_22reduce_config_selectorIN6thrust23THRUST_200600_302600_NS5tupleIblNS6_9null_typeES8_S8_S8_S8_S8_S8_S8_EEEEZNS1_11reduce_implILb1ES3_NS6_12zip_iteratorINS7_INS6_11hip_rocprim26transform_input_iterator_tIbNSD_35transform_pair_of_input_iterators_tIbNS6_6detail15normal_iteratorINS6_10device_ptrIKjEEEESL_NS6_8equal_toIjEEEENSG_9not_fun_tINSD_8identityEEEEENSD_19counting_iterator_tIlEES8_S8_S8_S8_S8_S8_S8_S8_EEEEPS9_S9_NSD_9__find_if7functorIS9_EEEE10hipError_tPvRmT1_T2_T3_mT4_P12ihipStream_tbEUlT_E0_NS1_11comp_targetILNS1_3genE8ELNS1_11target_archE1030ELNS1_3gpuE2ELNS1_3repE0EEENS1_30default_config_static_selectorELNS0_4arch9wavefront6targetE0EEEvS14_
; %bb.0:
	s_clause 0x2
	s_load_dwordx8 s[8:15], s[4:5], 0x20
	s_load_dwordx4 s[0:3], s[4:5], 0x0
	s_load_dwordx4 s[16:19], s[4:5], 0x40
	s_mov_b32 s23, 0
	v_lshlrev_b32_e32 v9, 2, v0
	v_mbcnt_lo_u32_b32 v7, -1, 0
	s_mov_b32 s7, s23
	s_waitcnt lgkmcnt(0)
	s_lshl_b64 s[20:21], s[10:11], 2
	s_add_u32 s26, s0, s20
	s_addc_u32 s27, s1, s21
	s_add_u32 s20, s2, s20
	s_addc_u32 s21, s3, s21
	s_lshl_b32 s22, s6, 9
	s_lshr_b64 s[24:25], s[12:13], 9
	s_lshl_b64 s[0:1], s[22:23], 2
	s_add_u32 s2, s26, s0
	s_addc_u32 s3, s27, s1
	s_add_u32 s20, s20, s0
	s_addc_u32 s21, s21, s1
	;; [unrolled: 2-line block ×4, first 2 shown]
	s_cmp_lg_u64 s[24:25], s[6:7]
	s_cbranch_scc0 .LBB159_18
; %bb.1:
	s_clause 0x3
	global_load_dword v1, v9, s[2:3]
	global_load_dword v2, v9, s[20:21]
	global_load_dword v3, v9, s[20:21] offset:1024
	global_load_dword v4, v9, s[2:3] offset:1024
	v_add_co_u32 v5, s0, s10, v0
	v_add_co_ci_u32_e64 v6, null, s11, 0, s0
	v_add_co_u32 v8, vcc_lo, 0x100, v5
	v_add_co_ci_u32_e64 v10, null, 0, v6, vcc_lo
	s_waitcnt vmcnt(2)
	v_cmp_ne_u32_e32 vcc_lo, v1, v2
	s_waitcnt vmcnt(0)
	v_cmp_ne_u32_e64 s0, v4, v3
	v_cndmask_b32_e32 v2, v10, v6, vcc_lo
	v_cndmask_b32_e32 v1, v8, v5, vcc_lo
	s_or_b32 s0, vcc_lo, s0
	v_cndmask_b32_e64 v5, 0, 1, s0
	v_mov_b32_dpp v4, v2 quad_perm:[1,0,3,2] row_mask:0xf bank_mask:0xf
	v_mov_b32_dpp v3, v1 quad_perm:[1,0,3,2] row_mask:0xf bank_mask:0xf
	;; [unrolled: 1-line block ×3, first 2 shown]
	v_cmp_lt_i64_e32 vcc_lo, v[1:2], v[3:4]
	v_and_b32_e32 v6, 1, v6
	s_and_b32 vcc_lo, s0, vcc_lo
	v_cndmask_b32_e32 v3, v3, v1, vcc_lo
	v_cndmask_b32_e32 v4, v4, v2, vcc_lo
	v_cmp_eq_u32_e32 vcc_lo, 1, v6
	v_cndmask_b32_e32 v2, v2, v4, vcc_lo
	v_cndmask_b32_e32 v1, v1, v3, vcc_lo
	v_cndmask_b32_e64 v5, v5, 1, vcc_lo
	v_mov_b32_dpp v4, v2 quad_perm:[2,3,0,1] row_mask:0xf bank_mask:0xf
	v_mov_b32_dpp v3, v1 quad_perm:[2,3,0,1] row_mask:0xf bank_mask:0xf
	v_and_b32_e32 v8, 1, v5
	v_mov_b32_dpp v6, v5 quad_perm:[2,3,0,1] row_mask:0xf bank_mask:0xf
	v_cmp_lt_i64_e32 vcc_lo, v[1:2], v[3:4]
	v_cmp_eq_u32_e64 s0, 1, v8
	v_and_b32_e32 v6, 1, v6
	s_and_b32 vcc_lo, s0, vcc_lo
	v_cmp_eq_u32_e64 s1, 1, v6
	v_cndmask_b32_e32 v3, v3, v1, vcc_lo
	v_cndmask_b32_e32 v4, v4, v2, vcc_lo
	v_cndmask_b32_e64 v5, v5, 1, s1
	v_cndmask_b32_e64 v1, v1, v3, s1
	;; [unrolled: 1-line block ×3, first 2 shown]
	v_and_b32_e32 v8, 1, v5
	v_mov_b32_dpp v3, v1 row_ror:4 row_mask:0xf bank_mask:0xf
	v_mov_b32_dpp v4, v2 row_ror:4 row_mask:0xf bank_mask:0xf
	;; [unrolled: 1-line block ×3, first 2 shown]
	v_cmp_eq_u32_e64 s0, 1, v8
	v_cmp_lt_i64_e32 vcc_lo, v[1:2], v[3:4]
	v_and_b32_e32 v6, 1, v6
	s_and_b32 vcc_lo, s0, vcc_lo
	v_cmp_eq_u32_e64 s1, 1, v6
	v_cndmask_b32_e32 v3, v3, v1, vcc_lo
	v_cndmask_b32_e32 v4, v4, v2, vcc_lo
	v_cndmask_b32_e64 v5, v5, 1, s1
	v_cndmask_b32_e64 v1, v1, v3, s1
	;; [unrolled: 1-line block ×3, first 2 shown]
	v_and_b32_e32 v8, 1, v5
	v_mov_b32_dpp v3, v1 row_ror:8 row_mask:0xf bank_mask:0xf
	v_mov_b32_dpp v4, v2 row_ror:8 row_mask:0xf bank_mask:0xf
	;; [unrolled: 1-line block ×3, first 2 shown]
	v_cmp_eq_u32_e64 s0, 1, v8
	v_cmp_lt_i64_e32 vcc_lo, v[1:2], v[3:4]
	v_and_b32_e32 v6, 1, v6
	s_and_b32 vcc_lo, s0, vcc_lo
	v_cmp_eq_u32_e64 s1, 1, v6
	v_cndmask_b32_e32 v3, v3, v1, vcc_lo
	v_cndmask_b32_e32 v4, v4, v2, vcc_lo
	v_cndmask_b32_e64 v5, v5, 1, s1
	v_cndmask_b32_e64 v1, v1, v3, s1
	;; [unrolled: 1-line block ×3, first 2 shown]
	ds_swizzle_b32 v6, v5 offset:swizzle(BROADCAST,32,15)
	ds_swizzle_b32 v3, v1 offset:swizzle(BROADCAST,32,15)
	;; [unrolled: 1-line block ×3, first 2 shown]
	v_and_b32_e32 v8, 1, v5
	v_cmp_eq_u32_e64 s0, 1, v8
	s_waitcnt lgkmcnt(2)
	v_and_b32_e32 v6, 1, v6
	s_waitcnt lgkmcnt(0)
	v_cmp_lt_i64_e32 vcc_lo, v[1:2], v[3:4]
	v_cmp_eq_u32_e64 s1, 1, v6
	v_mov_b32_e32 v6, 0
	s_and_b32 vcc_lo, s0, vcc_lo
	s_mov_b32 s0, exec_lo
	v_cndmask_b32_e32 v3, v3, v1, vcc_lo
	v_cndmask_b32_e32 v4, v4, v2, vcc_lo
	v_cndmask_b32_e64 v5, v5, 1, s1
	v_cndmask_b32_e64 v1, v1, v3, s1
	;; [unrolled: 1-line block ×3, first 2 shown]
	ds_bpermute_b32 v8, v6, v5 offset:124
	ds_bpermute_b32 v1, v6, v1 offset:124
	;; [unrolled: 1-line block ×3, first 2 shown]
	v_cmpx_eq_u32_e32 0, v7
	s_cbranch_execz .LBB159_3
; %bb.2:
	v_lshrrev_b32_e32 v3, 1, v0
	v_and_b32_e32 v3, 0x70, v3
	s_waitcnt lgkmcnt(2)
	ds_write_b8 v3, v8
	s_waitcnt lgkmcnt(1)
	ds_write_b64 v3, v[1:2] offset:8
.LBB159_3:
	s_or_b32 exec_lo, exec_lo, s0
	s_mov_b32 s0, exec_lo
	s_waitcnt lgkmcnt(0)
	s_barrier
	buffer_gl0_inv
	v_cmpx_gt_u32_e32 32, v0
	s_cbranch_execz .LBB159_17
; %bb.4:
	v_and_b32_e32 v8, 7, v7
	v_lshlrev_b32_e32 v1, 4, v8
	v_cmp_ne_u32_e32 vcc_lo, 7, v8
	ds_read_u8 v11, v1
	ds_read_b64 v[3:4], v1 offset:8
	v_add_co_ci_u32_e64 v2, null, 0, v7, vcc_lo
	v_lshlrev_b32_e32 v2, 2, v2
	s_waitcnt lgkmcnt(1)
	v_and_b32_e32 v1, 0xff, v11
	s_waitcnt lgkmcnt(0)
	ds_bpermute_b32 v5, v2, v3
	ds_bpermute_b32 v6, v2, v4
	;; [unrolled: 1-line block ×3, first 2 shown]
	s_waitcnt lgkmcnt(0)
	v_and_b32_e32 v1, v11, v12
	v_and_b32_e32 v1, 1, v1
	v_cmp_eq_u32_e32 vcc_lo, 1, v1
                                        ; implicit-def: $vgpr1_vgpr2
	s_and_saveexec_b32 s1, vcc_lo
	s_xor_b32 s1, exec_lo, s1
; %bb.5:
	v_cmp_lt_i64_e32 vcc_lo, v[5:6], v[3:4]
                                        ; implicit-def: $vgpr11
                                        ; implicit-def: $vgpr12
	v_cndmask_b32_e32 v2, v4, v6, vcc_lo
	v_cndmask_b32_e32 v1, v3, v5, vcc_lo
                                        ; implicit-def: $vgpr5_vgpr6
                                        ; implicit-def: $vgpr3_vgpr4
; %bb.6:
	s_or_saveexec_b32 s1, s1
	v_mov_b32_e32 v10, 1
	s_xor_b32 exec_lo, exec_lo, s1
; %bb.7:
	v_and_b32_e32 v1, 1, v11
	v_and_b32_e32 v10, 0xff, v12
	v_cmp_eq_u32_e32 vcc_lo, 1, v1
	v_cndmask_b32_e32 v2, v6, v4, vcc_lo
	v_cndmask_b32_e32 v1, v5, v3, vcc_lo
	v_cndmask_b32_e64 v10, v10, 1, vcc_lo
; %bb.8:
	s_or_b32 exec_lo, exec_lo, s1
	v_cmp_gt_u32_e32 vcc_lo, 6, v8
	v_cndmask_b32_e64 v3, 0, 2, vcc_lo
	v_add_lshl_u32 v3, v3, v7, 2
	ds_bpermute_b32 v8, v3, v10
	ds_bpermute_b32 v5, v3, v1
	;; [unrolled: 1-line block ×3, first 2 shown]
	s_waitcnt lgkmcnt(2)
	v_and_b32_e32 v3, v10, v8
	v_and_b32_e32 v3, 1, v3
	v_cmp_eq_u32_e32 vcc_lo, 1, v3
                                        ; implicit-def: $vgpr3_vgpr4
	s_and_saveexec_b32 s1, vcc_lo
	s_xor_b32 s1, exec_lo, s1
	s_cbranch_execz .LBB159_10
; %bb.9:
	s_waitcnt lgkmcnt(0)
	v_cmp_lt_i64_e32 vcc_lo, v[5:6], v[1:2]
                                        ; implicit-def: $vgpr10
                                        ; implicit-def: $vgpr8
	v_cndmask_b32_e32 v4, v2, v6, vcc_lo
	v_cndmask_b32_e32 v3, v1, v5, vcc_lo
                                        ; implicit-def: $vgpr5_vgpr6
                                        ; implicit-def: $vgpr1_vgpr2
.LBB159_10:
	s_or_saveexec_b32 s1, s1
	v_lshlrev_b32_e32 v12, 2, v7
	v_mov_b32_e32 v11, 1
	s_xor_b32 exec_lo, exec_lo, s1
	s_cbranch_execz .LBB159_12
; %bb.11:
	v_and_b32_e32 v3, 1, v10
	v_and_b32_e32 v8, 0xff, v8
	v_cmp_eq_u32_e32 vcc_lo, 1, v3
	s_waitcnt lgkmcnt(0)
	v_cndmask_b32_e32 v4, v6, v2, vcc_lo
	v_cndmask_b32_e32 v3, v5, v1, vcc_lo
	v_cndmask_b32_e64 v11, v8, 1, vcc_lo
.LBB159_12:
	s_or_b32 exec_lo, exec_lo, s1
	v_or_b32_e32 v1, 16, v12
	ds_bpermute_b32 v10, v1, v11
	s_waitcnt lgkmcnt(2)
	ds_bpermute_b32 v5, v1, v3
	s_waitcnt lgkmcnt(2)
	;; [unrolled: 2-line block ×3, first 2 shown]
	v_and_b32_e32 v1, v11, v10
	v_and_b32_e32 v1, 1, v1
	v_cmp_eq_u32_e32 vcc_lo, 1, v1
                                        ; implicit-def: $vgpr1_vgpr2
	s_and_saveexec_b32 s1, vcc_lo
	s_xor_b32 s1, exec_lo, s1
	s_cbranch_execz .LBB159_14
; %bb.13:
	s_waitcnt lgkmcnt(0)
	v_cmp_lt_i64_e32 vcc_lo, v[5:6], v[3:4]
                                        ; implicit-def: $vgpr11
                                        ; implicit-def: $vgpr10
	v_cndmask_b32_e32 v2, v4, v6, vcc_lo
	v_cndmask_b32_e32 v1, v3, v5, vcc_lo
                                        ; implicit-def: $vgpr5_vgpr6
                                        ; implicit-def: $vgpr3_vgpr4
.LBB159_14:
	s_or_saveexec_b32 s1, s1
	v_mov_b32_e32 v8, 1
	s_xor_b32 exec_lo, exec_lo, s1
	s_cbranch_execz .LBB159_16
; %bb.15:
	v_and_b32_e32 v1, 1, v11
	v_cmp_eq_u32_e32 vcc_lo, 1, v1
	s_waitcnt lgkmcnt(0)
	v_cndmask_b32_e32 v2, v6, v4, vcc_lo
	v_cndmask_b32_e32 v1, v5, v3, vcc_lo
	v_cndmask_b32_e64 v8, v10, 1, vcc_lo
.LBB159_16:
	s_or_b32 exec_lo, exec_lo, s1
.LBB159_17:
	s_or_b32 exec_lo, exec_lo, s0
	s_load_dwordx2 s[8:9], s[4:5], 0x58
	s_branch .LBB159_76
.LBB159_18:
                                        ; implicit-def: $vgpr1_vgpr2
                                        ; implicit-def: $vgpr8
	s_load_dwordx2 s[8:9], s[4:5], 0x58
	s_cbranch_execz .LBB159_76
; %bb.19:
	v_mov_b32_e32 v3, 0
	v_mov_b32_e32 v1, 0
	s_waitcnt lgkmcnt(0)
	v_mov_b32_e32 v5, 0
	v_mov_b32_e32 v4, 0
	;; [unrolled: 1-line block ×4, first 2 shown]
	s_sub_i32 s22, s12, s22
	s_mov_b32 s0, exec_lo
	v_cmpx_gt_u32_e64 s22, v0
	s_cbranch_execz .LBB159_21
; %bb.20:
	s_clause 0x1
	global_load_dword v6, v9, s[2:3]
	global_load_dword v8, v9, s[20:21]
	v_add_co_u32 v1, s1, s10, v0
	v_add_co_ci_u32_e64 v2, null, s11, 0, s1
	s_waitcnt vmcnt(0)
	v_cmp_ne_u32_e32 vcc_lo, v6, v8
	v_cndmask_b32_e64 v6, 0, 1, vcc_lo
.LBB159_21:
	s_or_b32 exec_lo, exec_lo, s0
	v_or_b32_e32 v8, 0x100, v0
	v_cmp_gt_u32_e32 vcc_lo, s22, v8
	s_and_saveexec_b32 s1, vcc_lo
	s_cbranch_execz .LBB159_23
; %bb.22:
	s_clause 0x1
	global_load_dword v5, v9, s[2:3] offset:1024
	global_load_dword v9, v9, s[20:21] offset:1024
	v_add_co_u32 v3, s0, s10, v8
	v_add_co_ci_u32_e64 v4, null, s11, 0, s0
	s_waitcnt vmcnt(0)
	v_cmp_ne_u32_e64 s0, v5, v9
	v_cndmask_b32_e64 v5, 0, 1, s0
.LBB159_23:
	s_or_b32 exec_lo, exec_lo, s1
	v_and_b32_e32 v8, 1, v5
	v_cmp_lt_i64_e64 s0, v[3:4], v[1:2]
	v_and_b32_e32 v9, 1, v6
	v_and_b32_e32 v5, 0xffff, v5
	;; [unrolled: 1-line block ×3, first 2 shown]
	v_cmp_eq_u32_e64 s1, 1, v8
	v_cmp_eq_u32_e64 s2, 1, v9
	s_and_b32 s0, s1, s0
	s_mov_b32 s1, exec_lo
	v_cndmask_b32_e64 v8, v2, v4, s0
	v_cndmask_b32_e64 v9, v1, v3, s0
	v_cmp_ne_u32_e64 s0, 31, v7
	v_cndmask_b32_e64 v5, v5, 1, s2
	v_cndmask_b32_e64 v4, v4, v8, s2
	;; [unrolled: 1-line block ×3, first 2 shown]
	v_add_co_ci_u32_e64 v10, null, 0, v7, s0
	v_cndmask_b32_e32 v8, v6, v5, vcc_lo
	v_cndmask_b32_e32 v2, v2, v4, vcc_lo
	;; [unrolled: 1-line block ×3, first 2 shown]
	v_lshlrev_b32_e32 v9, 2, v10
	v_and_b32_e32 v5, 0xe0, v0
	s_min_u32 s0, s22, 0x100
	ds_bpermute_b32 v6, v9, v8
	ds_bpermute_b32 v3, v9, v1
	;; [unrolled: 1-line block ×3, first 2 shown]
	v_sub_nc_u32_e64 v5, s0, v5 clamp
	v_add_nc_u32_e32 v9, 1, v7
	v_cmpx_lt_u32_e64 v9, v5
	s_cbranch_execz .LBB159_29
; %bb.24:
	s_waitcnt lgkmcnt(2)
	v_and_b32_e32 v9, v8, v6
	s_mov_b32 s2, exec_lo
	v_cmpx_ne_u32_e32 0, v9
	s_xor_b32 s2, exec_lo, s2
	s_cbranch_execz .LBB159_26
; %bb.25:
	s_waitcnt lgkmcnt(0)
	v_cmp_lt_i64_e32 vcc_lo, v[3:4], v[1:2]
                                        ; implicit-def: $vgpr8
                                        ; implicit-def: $vgpr6
	v_cndmask_b32_e32 v2, v2, v4, vcc_lo
	v_cndmask_b32_e32 v1, v1, v3, vcc_lo
                                        ; implicit-def: $vgpr3_vgpr4
.LBB159_26:
	s_or_saveexec_b32 s2, s2
	v_mov_b32_e32 v9, 1
	s_xor_b32 exec_lo, exec_lo, s2
	s_cbranch_execz .LBB159_28
; %bb.27:
	v_and_b32_e32 v8, 1, v8
	v_and_b32_e32 v6, 0xff, v6
	v_cmp_eq_u32_e32 vcc_lo, 1, v8
	s_waitcnt lgkmcnt(0)
	v_cndmask_b32_e32 v2, v4, v2, vcc_lo
	v_cndmask_b32_e32 v1, v3, v1, vcc_lo
	v_cndmask_b32_e64 v9, v6, 1, vcc_lo
.LBB159_28:
	s_or_b32 exec_lo, exec_lo, s2
	v_mov_b32_e32 v8, v9
.LBB159_29:
	s_or_b32 exec_lo, exec_lo, s1
	v_cmp_gt_u32_e32 vcc_lo, 30, v7
	v_add_nc_u32_e32 v9, 2, v7
	s_mov_b32 s1, exec_lo
	s_waitcnt lgkmcnt(1)
	v_cndmask_b32_e64 v3, 0, 2, vcc_lo
	s_waitcnt lgkmcnt(0)
	v_add_lshl_u32 v4, v3, v7, 2
	ds_bpermute_b32 v6, v4, v8
	ds_bpermute_b32 v3, v4, v1
	ds_bpermute_b32 v4, v4, v2
	v_cmpx_lt_u32_e64 v9, v5
	s_cbranch_execz .LBB159_35
; %bb.30:
	s_waitcnt lgkmcnt(2)
	v_and_b32_e32 v9, v8, v6
	s_mov_b32 s2, exec_lo
	v_and_b32_e32 v9, 1, v9
	v_cmpx_eq_u32_e32 1, v9
	s_xor_b32 s2, exec_lo, s2
	s_cbranch_execz .LBB159_32
; %bb.31:
	s_waitcnt lgkmcnt(0)
	v_cmp_lt_i64_e32 vcc_lo, v[3:4], v[1:2]
                                        ; implicit-def: $vgpr8
                                        ; implicit-def: $vgpr6
	v_cndmask_b32_e32 v2, v2, v4, vcc_lo
	v_cndmask_b32_e32 v1, v1, v3, vcc_lo
                                        ; implicit-def: $vgpr3_vgpr4
.LBB159_32:
	s_or_saveexec_b32 s2, s2
	v_mov_b32_e32 v9, 1
	s_xor_b32 exec_lo, exec_lo, s2
	s_cbranch_execz .LBB159_34
; %bb.33:
	v_and_b32_e32 v8, 1, v8
	v_and_b32_e32 v6, 0xff, v6
	v_cmp_eq_u32_e32 vcc_lo, 1, v8
	s_waitcnt lgkmcnt(0)
	v_cndmask_b32_e32 v2, v4, v2, vcc_lo
	v_cndmask_b32_e32 v1, v3, v1, vcc_lo
	v_cndmask_b32_e64 v9, v6, 1, vcc_lo
.LBB159_34:
	s_or_b32 exec_lo, exec_lo, s2
	v_mov_b32_e32 v8, v9
.LBB159_35:
	s_or_b32 exec_lo, exec_lo, s1
	v_cmp_gt_u32_e32 vcc_lo, 28, v7
	v_add_nc_u32_e32 v9, 4, v7
	s_mov_b32 s1, exec_lo
	s_waitcnt lgkmcnt(1)
	v_cndmask_b32_e64 v3, 0, 4, vcc_lo
	s_waitcnt lgkmcnt(0)
	v_add_lshl_u32 v4, v3, v7, 2
	ds_bpermute_b32 v6, v4, v8
	ds_bpermute_b32 v3, v4, v1
	ds_bpermute_b32 v4, v4, v2
	v_cmpx_lt_u32_e64 v9, v5
	s_cbranch_execz .LBB159_41
; %bb.36:
	s_waitcnt lgkmcnt(2)
	v_and_b32_e32 v9, v8, v6
	s_mov_b32 s2, exec_lo
	v_and_b32_e32 v9, 1, v9
	v_cmpx_eq_u32_e32 1, v9
	s_xor_b32 s2, exec_lo, s2
	s_cbranch_execz .LBB159_38
; %bb.37:
	s_waitcnt lgkmcnt(0)
	v_cmp_lt_i64_e32 vcc_lo, v[3:4], v[1:2]
                                        ; implicit-def: $vgpr8
                                        ; implicit-def: $vgpr6
	v_cndmask_b32_e32 v2, v2, v4, vcc_lo
	v_cndmask_b32_e32 v1, v1, v3, vcc_lo
                                        ; implicit-def: $vgpr3_vgpr4
.LBB159_38:
	s_or_saveexec_b32 s2, s2
	v_mov_b32_e32 v9, 1
	s_xor_b32 exec_lo, exec_lo, s2
	s_cbranch_execz .LBB159_40
; %bb.39:
	v_and_b32_e32 v8, 1, v8
	v_and_b32_e32 v6, 0xff, v6
	v_cmp_eq_u32_e32 vcc_lo, 1, v8
	s_waitcnt lgkmcnt(0)
	v_cndmask_b32_e32 v2, v4, v2, vcc_lo
	v_cndmask_b32_e32 v1, v3, v1, vcc_lo
	v_cndmask_b32_e64 v9, v6, 1, vcc_lo
.LBB159_40:
	s_or_b32 exec_lo, exec_lo, s2
	v_mov_b32_e32 v8, v9
.LBB159_41:
	;; [unrolled: 46-line block ×3, first 2 shown]
	s_or_b32 exec_lo, exec_lo, s1
	s_waitcnt lgkmcnt(2)
	v_lshlrev_b32_e32 v6, 2, v7
	v_add_nc_u32_e32 v10, 16, v7
	s_waitcnt lgkmcnt(0)
	v_or_b32_e32 v4, 64, v6
	v_cmp_lt_u32_e32 vcc_lo, v10, v5
	v_mov_b32_e32 v5, v8
	ds_bpermute_b32 v9, v4, v8
	ds_bpermute_b32 v3, v4, v1
	ds_bpermute_b32 v4, v4, v2
	s_and_saveexec_b32 s1, vcc_lo
	s_cbranch_execz .LBB159_53
; %bb.48:
	s_waitcnt lgkmcnt(2)
	v_and_b32_e32 v5, v8, v9
	s_mov_b32 s2, exec_lo
	v_and_b32_e32 v5, 1, v5
	v_cmpx_eq_u32_e32 1, v5
	s_xor_b32 s2, exec_lo, s2
	s_cbranch_execz .LBB159_50
; %bb.49:
	s_waitcnt lgkmcnt(0)
	v_cmp_lt_i64_e32 vcc_lo, v[3:4], v[1:2]
                                        ; implicit-def: $vgpr8
                                        ; implicit-def: $vgpr9
	v_cndmask_b32_e32 v2, v2, v4, vcc_lo
	v_cndmask_b32_e32 v1, v1, v3, vcc_lo
                                        ; implicit-def: $vgpr3_vgpr4
.LBB159_50:
	s_or_saveexec_b32 s2, s2
	v_mov_b32_e32 v5, 1
	s_xor_b32 exec_lo, exec_lo, s2
	s_cbranch_execz .LBB159_52
; %bb.51:
	v_and_b32_e32 v5, 1, v8
	v_cmp_eq_u32_e32 vcc_lo, 1, v5
	v_cndmask_b32_e64 v5, v9, 1, vcc_lo
	s_waitcnt lgkmcnt(0)
	v_cndmask_b32_e32 v2, v4, v2, vcc_lo
	v_cndmask_b32_e32 v1, v3, v1, vcc_lo
.LBB159_52:
	s_or_b32 exec_lo, exec_lo, s2
	v_and_b32_e32 v8, 0xff, v5
.LBB159_53:
	s_or_b32 exec_lo, exec_lo, s1
	s_mov_b32 s1, exec_lo
	v_cmpx_eq_u32_e32 0, v7
	s_cbranch_execz .LBB159_55
; %bb.54:
	s_waitcnt lgkmcnt(1)
	v_lshrrev_b32_e32 v3, 1, v0
	v_and_b32_e32 v3, 0x70, v3
	ds_write_b8 v3, v5 offset:128
	ds_write_b64 v3, v[1:2] offset:136
.LBB159_55:
	s_or_b32 exec_lo, exec_lo, s1
	s_mov_b32 s1, exec_lo
	s_waitcnt lgkmcnt(0)
	s_barrier
	buffer_gl0_inv
	v_cmpx_gt_u32_e32 8, v0
	s_cbranch_execz .LBB159_75
; %bb.56:
	v_lshlrev_b32_e32 v1, 4, v7
	v_and_b32_e32 v5, 7, v7
	s_add_i32 s0, s0, 31
	s_mov_b32 s2, exec_lo
	s_lshr_b32 s0, s0, 5
	ds_read_u8 v9, v1 offset:128
	ds_read_b64 v[1:2], v1 offset:136
	v_cmp_ne_u32_e32 vcc_lo, 7, v5
	v_add_nc_u32_e32 v11, 1, v5
	v_add_co_ci_u32_e64 v3, null, 0, v7, vcc_lo
	v_lshlrev_b32_e32 v4, 2, v3
	s_waitcnt lgkmcnt(1)
	v_and_b32_e32 v8, 0xff, v9
	s_waitcnt lgkmcnt(0)
	ds_bpermute_b32 v3, v4, v1
	ds_bpermute_b32 v10, v4, v8
	;; [unrolled: 1-line block ×3, first 2 shown]
	v_cmpx_gt_u32_e64 s0, v11
	s_cbranch_execz .LBB159_62
; %bb.57:
	s_waitcnt lgkmcnt(1)
	v_and_b32_e32 v8, v8, v10
	s_mov_b32 s3, exec_lo
	v_and_b32_e32 v8, 1, v8
	v_cmpx_eq_u32_e32 1, v8
	s_xor_b32 s3, exec_lo, s3
	s_cbranch_execz .LBB159_59
; %bb.58:
	s_waitcnt lgkmcnt(0)
	v_cmp_lt_i64_e32 vcc_lo, v[3:4], v[1:2]
                                        ; implicit-def: $vgpr9
                                        ; implicit-def: $vgpr10
	v_cndmask_b32_e32 v2, v2, v4, vcc_lo
	v_cndmask_b32_e32 v1, v1, v3, vcc_lo
                                        ; implicit-def: $vgpr3_vgpr4
.LBB159_59:
	s_or_saveexec_b32 s3, s3
	v_mov_b32_e32 v8, 1
	s_xor_b32 exec_lo, exec_lo, s3
	s_cbranch_execz .LBB159_61
; %bb.60:
	v_and_b32_e32 v8, 1, v9
	v_cmp_eq_u32_e32 vcc_lo, 1, v8
	v_and_b32_e32 v8, 0xff, v10
	s_waitcnt lgkmcnt(0)
	v_cndmask_b32_e32 v2, v4, v2, vcc_lo
	v_cndmask_b32_e32 v1, v3, v1, vcc_lo
	v_cndmask_b32_e64 v8, v8, 1, vcc_lo
.LBB159_61:
	s_or_b32 exec_lo, exec_lo, s3
.LBB159_62:
	s_or_b32 exec_lo, exec_lo, s2
	v_cmp_gt_u32_e32 vcc_lo, 6, v5
	v_add_nc_u32_e32 v9, 2, v5
	s_mov_b32 s2, exec_lo
	s_waitcnt lgkmcnt(2)
	v_cndmask_b32_e64 v3, 0, 2, vcc_lo
	s_waitcnt lgkmcnt(0)
	v_add_lshl_u32 v4, v3, v7, 2
	ds_bpermute_b32 v7, v4, v8
	ds_bpermute_b32 v3, v4, v1
	;; [unrolled: 1-line block ×3, first 2 shown]
	v_cmpx_gt_u32_e64 s0, v9
	s_cbranch_execz .LBB159_68
; %bb.63:
	s_waitcnt lgkmcnt(2)
	v_and_b32_e32 v9, v8, v7
	s_mov_b32 s3, exec_lo
	v_and_b32_e32 v9, 1, v9
	v_cmpx_eq_u32_e32 1, v9
	s_xor_b32 s3, exec_lo, s3
	s_cbranch_execz .LBB159_65
; %bb.64:
	s_waitcnt lgkmcnt(0)
	v_cmp_lt_i64_e32 vcc_lo, v[3:4], v[1:2]
                                        ; implicit-def: $vgpr8
                                        ; implicit-def: $vgpr7
	v_cndmask_b32_e32 v2, v2, v4, vcc_lo
	v_cndmask_b32_e32 v1, v1, v3, vcc_lo
                                        ; implicit-def: $vgpr3_vgpr4
.LBB159_65:
	s_or_saveexec_b32 s3, s3
	v_mov_b32_e32 v9, 1
	s_xor_b32 exec_lo, exec_lo, s3
	s_cbranch_execz .LBB159_67
; %bb.66:
	v_and_b32_e32 v8, 1, v8
	v_and_b32_e32 v7, 0xff, v7
	v_cmp_eq_u32_e32 vcc_lo, 1, v8
	s_waitcnt lgkmcnt(0)
	v_cndmask_b32_e32 v2, v4, v2, vcc_lo
	v_cndmask_b32_e32 v1, v3, v1, vcc_lo
	v_cndmask_b32_e64 v9, v7, 1, vcc_lo
.LBB159_67:
	s_or_b32 exec_lo, exec_lo, s3
	v_mov_b32_e32 v8, v9
.LBB159_68:
	s_or_b32 exec_lo, exec_lo, s2
	s_waitcnt lgkmcnt(0)
	v_or_b32_e32 v4, 16, v6
	v_add_nc_u32_e32 v5, 4, v5
	ds_bpermute_b32 v6, v4, v8
	ds_bpermute_b32 v3, v4, v1
	;; [unrolled: 1-line block ×3, first 2 shown]
	v_cmp_gt_u32_e32 vcc_lo, s0, v5
	s_and_saveexec_b32 s0, vcc_lo
	s_cbranch_execz .LBB159_74
; %bb.69:
	s_waitcnt lgkmcnt(2)
	v_and_b32_e32 v5, v8, v6
	s_mov_b32 s2, exec_lo
	v_and_b32_e32 v5, 1, v5
	v_cmpx_eq_u32_e32 1, v5
	s_xor_b32 s2, exec_lo, s2
	s_cbranch_execz .LBB159_71
; %bb.70:
	s_waitcnt lgkmcnt(0)
	v_cmp_lt_i64_e32 vcc_lo, v[3:4], v[1:2]
                                        ; implicit-def: $vgpr8
                                        ; implicit-def: $vgpr6
	v_cndmask_b32_e32 v2, v2, v4, vcc_lo
	v_cndmask_b32_e32 v1, v1, v3, vcc_lo
                                        ; implicit-def: $vgpr3_vgpr4
.LBB159_71:
	s_or_saveexec_b32 s2, s2
	v_mov_b32_e32 v5, 1
	s_xor_b32 exec_lo, exec_lo, s2
	s_cbranch_execz .LBB159_73
; %bb.72:
	v_and_b32_e32 v5, 1, v8
	v_cmp_eq_u32_e32 vcc_lo, 1, v5
	s_waitcnt lgkmcnt(0)
	v_cndmask_b32_e32 v2, v4, v2, vcc_lo
	v_cndmask_b32_e32 v1, v3, v1, vcc_lo
	v_cndmask_b32_e64 v5, v6, 1, vcc_lo
.LBB159_73:
	s_or_b32 exec_lo, exec_lo, s2
	v_mov_b32_e32 v8, v5
.LBB159_74:
	s_or_b32 exec_lo, exec_lo, s0
.LBB159_75:
	s_or_b32 exec_lo, exec_lo, s1
.LBB159_76:
	s_load_dword s0, s[4:5], 0x50
	s_mov_b32 s1, exec_lo
	v_cmpx_eq_u32_e32 0, v0
	s_cbranch_execz .LBB159_78
; %bb.77:
	s_mul_i32 s1, s18, s17
	s_mul_hi_u32 s2, s18, s16
	s_mul_i32 s3, s19, s16
	s_add_i32 s1, s2, s1
	s_mul_i32 s2, s18, s16
	s_add_i32 s3, s1, s3
	v_mov_b32_e32 v0, 0
	s_lshl_b64 s[2:3], s[2:3], 4
	s_add_u32 s1, s14, s2
	s_addc_u32 s4, s15, s3
	s_cmp_eq_u64 s[12:13], 0
	s_cselect_b32 s5, -1, 0
	s_lshl_b64 s[2:3], s[6:7], 4
	s_waitcnt lgkmcnt(0)
	v_cndmask_b32_e64 v3, v8, s0, s5
	v_cndmask_b32_e64 v2, v2, s9, s5
	;; [unrolled: 1-line block ×3, first 2 shown]
	s_add_u32 s0, s1, s2
	s_addc_u32 s1, s4, s3
	global_store_byte v0, v3, s[0:1]
	global_store_dwordx2 v0, v[1:2], s[0:1] offset:8
.LBB159_78:
	s_endpgm
	.section	.rodata,"a",@progbits
	.p2align	6, 0x0
	.amdhsa_kernel _ZN7rocprim17ROCPRIM_400000_NS6detail17trampoline_kernelINS0_14default_configENS1_22reduce_config_selectorIN6thrust23THRUST_200600_302600_NS5tupleIblNS6_9null_typeES8_S8_S8_S8_S8_S8_S8_EEEEZNS1_11reduce_implILb1ES3_NS6_12zip_iteratorINS7_INS6_11hip_rocprim26transform_input_iterator_tIbNSD_35transform_pair_of_input_iterators_tIbNS6_6detail15normal_iteratorINS6_10device_ptrIKjEEEESL_NS6_8equal_toIjEEEENSG_9not_fun_tINSD_8identityEEEEENSD_19counting_iterator_tIlEES8_S8_S8_S8_S8_S8_S8_S8_EEEEPS9_S9_NSD_9__find_if7functorIS9_EEEE10hipError_tPvRmT1_T2_T3_mT4_P12ihipStream_tbEUlT_E0_NS1_11comp_targetILNS1_3genE8ELNS1_11target_archE1030ELNS1_3gpuE2ELNS1_3repE0EEENS1_30default_config_static_selectorELNS0_4arch9wavefront6targetE0EEEvS14_
		.amdhsa_group_segment_fixed_size 256
		.amdhsa_private_segment_fixed_size 0
		.amdhsa_kernarg_size 104
		.amdhsa_user_sgpr_count 6
		.amdhsa_user_sgpr_private_segment_buffer 1
		.amdhsa_user_sgpr_dispatch_ptr 0
		.amdhsa_user_sgpr_queue_ptr 0
		.amdhsa_user_sgpr_kernarg_segment_ptr 1
		.amdhsa_user_sgpr_dispatch_id 0
		.amdhsa_user_sgpr_flat_scratch_init 0
		.amdhsa_user_sgpr_private_segment_size 0
		.amdhsa_wavefront_size32 1
		.amdhsa_uses_dynamic_stack 0
		.amdhsa_system_sgpr_private_segment_wavefront_offset 0
		.amdhsa_system_sgpr_workgroup_id_x 1
		.amdhsa_system_sgpr_workgroup_id_y 0
		.amdhsa_system_sgpr_workgroup_id_z 0
		.amdhsa_system_sgpr_workgroup_info 0
		.amdhsa_system_vgpr_workitem_id 0
		.amdhsa_next_free_vgpr 13
		.amdhsa_next_free_sgpr 28
		.amdhsa_reserve_vcc 1
		.amdhsa_reserve_flat_scratch 0
		.amdhsa_float_round_mode_32 0
		.amdhsa_float_round_mode_16_64 0
		.amdhsa_float_denorm_mode_32 3
		.amdhsa_float_denorm_mode_16_64 3
		.amdhsa_dx10_clamp 1
		.amdhsa_ieee_mode 1
		.amdhsa_fp16_overflow 0
		.amdhsa_workgroup_processor_mode 1
		.amdhsa_memory_ordered 1
		.amdhsa_forward_progress 1
		.amdhsa_shared_vgpr_count 0
		.amdhsa_exception_fp_ieee_invalid_op 0
		.amdhsa_exception_fp_denorm_src 0
		.amdhsa_exception_fp_ieee_div_zero 0
		.amdhsa_exception_fp_ieee_overflow 0
		.amdhsa_exception_fp_ieee_underflow 0
		.amdhsa_exception_fp_ieee_inexact 0
		.amdhsa_exception_int_div_zero 0
	.end_amdhsa_kernel
	.section	.text._ZN7rocprim17ROCPRIM_400000_NS6detail17trampoline_kernelINS0_14default_configENS1_22reduce_config_selectorIN6thrust23THRUST_200600_302600_NS5tupleIblNS6_9null_typeES8_S8_S8_S8_S8_S8_S8_EEEEZNS1_11reduce_implILb1ES3_NS6_12zip_iteratorINS7_INS6_11hip_rocprim26transform_input_iterator_tIbNSD_35transform_pair_of_input_iterators_tIbNS6_6detail15normal_iteratorINS6_10device_ptrIKjEEEESL_NS6_8equal_toIjEEEENSG_9not_fun_tINSD_8identityEEEEENSD_19counting_iterator_tIlEES8_S8_S8_S8_S8_S8_S8_S8_EEEEPS9_S9_NSD_9__find_if7functorIS9_EEEE10hipError_tPvRmT1_T2_T3_mT4_P12ihipStream_tbEUlT_E0_NS1_11comp_targetILNS1_3genE8ELNS1_11target_archE1030ELNS1_3gpuE2ELNS1_3repE0EEENS1_30default_config_static_selectorELNS0_4arch9wavefront6targetE0EEEvS14_,"axG",@progbits,_ZN7rocprim17ROCPRIM_400000_NS6detail17trampoline_kernelINS0_14default_configENS1_22reduce_config_selectorIN6thrust23THRUST_200600_302600_NS5tupleIblNS6_9null_typeES8_S8_S8_S8_S8_S8_S8_EEEEZNS1_11reduce_implILb1ES3_NS6_12zip_iteratorINS7_INS6_11hip_rocprim26transform_input_iterator_tIbNSD_35transform_pair_of_input_iterators_tIbNS6_6detail15normal_iteratorINS6_10device_ptrIKjEEEESL_NS6_8equal_toIjEEEENSG_9not_fun_tINSD_8identityEEEEENSD_19counting_iterator_tIlEES8_S8_S8_S8_S8_S8_S8_S8_EEEEPS9_S9_NSD_9__find_if7functorIS9_EEEE10hipError_tPvRmT1_T2_T3_mT4_P12ihipStream_tbEUlT_E0_NS1_11comp_targetILNS1_3genE8ELNS1_11target_archE1030ELNS1_3gpuE2ELNS1_3repE0EEENS1_30default_config_static_selectorELNS0_4arch9wavefront6targetE0EEEvS14_,comdat
.Lfunc_end159:
	.size	_ZN7rocprim17ROCPRIM_400000_NS6detail17trampoline_kernelINS0_14default_configENS1_22reduce_config_selectorIN6thrust23THRUST_200600_302600_NS5tupleIblNS6_9null_typeES8_S8_S8_S8_S8_S8_S8_EEEEZNS1_11reduce_implILb1ES3_NS6_12zip_iteratorINS7_INS6_11hip_rocprim26transform_input_iterator_tIbNSD_35transform_pair_of_input_iterators_tIbNS6_6detail15normal_iteratorINS6_10device_ptrIKjEEEESL_NS6_8equal_toIjEEEENSG_9not_fun_tINSD_8identityEEEEENSD_19counting_iterator_tIlEES8_S8_S8_S8_S8_S8_S8_S8_EEEEPS9_S9_NSD_9__find_if7functorIS9_EEEE10hipError_tPvRmT1_T2_T3_mT4_P12ihipStream_tbEUlT_E0_NS1_11comp_targetILNS1_3genE8ELNS1_11target_archE1030ELNS1_3gpuE2ELNS1_3repE0EEENS1_30default_config_static_selectorELNS0_4arch9wavefront6targetE0EEEvS14_, .Lfunc_end159-_ZN7rocprim17ROCPRIM_400000_NS6detail17trampoline_kernelINS0_14default_configENS1_22reduce_config_selectorIN6thrust23THRUST_200600_302600_NS5tupleIblNS6_9null_typeES8_S8_S8_S8_S8_S8_S8_EEEEZNS1_11reduce_implILb1ES3_NS6_12zip_iteratorINS7_INS6_11hip_rocprim26transform_input_iterator_tIbNSD_35transform_pair_of_input_iterators_tIbNS6_6detail15normal_iteratorINS6_10device_ptrIKjEEEESL_NS6_8equal_toIjEEEENSG_9not_fun_tINSD_8identityEEEEENSD_19counting_iterator_tIlEES8_S8_S8_S8_S8_S8_S8_S8_EEEEPS9_S9_NSD_9__find_if7functorIS9_EEEE10hipError_tPvRmT1_T2_T3_mT4_P12ihipStream_tbEUlT_E0_NS1_11comp_targetILNS1_3genE8ELNS1_11target_archE1030ELNS1_3gpuE2ELNS1_3repE0EEENS1_30default_config_static_selectorELNS0_4arch9wavefront6targetE0EEEvS14_
                                        ; -- End function
	.set _ZN7rocprim17ROCPRIM_400000_NS6detail17trampoline_kernelINS0_14default_configENS1_22reduce_config_selectorIN6thrust23THRUST_200600_302600_NS5tupleIblNS6_9null_typeES8_S8_S8_S8_S8_S8_S8_EEEEZNS1_11reduce_implILb1ES3_NS6_12zip_iteratorINS7_INS6_11hip_rocprim26transform_input_iterator_tIbNSD_35transform_pair_of_input_iterators_tIbNS6_6detail15normal_iteratorINS6_10device_ptrIKjEEEESL_NS6_8equal_toIjEEEENSG_9not_fun_tINSD_8identityEEEEENSD_19counting_iterator_tIlEES8_S8_S8_S8_S8_S8_S8_S8_EEEEPS9_S9_NSD_9__find_if7functorIS9_EEEE10hipError_tPvRmT1_T2_T3_mT4_P12ihipStream_tbEUlT_E0_NS1_11comp_targetILNS1_3genE8ELNS1_11target_archE1030ELNS1_3gpuE2ELNS1_3repE0EEENS1_30default_config_static_selectorELNS0_4arch9wavefront6targetE0EEEvS14_.num_vgpr, 13
	.set _ZN7rocprim17ROCPRIM_400000_NS6detail17trampoline_kernelINS0_14default_configENS1_22reduce_config_selectorIN6thrust23THRUST_200600_302600_NS5tupleIblNS6_9null_typeES8_S8_S8_S8_S8_S8_S8_EEEEZNS1_11reduce_implILb1ES3_NS6_12zip_iteratorINS7_INS6_11hip_rocprim26transform_input_iterator_tIbNSD_35transform_pair_of_input_iterators_tIbNS6_6detail15normal_iteratorINS6_10device_ptrIKjEEEESL_NS6_8equal_toIjEEEENSG_9not_fun_tINSD_8identityEEEEENSD_19counting_iterator_tIlEES8_S8_S8_S8_S8_S8_S8_S8_EEEEPS9_S9_NSD_9__find_if7functorIS9_EEEE10hipError_tPvRmT1_T2_T3_mT4_P12ihipStream_tbEUlT_E0_NS1_11comp_targetILNS1_3genE8ELNS1_11target_archE1030ELNS1_3gpuE2ELNS1_3repE0EEENS1_30default_config_static_selectorELNS0_4arch9wavefront6targetE0EEEvS14_.num_agpr, 0
	.set _ZN7rocprim17ROCPRIM_400000_NS6detail17trampoline_kernelINS0_14default_configENS1_22reduce_config_selectorIN6thrust23THRUST_200600_302600_NS5tupleIblNS6_9null_typeES8_S8_S8_S8_S8_S8_S8_EEEEZNS1_11reduce_implILb1ES3_NS6_12zip_iteratorINS7_INS6_11hip_rocprim26transform_input_iterator_tIbNSD_35transform_pair_of_input_iterators_tIbNS6_6detail15normal_iteratorINS6_10device_ptrIKjEEEESL_NS6_8equal_toIjEEEENSG_9not_fun_tINSD_8identityEEEEENSD_19counting_iterator_tIlEES8_S8_S8_S8_S8_S8_S8_S8_EEEEPS9_S9_NSD_9__find_if7functorIS9_EEEE10hipError_tPvRmT1_T2_T3_mT4_P12ihipStream_tbEUlT_E0_NS1_11comp_targetILNS1_3genE8ELNS1_11target_archE1030ELNS1_3gpuE2ELNS1_3repE0EEENS1_30default_config_static_selectorELNS0_4arch9wavefront6targetE0EEEvS14_.numbered_sgpr, 28
	.set _ZN7rocprim17ROCPRIM_400000_NS6detail17trampoline_kernelINS0_14default_configENS1_22reduce_config_selectorIN6thrust23THRUST_200600_302600_NS5tupleIblNS6_9null_typeES8_S8_S8_S8_S8_S8_S8_EEEEZNS1_11reduce_implILb1ES3_NS6_12zip_iteratorINS7_INS6_11hip_rocprim26transform_input_iterator_tIbNSD_35transform_pair_of_input_iterators_tIbNS6_6detail15normal_iteratorINS6_10device_ptrIKjEEEESL_NS6_8equal_toIjEEEENSG_9not_fun_tINSD_8identityEEEEENSD_19counting_iterator_tIlEES8_S8_S8_S8_S8_S8_S8_S8_EEEEPS9_S9_NSD_9__find_if7functorIS9_EEEE10hipError_tPvRmT1_T2_T3_mT4_P12ihipStream_tbEUlT_E0_NS1_11comp_targetILNS1_3genE8ELNS1_11target_archE1030ELNS1_3gpuE2ELNS1_3repE0EEENS1_30default_config_static_selectorELNS0_4arch9wavefront6targetE0EEEvS14_.num_named_barrier, 0
	.set _ZN7rocprim17ROCPRIM_400000_NS6detail17trampoline_kernelINS0_14default_configENS1_22reduce_config_selectorIN6thrust23THRUST_200600_302600_NS5tupleIblNS6_9null_typeES8_S8_S8_S8_S8_S8_S8_EEEEZNS1_11reduce_implILb1ES3_NS6_12zip_iteratorINS7_INS6_11hip_rocprim26transform_input_iterator_tIbNSD_35transform_pair_of_input_iterators_tIbNS6_6detail15normal_iteratorINS6_10device_ptrIKjEEEESL_NS6_8equal_toIjEEEENSG_9not_fun_tINSD_8identityEEEEENSD_19counting_iterator_tIlEES8_S8_S8_S8_S8_S8_S8_S8_EEEEPS9_S9_NSD_9__find_if7functorIS9_EEEE10hipError_tPvRmT1_T2_T3_mT4_P12ihipStream_tbEUlT_E0_NS1_11comp_targetILNS1_3genE8ELNS1_11target_archE1030ELNS1_3gpuE2ELNS1_3repE0EEENS1_30default_config_static_selectorELNS0_4arch9wavefront6targetE0EEEvS14_.private_seg_size, 0
	.set _ZN7rocprim17ROCPRIM_400000_NS6detail17trampoline_kernelINS0_14default_configENS1_22reduce_config_selectorIN6thrust23THRUST_200600_302600_NS5tupleIblNS6_9null_typeES8_S8_S8_S8_S8_S8_S8_EEEEZNS1_11reduce_implILb1ES3_NS6_12zip_iteratorINS7_INS6_11hip_rocprim26transform_input_iterator_tIbNSD_35transform_pair_of_input_iterators_tIbNS6_6detail15normal_iteratorINS6_10device_ptrIKjEEEESL_NS6_8equal_toIjEEEENSG_9not_fun_tINSD_8identityEEEEENSD_19counting_iterator_tIlEES8_S8_S8_S8_S8_S8_S8_S8_EEEEPS9_S9_NSD_9__find_if7functorIS9_EEEE10hipError_tPvRmT1_T2_T3_mT4_P12ihipStream_tbEUlT_E0_NS1_11comp_targetILNS1_3genE8ELNS1_11target_archE1030ELNS1_3gpuE2ELNS1_3repE0EEENS1_30default_config_static_selectorELNS0_4arch9wavefront6targetE0EEEvS14_.uses_vcc, 1
	.set _ZN7rocprim17ROCPRIM_400000_NS6detail17trampoline_kernelINS0_14default_configENS1_22reduce_config_selectorIN6thrust23THRUST_200600_302600_NS5tupleIblNS6_9null_typeES8_S8_S8_S8_S8_S8_S8_EEEEZNS1_11reduce_implILb1ES3_NS6_12zip_iteratorINS7_INS6_11hip_rocprim26transform_input_iterator_tIbNSD_35transform_pair_of_input_iterators_tIbNS6_6detail15normal_iteratorINS6_10device_ptrIKjEEEESL_NS6_8equal_toIjEEEENSG_9not_fun_tINSD_8identityEEEEENSD_19counting_iterator_tIlEES8_S8_S8_S8_S8_S8_S8_S8_EEEEPS9_S9_NSD_9__find_if7functorIS9_EEEE10hipError_tPvRmT1_T2_T3_mT4_P12ihipStream_tbEUlT_E0_NS1_11comp_targetILNS1_3genE8ELNS1_11target_archE1030ELNS1_3gpuE2ELNS1_3repE0EEENS1_30default_config_static_selectorELNS0_4arch9wavefront6targetE0EEEvS14_.uses_flat_scratch, 0
	.set _ZN7rocprim17ROCPRIM_400000_NS6detail17trampoline_kernelINS0_14default_configENS1_22reduce_config_selectorIN6thrust23THRUST_200600_302600_NS5tupleIblNS6_9null_typeES8_S8_S8_S8_S8_S8_S8_EEEEZNS1_11reduce_implILb1ES3_NS6_12zip_iteratorINS7_INS6_11hip_rocprim26transform_input_iterator_tIbNSD_35transform_pair_of_input_iterators_tIbNS6_6detail15normal_iteratorINS6_10device_ptrIKjEEEESL_NS6_8equal_toIjEEEENSG_9not_fun_tINSD_8identityEEEEENSD_19counting_iterator_tIlEES8_S8_S8_S8_S8_S8_S8_S8_EEEEPS9_S9_NSD_9__find_if7functorIS9_EEEE10hipError_tPvRmT1_T2_T3_mT4_P12ihipStream_tbEUlT_E0_NS1_11comp_targetILNS1_3genE8ELNS1_11target_archE1030ELNS1_3gpuE2ELNS1_3repE0EEENS1_30default_config_static_selectorELNS0_4arch9wavefront6targetE0EEEvS14_.has_dyn_sized_stack, 0
	.set _ZN7rocprim17ROCPRIM_400000_NS6detail17trampoline_kernelINS0_14default_configENS1_22reduce_config_selectorIN6thrust23THRUST_200600_302600_NS5tupleIblNS6_9null_typeES8_S8_S8_S8_S8_S8_S8_EEEEZNS1_11reduce_implILb1ES3_NS6_12zip_iteratorINS7_INS6_11hip_rocprim26transform_input_iterator_tIbNSD_35transform_pair_of_input_iterators_tIbNS6_6detail15normal_iteratorINS6_10device_ptrIKjEEEESL_NS6_8equal_toIjEEEENSG_9not_fun_tINSD_8identityEEEEENSD_19counting_iterator_tIlEES8_S8_S8_S8_S8_S8_S8_S8_EEEEPS9_S9_NSD_9__find_if7functorIS9_EEEE10hipError_tPvRmT1_T2_T3_mT4_P12ihipStream_tbEUlT_E0_NS1_11comp_targetILNS1_3genE8ELNS1_11target_archE1030ELNS1_3gpuE2ELNS1_3repE0EEENS1_30default_config_static_selectorELNS0_4arch9wavefront6targetE0EEEvS14_.has_recursion, 0
	.set _ZN7rocprim17ROCPRIM_400000_NS6detail17trampoline_kernelINS0_14default_configENS1_22reduce_config_selectorIN6thrust23THRUST_200600_302600_NS5tupleIblNS6_9null_typeES8_S8_S8_S8_S8_S8_S8_EEEEZNS1_11reduce_implILb1ES3_NS6_12zip_iteratorINS7_INS6_11hip_rocprim26transform_input_iterator_tIbNSD_35transform_pair_of_input_iterators_tIbNS6_6detail15normal_iteratorINS6_10device_ptrIKjEEEESL_NS6_8equal_toIjEEEENSG_9not_fun_tINSD_8identityEEEEENSD_19counting_iterator_tIlEES8_S8_S8_S8_S8_S8_S8_S8_EEEEPS9_S9_NSD_9__find_if7functorIS9_EEEE10hipError_tPvRmT1_T2_T3_mT4_P12ihipStream_tbEUlT_E0_NS1_11comp_targetILNS1_3genE8ELNS1_11target_archE1030ELNS1_3gpuE2ELNS1_3repE0EEENS1_30default_config_static_selectorELNS0_4arch9wavefront6targetE0EEEvS14_.has_indirect_call, 0
	.section	.AMDGPU.csdata,"",@progbits
; Kernel info:
; codeLenInByte = 3168
; TotalNumSgprs: 30
; NumVgprs: 13
; ScratchSize: 0
; MemoryBound: 0
; FloatMode: 240
; IeeeMode: 1
; LDSByteSize: 256 bytes/workgroup (compile time only)
; SGPRBlocks: 0
; VGPRBlocks: 1
; NumSGPRsForWavesPerEU: 30
; NumVGPRsForWavesPerEU: 13
; Occupancy: 16
; WaveLimiterHint : 0
; COMPUTE_PGM_RSRC2:SCRATCH_EN: 0
; COMPUTE_PGM_RSRC2:USER_SGPR: 6
; COMPUTE_PGM_RSRC2:TRAP_HANDLER: 0
; COMPUTE_PGM_RSRC2:TGID_X_EN: 1
; COMPUTE_PGM_RSRC2:TGID_Y_EN: 0
; COMPUTE_PGM_RSRC2:TGID_Z_EN: 0
; COMPUTE_PGM_RSRC2:TIDIG_COMP_CNT: 0
	.section	.text._ZN7rocprim17ROCPRIM_400000_NS6detail17trampoline_kernelINS0_14default_configENS1_22reduce_config_selectorIN6thrust23THRUST_200600_302600_NS5tupleIblNS6_9null_typeES8_S8_S8_S8_S8_S8_S8_EEEEZNS1_11reduce_implILb1ES3_NS6_12zip_iteratorINS7_INS6_11hip_rocprim26transform_input_iterator_tIbNSD_35transform_pair_of_input_iterators_tIbNS6_6detail15normal_iteratorINS6_10device_ptrIKjEEEESL_NS6_8equal_toIjEEEENSG_9not_fun_tINSD_8identityEEEEENSD_19counting_iterator_tIlEES8_S8_S8_S8_S8_S8_S8_S8_EEEEPS9_S9_NSD_9__find_if7functorIS9_EEEE10hipError_tPvRmT1_T2_T3_mT4_P12ihipStream_tbEUlT_E1_NS1_11comp_targetILNS1_3genE0ELNS1_11target_archE4294967295ELNS1_3gpuE0ELNS1_3repE0EEENS1_30default_config_static_selectorELNS0_4arch9wavefront6targetE0EEEvS14_,"axG",@progbits,_ZN7rocprim17ROCPRIM_400000_NS6detail17trampoline_kernelINS0_14default_configENS1_22reduce_config_selectorIN6thrust23THRUST_200600_302600_NS5tupleIblNS6_9null_typeES8_S8_S8_S8_S8_S8_S8_EEEEZNS1_11reduce_implILb1ES3_NS6_12zip_iteratorINS7_INS6_11hip_rocprim26transform_input_iterator_tIbNSD_35transform_pair_of_input_iterators_tIbNS6_6detail15normal_iteratorINS6_10device_ptrIKjEEEESL_NS6_8equal_toIjEEEENSG_9not_fun_tINSD_8identityEEEEENSD_19counting_iterator_tIlEES8_S8_S8_S8_S8_S8_S8_S8_EEEEPS9_S9_NSD_9__find_if7functorIS9_EEEE10hipError_tPvRmT1_T2_T3_mT4_P12ihipStream_tbEUlT_E1_NS1_11comp_targetILNS1_3genE0ELNS1_11target_archE4294967295ELNS1_3gpuE0ELNS1_3repE0EEENS1_30default_config_static_selectorELNS0_4arch9wavefront6targetE0EEEvS14_,comdat
	.protected	_ZN7rocprim17ROCPRIM_400000_NS6detail17trampoline_kernelINS0_14default_configENS1_22reduce_config_selectorIN6thrust23THRUST_200600_302600_NS5tupleIblNS6_9null_typeES8_S8_S8_S8_S8_S8_S8_EEEEZNS1_11reduce_implILb1ES3_NS6_12zip_iteratorINS7_INS6_11hip_rocprim26transform_input_iterator_tIbNSD_35transform_pair_of_input_iterators_tIbNS6_6detail15normal_iteratorINS6_10device_ptrIKjEEEESL_NS6_8equal_toIjEEEENSG_9not_fun_tINSD_8identityEEEEENSD_19counting_iterator_tIlEES8_S8_S8_S8_S8_S8_S8_S8_EEEEPS9_S9_NSD_9__find_if7functorIS9_EEEE10hipError_tPvRmT1_T2_T3_mT4_P12ihipStream_tbEUlT_E1_NS1_11comp_targetILNS1_3genE0ELNS1_11target_archE4294967295ELNS1_3gpuE0ELNS1_3repE0EEENS1_30default_config_static_selectorELNS0_4arch9wavefront6targetE0EEEvS14_ ; -- Begin function _ZN7rocprim17ROCPRIM_400000_NS6detail17trampoline_kernelINS0_14default_configENS1_22reduce_config_selectorIN6thrust23THRUST_200600_302600_NS5tupleIblNS6_9null_typeES8_S8_S8_S8_S8_S8_S8_EEEEZNS1_11reduce_implILb1ES3_NS6_12zip_iteratorINS7_INS6_11hip_rocprim26transform_input_iterator_tIbNSD_35transform_pair_of_input_iterators_tIbNS6_6detail15normal_iteratorINS6_10device_ptrIKjEEEESL_NS6_8equal_toIjEEEENSG_9not_fun_tINSD_8identityEEEEENSD_19counting_iterator_tIlEES8_S8_S8_S8_S8_S8_S8_S8_EEEEPS9_S9_NSD_9__find_if7functorIS9_EEEE10hipError_tPvRmT1_T2_T3_mT4_P12ihipStream_tbEUlT_E1_NS1_11comp_targetILNS1_3genE0ELNS1_11target_archE4294967295ELNS1_3gpuE0ELNS1_3repE0EEENS1_30default_config_static_selectorELNS0_4arch9wavefront6targetE0EEEvS14_
	.globl	_ZN7rocprim17ROCPRIM_400000_NS6detail17trampoline_kernelINS0_14default_configENS1_22reduce_config_selectorIN6thrust23THRUST_200600_302600_NS5tupleIblNS6_9null_typeES8_S8_S8_S8_S8_S8_S8_EEEEZNS1_11reduce_implILb1ES3_NS6_12zip_iteratorINS7_INS6_11hip_rocprim26transform_input_iterator_tIbNSD_35transform_pair_of_input_iterators_tIbNS6_6detail15normal_iteratorINS6_10device_ptrIKjEEEESL_NS6_8equal_toIjEEEENSG_9not_fun_tINSD_8identityEEEEENSD_19counting_iterator_tIlEES8_S8_S8_S8_S8_S8_S8_S8_EEEEPS9_S9_NSD_9__find_if7functorIS9_EEEE10hipError_tPvRmT1_T2_T3_mT4_P12ihipStream_tbEUlT_E1_NS1_11comp_targetILNS1_3genE0ELNS1_11target_archE4294967295ELNS1_3gpuE0ELNS1_3repE0EEENS1_30default_config_static_selectorELNS0_4arch9wavefront6targetE0EEEvS14_
	.p2align	8
	.type	_ZN7rocprim17ROCPRIM_400000_NS6detail17trampoline_kernelINS0_14default_configENS1_22reduce_config_selectorIN6thrust23THRUST_200600_302600_NS5tupleIblNS6_9null_typeES8_S8_S8_S8_S8_S8_S8_EEEEZNS1_11reduce_implILb1ES3_NS6_12zip_iteratorINS7_INS6_11hip_rocprim26transform_input_iterator_tIbNSD_35transform_pair_of_input_iterators_tIbNS6_6detail15normal_iteratorINS6_10device_ptrIKjEEEESL_NS6_8equal_toIjEEEENSG_9not_fun_tINSD_8identityEEEEENSD_19counting_iterator_tIlEES8_S8_S8_S8_S8_S8_S8_S8_EEEEPS9_S9_NSD_9__find_if7functorIS9_EEEE10hipError_tPvRmT1_T2_T3_mT4_P12ihipStream_tbEUlT_E1_NS1_11comp_targetILNS1_3genE0ELNS1_11target_archE4294967295ELNS1_3gpuE0ELNS1_3repE0EEENS1_30default_config_static_selectorELNS0_4arch9wavefront6targetE0EEEvS14_,@function
_ZN7rocprim17ROCPRIM_400000_NS6detail17trampoline_kernelINS0_14default_configENS1_22reduce_config_selectorIN6thrust23THRUST_200600_302600_NS5tupleIblNS6_9null_typeES8_S8_S8_S8_S8_S8_S8_EEEEZNS1_11reduce_implILb1ES3_NS6_12zip_iteratorINS7_INS6_11hip_rocprim26transform_input_iterator_tIbNSD_35transform_pair_of_input_iterators_tIbNS6_6detail15normal_iteratorINS6_10device_ptrIKjEEEESL_NS6_8equal_toIjEEEENSG_9not_fun_tINSD_8identityEEEEENSD_19counting_iterator_tIlEES8_S8_S8_S8_S8_S8_S8_S8_EEEEPS9_S9_NSD_9__find_if7functorIS9_EEEE10hipError_tPvRmT1_T2_T3_mT4_P12ihipStream_tbEUlT_E1_NS1_11comp_targetILNS1_3genE0ELNS1_11target_archE4294967295ELNS1_3gpuE0ELNS1_3repE0EEENS1_30default_config_static_selectorELNS0_4arch9wavefront6targetE0EEEvS14_: ; @_ZN7rocprim17ROCPRIM_400000_NS6detail17trampoline_kernelINS0_14default_configENS1_22reduce_config_selectorIN6thrust23THRUST_200600_302600_NS5tupleIblNS6_9null_typeES8_S8_S8_S8_S8_S8_S8_EEEEZNS1_11reduce_implILb1ES3_NS6_12zip_iteratorINS7_INS6_11hip_rocprim26transform_input_iterator_tIbNSD_35transform_pair_of_input_iterators_tIbNS6_6detail15normal_iteratorINS6_10device_ptrIKjEEEESL_NS6_8equal_toIjEEEENSG_9not_fun_tINSD_8identityEEEEENSD_19counting_iterator_tIlEES8_S8_S8_S8_S8_S8_S8_S8_EEEEPS9_S9_NSD_9__find_if7functorIS9_EEEE10hipError_tPvRmT1_T2_T3_mT4_P12ihipStream_tbEUlT_E1_NS1_11comp_targetILNS1_3genE0ELNS1_11target_archE4294967295ELNS1_3gpuE0ELNS1_3repE0EEENS1_30default_config_static_selectorELNS0_4arch9wavefront6targetE0EEEvS14_
; %bb.0:
	.section	.rodata,"a",@progbits
	.p2align	6, 0x0
	.amdhsa_kernel _ZN7rocprim17ROCPRIM_400000_NS6detail17trampoline_kernelINS0_14default_configENS1_22reduce_config_selectorIN6thrust23THRUST_200600_302600_NS5tupleIblNS6_9null_typeES8_S8_S8_S8_S8_S8_S8_EEEEZNS1_11reduce_implILb1ES3_NS6_12zip_iteratorINS7_INS6_11hip_rocprim26transform_input_iterator_tIbNSD_35transform_pair_of_input_iterators_tIbNS6_6detail15normal_iteratorINS6_10device_ptrIKjEEEESL_NS6_8equal_toIjEEEENSG_9not_fun_tINSD_8identityEEEEENSD_19counting_iterator_tIlEES8_S8_S8_S8_S8_S8_S8_S8_EEEEPS9_S9_NSD_9__find_if7functorIS9_EEEE10hipError_tPvRmT1_T2_T3_mT4_P12ihipStream_tbEUlT_E1_NS1_11comp_targetILNS1_3genE0ELNS1_11target_archE4294967295ELNS1_3gpuE0ELNS1_3repE0EEENS1_30default_config_static_selectorELNS0_4arch9wavefront6targetE0EEEvS14_
		.amdhsa_group_segment_fixed_size 0
		.amdhsa_private_segment_fixed_size 0
		.amdhsa_kernarg_size 88
		.amdhsa_user_sgpr_count 6
		.amdhsa_user_sgpr_private_segment_buffer 1
		.amdhsa_user_sgpr_dispatch_ptr 0
		.amdhsa_user_sgpr_queue_ptr 0
		.amdhsa_user_sgpr_kernarg_segment_ptr 1
		.amdhsa_user_sgpr_dispatch_id 0
		.amdhsa_user_sgpr_flat_scratch_init 0
		.amdhsa_user_sgpr_private_segment_size 0
		.amdhsa_wavefront_size32 1
		.amdhsa_uses_dynamic_stack 0
		.amdhsa_system_sgpr_private_segment_wavefront_offset 0
		.amdhsa_system_sgpr_workgroup_id_x 1
		.amdhsa_system_sgpr_workgroup_id_y 0
		.amdhsa_system_sgpr_workgroup_id_z 0
		.amdhsa_system_sgpr_workgroup_info 0
		.amdhsa_system_vgpr_workitem_id 0
		.amdhsa_next_free_vgpr 1
		.amdhsa_next_free_sgpr 1
		.amdhsa_reserve_vcc 0
		.amdhsa_reserve_flat_scratch 0
		.amdhsa_float_round_mode_32 0
		.amdhsa_float_round_mode_16_64 0
		.amdhsa_float_denorm_mode_32 3
		.amdhsa_float_denorm_mode_16_64 3
		.amdhsa_dx10_clamp 1
		.amdhsa_ieee_mode 1
		.amdhsa_fp16_overflow 0
		.amdhsa_workgroup_processor_mode 1
		.amdhsa_memory_ordered 1
		.amdhsa_forward_progress 1
		.amdhsa_shared_vgpr_count 0
		.amdhsa_exception_fp_ieee_invalid_op 0
		.amdhsa_exception_fp_denorm_src 0
		.amdhsa_exception_fp_ieee_div_zero 0
		.amdhsa_exception_fp_ieee_overflow 0
		.amdhsa_exception_fp_ieee_underflow 0
		.amdhsa_exception_fp_ieee_inexact 0
		.amdhsa_exception_int_div_zero 0
	.end_amdhsa_kernel
	.section	.text._ZN7rocprim17ROCPRIM_400000_NS6detail17trampoline_kernelINS0_14default_configENS1_22reduce_config_selectorIN6thrust23THRUST_200600_302600_NS5tupleIblNS6_9null_typeES8_S8_S8_S8_S8_S8_S8_EEEEZNS1_11reduce_implILb1ES3_NS6_12zip_iteratorINS7_INS6_11hip_rocprim26transform_input_iterator_tIbNSD_35transform_pair_of_input_iterators_tIbNS6_6detail15normal_iteratorINS6_10device_ptrIKjEEEESL_NS6_8equal_toIjEEEENSG_9not_fun_tINSD_8identityEEEEENSD_19counting_iterator_tIlEES8_S8_S8_S8_S8_S8_S8_S8_EEEEPS9_S9_NSD_9__find_if7functorIS9_EEEE10hipError_tPvRmT1_T2_T3_mT4_P12ihipStream_tbEUlT_E1_NS1_11comp_targetILNS1_3genE0ELNS1_11target_archE4294967295ELNS1_3gpuE0ELNS1_3repE0EEENS1_30default_config_static_selectorELNS0_4arch9wavefront6targetE0EEEvS14_,"axG",@progbits,_ZN7rocprim17ROCPRIM_400000_NS6detail17trampoline_kernelINS0_14default_configENS1_22reduce_config_selectorIN6thrust23THRUST_200600_302600_NS5tupleIblNS6_9null_typeES8_S8_S8_S8_S8_S8_S8_EEEEZNS1_11reduce_implILb1ES3_NS6_12zip_iteratorINS7_INS6_11hip_rocprim26transform_input_iterator_tIbNSD_35transform_pair_of_input_iterators_tIbNS6_6detail15normal_iteratorINS6_10device_ptrIKjEEEESL_NS6_8equal_toIjEEEENSG_9not_fun_tINSD_8identityEEEEENSD_19counting_iterator_tIlEES8_S8_S8_S8_S8_S8_S8_S8_EEEEPS9_S9_NSD_9__find_if7functorIS9_EEEE10hipError_tPvRmT1_T2_T3_mT4_P12ihipStream_tbEUlT_E1_NS1_11comp_targetILNS1_3genE0ELNS1_11target_archE4294967295ELNS1_3gpuE0ELNS1_3repE0EEENS1_30default_config_static_selectorELNS0_4arch9wavefront6targetE0EEEvS14_,comdat
.Lfunc_end160:
	.size	_ZN7rocprim17ROCPRIM_400000_NS6detail17trampoline_kernelINS0_14default_configENS1_22reduce_config_selectorIN6thrust23THRUST_200600_302600_NS5tupleIblNS6_9null_typeES8_S8_S8_S8_S8_S8_S8_EEEEZNS1_11reduce_implILb1ES3_NS6_12zip_iteratorINS7_INS6_11hip_rocprim26transform_input_iterator_tIbNSD_35transform_pair_of_input_iterators_tIbNS6_6detail15normal_iteratorINS6_10device_ptrIKjEEEESL_NS6_8equal_toIjEEEENSG_9not_fun_tINSD_8identityEEEEENSD_19counting_iterator_tIlEES8_S8_S8_S8_S8_S8_S8_S8_EEEEPS9_S9_NSD_9__find_if7functorIS9_EEEE10hipError_tPvRmT1_T2_T3_mT4_P12ihipStream_tbEUlT_E1_NS1_11comp_targetILNS1_3genE0ELNS1_11target_archE4294967295ELNS1_3gpuE0ELNS1_3repE0EEENS1_30default_config_static_selectorELNS0_4arch9wavefront6targetE0EEEvS14_, .Lfunc_end160-_ZN7rocprim17ROCPRIM_400000_NS6detail17trampoline_kernelINS0_14default_configENS1_22reduce_config_selectorIN6thrust23THRUST_200600_302600_NS5tupleIblNS6_9null_typeES8_S8_S8_S8_S8_S8_S8_EEEEZNS1_11reduce_implILb1ES3_NS6_12zip_iteratorINS7_INS6_11hip_rocprim26transform_input_iterator_tIbNSD_35transform_pair_of_input_iterators_tIbNS6_6detail15normal_iteratorINS6_10device_ptrIKjEEEESL_NS6_8equal_toIjEEEENSG_9not_fun_tINSD_8identityEEEEENSD_19counting_iterator_tIlEES8_S8_S8_S8_S8_S8_S8_S8_EEEEPS9_S9_NSD_9__find_if7functorIS9_EEEE10hipError_tPvRmT1_T2_T3_mT4_P12ihipStream_tbEUlT_E1_NS1_11comp_targetILNS1_3genE0ELNS1_11target_archE4294967295ELNS1_3gpuE0ELNS1_3repE0EEENS1_30default_config_static_selectorELNS0_4arch9wavefront6targetE0EEEvS14_
                                        ; -- End function
	.set _ZN7rocprim17ROCPRIM_400000_NS6detail17trampoline_kernelINS0_14default_configENS1_22reduce_config_selectorIN6thrust23THRUST_200600_302600_NS5tupleIblNS6_9null_typeES8_S8_S8_S8_S8_S8_S8_EEEEZNS1_11reduce_implILb1ES3_NS6_12zip_iteratorINS7_INS6_11hip_rocprim26transform_input_iterator_tIbNSD_35transform_pair_of_input_iterators_tIbNS6_6detail15normal_iteratorINS6_10device_ptrIKjEEEESL_NS6_8equal_toIjEEEENSG_9not_fun_tINSD_8identityEEEEENSD_19counting_iterator_tIlEES8_S8_S8_S8_S8_S8_S8_S8_EEEEPS9_S9_NSD_9__find_if7functorIS9_EEEE10hipError_tPvRmT1_T2_T3_mT4_P12ihipStream_tbEUlT_E1_NS1_11comp_targetILNS1_3genE0ELNS1_11target_archE4294967295ELNS1_3gpuE0ELNS1_3repE0EEENS1_30default_config_static_selectorELNS0_4arch9wavefront6targetE0EEEvS14_.num_vgpr, 0
	.set _ZN7rocprim17ROCPRIM_400000_NS6detail17trampoline_kernelINS0_14default_configENS1_22reduce_config_selectorIN6thrust23THRUST_200600_302600_NS5tupleIblNS6_9null_typeES8_S8_S8_S8_S8_S8_S8_EEEEZNS1_11reduce_implILb1ES3_NS6_12zip_iteratorINS7_INS6_11hip_rocprim26transform_input_iterator_tIbNSD_35transform_pair_of_input_iterators_tIbNS6_6detail15normal_iteratorINS6_10device_ptrIKjEEEESL_NS6_8equal_toIjEEEENSG_9not_fun_tINSD_8identityEEEEENSD_19counting_iterator_tIlEES8_S8_S8_S8_S8_S8_S8_S8_EEEEPS9_S9_NSD_9__find_if7functorIS9_EEEE10hipError_tPvRmT1_T2_T3_mT4_P12ihipStream_tbEUlT_E1_NS1_11comp_targetILNS1_3genE0ELNS1_11target_archE4294967295ELNS1_3gpuE0ELNS1_3repE0EEENS1_30default_config_static_selectorELNS0_4arch9wavefront6targetE0EEEvS14_.num_agpr, 0
	.set _ZN7rocprim17ROCPRIM_400000_NS6detail17trampoline_kernelINS0_14default_configENS1_22reduce_config_selectorIN6thrust23THRUST_200600_302600_NS5tupleIblNS6_9null_typeES8_S8_S8_S8_S8_S8_S8_EEEEZNS1_11reduce_implILb1ES3_NS6_12zip_iteratorINS7_INS6_11hip_rocprim26transform_input_iterator_tIbNSD_35transform_pair_of_input_iterators_tIbNS6_6detail15normal_iteratorINS6_10device_ptrIKjEEEESL_NS6_8equal_toIjEEEENSG_9not_fun_tINSD_8identityEEEEENSD_19counting_iterator_tIlEES8_S8_S8_S8_S8_S8_S8_S8_EEEEPS9_S9_NSD_9__find_if7functorIS9_EEEE10hipError_tPvRmT1_T2_T3_mT4_P12ihipStream_tbEUlT_E1_NS1_11comp_targetILNS1_3genE0ELNS1_11target_archE4294967295ELNS1_3gpuE0ELNS1_3repE0EEENS1_30default_config_static_selectorELNS0_4arch9wavefront6targetE0EEEvS14_.numbered_sgpr, 0
	.set _ZN7rocprim17ROCPRIM_400000_NS6detail17trampoline_kernelINS0_14default_configENS1_22reduce_config_selectorIN6thrust23THRUST_200600_302600_NS5tupleIblNS6_9null_typeES8_S8_S8_S8_S8_S8_S8_EEEEZNS1_11reduce_implILb1ES3_NS6_12zip_iteratorINS7_INS6_11hip_rocprim26transform_input_iterator_tIbNSD_35transform_pair_of_input_iterators_tIbNS6_6detail15normal_iteratorINS6_10device_ptrIKjEEEESL_NS6_8equal_toIjEEEENSG_9not_fun_tINSD_8identityEEEEENSD_19counting_iterator_tIlEES8_S8_S8_S8_S8_S8_S8_S8_EEEEPS9_S9_NSD_9__find_if7functorIS9_EEEE10hipError_tPvRmT1_T2_T3_mT4_P12ihipStream_tbEUlT_E1_NS1_11comp_targetILNS1_3genE0ELNS1_11target_archE4294967295ELNS1_3gpuE0ELNS1_3repE0EEENS1_30default_config_static_selectorELNS0_4arch9wavefront6targetE0EEEvS14_.num_named_barrier, 0
	.set _ZN7rocprim17ROCPRIM_400000_NS6detail17trampoline_kernelINS0_14default_configENS1_22reduce_config_selectorIN6thrust23THRUST_200600_302600_NS5tupleIblNS6_9null_typeES8_S8_S8_S8_S8_S8_S8_EEEEZNS1_11reduce_implILb1ES3_NS6_12zip_iteratorINS7_INS6_11hip_rocprim26transform_input_iterator_tIbNSD_35transform_pair_of_input_iterators_tIbNS6_6detail15normal_iteratorINS6_10device_ptrIKjEEEESL_NS6_8equal_toIjEEEENSG_9not_fun_tINSD_8identityEEEEENSD_19counting_iterator_tIlEES8_S8_S8_S8_S8_S8_S8_S8_EEEEPS9_S9_NSD_9__find_if7functorIS9_EEEE10hipError_tPvRmT1_T2_T3_mT4_P12ihipStream_tbEUlT_E1_NS1_11comp_targetILNS1_3genE0ELNS1_11target_archE4294967295ELNS1_3gpuE0ELNS1_3repE0EEENS1_30default_config_static_selectorELNS0_4arch9wavefront6targetE0EEEvS14_.private_seg_size, 0
	.set _ZN7rocprim17ROCPRIM_400000_NS6detail17trampoline_kernelINS0_14default_configENS1_22reduce_config_selectorIN6thrust23THRUST_200600_302600_NS5tupleIblNS6_9null_typeES8_S8_S8_S8_S8_S8_S8_EEEEZNS1_11reduce_implILb1ES3_NS6_12zip_iteratorINS7_INS6_11hip_rocprim26transform_input_iterator_tIbNSD_35transform_pair_of_input_iterators_tIbNS6_6detail15normal_iteratorINS6_10device_ptrIKjEEEESL_NS6_8equal_toIjEEEENSG_9not_fun_tINSD_8identityEEEEENSD_19counting_iterator_tIlEES8_S8_S8_S8_S8_S8_S8_S8_EEEEPS9_S9_NSD_9__find_if7functorIS9_EEEE10hipError_tPvRmT1_T2_T3_mT4_P12ihipStream_tbEUlT_E1_NS1_11comp_targetILNS1_3genE0ELNS1_11target_archE4294967295ELNS1_3gpuE0ELNS1_3repE0EEENS1_30default_config_static_selectorELNS0_4arch9wavefront6targetE0EEEvS14_.uses_vcc, 0
	.set _ZN7rocprim17ROCPRIM_400000_NS6detail17trampoline_kernelINS0_14default_configENS1_22reduce_config_selectorIN6thrust23THRUST_200600_302600_NS5tupleIblNS6_9null_typeES8_S8_S8_S8_S8_S8_S8_EEEEZNS1_11reduce_implILb1ES3_NS6_12zip_iteratorINS7_INS6_11hip_rocprim26transform_input_iterator_tIbNSD_35transform_pair_of_input_iterators_tIbNS6_6detail15normal_iteratorINS6_10device_ptrIKjEEEESL_NS6_8equal_toIjEEEENSG_9not_fun_tINSD_8identityEEEEENSD_19counting_iterator_tIlEES8_S8_S8_S8_S8_S8_S8_S8_EEEEPS9_S9_NSD_9__find_if7functorIS9_EEEE10hipError_tPvRmT1_T2_T3_mT4_P12ihipStream_tbEUlT_E1_NS1_11comp_targetILNS1_3genE0ELNS1_11target_archE4294967295ELNS1_3gpuE0ELNS1_3repE0EEENS1_30default_config_static_selectorELNS0_4arch9wavefront6targetE0EEEvS14_.uses_flat_scratch, 0
	.set _ZN7rocprim17ROCPRIM_400000_NS6detail17trampoline_kernelINS0_14default_configENS1_22reduce_config_selectorIN6thrust23THRUST_200600_302600_NS5tupleIblNS6_9null_typeES8_S8_S8_S8_S8_S8_S8_EEEEZNS1_11reduce_implILb1ES3_NS6_12zip_iteratorINS7_INS6_11hip_rocprim26transform_input_iterator_tIbNSD_35transform_pair_of_input_iterators_tIbNS6_6detail15normal_iteratorINS6_10device_ptrIKjEEEESL_NS6_8equal_toIjEEEENSG_9not_fun_tINSD_8identityEEEEENSD_19counting_iterator_tIlEES8_S8_S8_S8_S8_S8_S8_S8_EEEEPS9_S9_NSD_9__find_if7functorIS9_EEEE10hipError_tPvRmT1_T2_T3_mT4_P12ihipStream_tbEUlT_E1_NS1_11comp_targetILNS1_3genE0ELNS1_11target_archE4294967295ELNS1_3gpuE0ELNS1_3repE0EEENS1_30default_config_static_selectorELNS0_4arch9wavefront6targetE0EEEvS14_.has_dyn_sized_stack, 0
	.set _ZN7rocprim17ROCPRIM_400000_NS6detail17trampoline_kernelINS0_14default_configENS1_22reduce_config_selectorIN6thrust23THRUST_200600_302600_NS5tupleIblNS6_9null_typeES8_S8_S8_S8_S8_S8_S8_EEEEZNS1_11reduce_implILb1ES3_NS6_12zip_iteratorINS7_INS6_11hip_rocprim26transform_input_iterator_tIbNSD_35transform_pair_of_input_iterators_tIbNS6_6detail15normal_iteratorINS6_10device_ptrIKjEEEESL_NS6_8equal_toIjEEEENSG_9not_fun_tINSD_8identityEEEEENSD_19counting_iterator_tIlEES8_S8_S8_S8_S8_S8_S8_S8_EEEEPS9_S9_NSD_9__find_if7functorIS9_EEEE10hipError_tPvRmT1_T2_T3_mT4_P12ihipStream_tbEUlT_E1_NS1_11comp_targetILNS1_3genE0ELNS1_11target_archE4294967295ELNS1_3gpuE0ELNS1_3repE0EEENS1_30default_config_static_selectorELNS0_4arch9wavefront6targetE0EEEvS14_.has_recursion, 0
	.set _ZN7rocprim17ROCPRIM_400000_NS6detail17trampoline_kernelINS0_14default_configENS1_22reduce_config_selectorIN6thrust23THRUST_200600_302600_NS5tupleIblNS6_9null_typeES8_S8_S8_S8_S8_S8_S8_EEEEZNS1_11reduce_implILb1ES3_NS6_12zip_iteratorINS7_INS6_11hip_rocprim26transform_input_iterator_tIbNSD_35transform_pair_of_input_iterators_tIbNS6_6detail15normal_iteratorINS6_10device_ptrIKjEEEESL_NS6_8equal_toIjEEEENSG_9not_fun_tINSD_8identityEEEEENSD_19counting_iterator_tIlEES8_S8_S8_S8_S8_S8_S8_S8_EEEEPS9_S9_NSD_9__find_if7functorIS9_EEEE10hipError_tPvRmT1_T2_T3_mT4_P12ihipStream_tbEUlT_E1_NS1_11comp_targetILNS1_3genE0ELNS1_11target_archE4294967295ELNS1_3gpuE0ELNS1_3repE0EEENS1_30default_config_static_selectorELNS0_4arch9wavefront6targetE0EEEvS14_.has_indirect_call, 0
	.section	.AMDGPU.csdata,"",@progbits
; Kernel info:
; codeLenInByte = 0
; TotalNumSgprs: 0
; NumVgprs: 0
; ScratchSize: 0
; MemoryBound: 0
; FloatMode: 240
; IeeeMode: 1
; LDSByteSize: 0 bytes/workgroup (compile time only)
; SGPRBlocks: 0
; VGPRBlocks: 0
; NumSGPRsForWavesPerEU: 1
; NumVGPRsForWavesPerEU: 1
; Occupancy: 16
; WaveLimiterHint : 0
; COMPUTE_PGM_RSRC2:SCRATCH_EN: 0
; COMPUTE_PGM_RSRC2:USER_SGPR: 6
; COMPUTE_PGM_RSRC2:TRAP_HANDLER: 0
; COMPUTE_PGM_RSRC2:TGID_X_EN: 1
; COMPUTE_PGM_RSRC2:TGID_Y_EN: 0
; COMPUTE_PGM_RSRC2:TGID_Z_EN: 0
; COMPUTE_PGM_RSRC2:TIDIG_COMP_CNT: 0
	.section	.text._ZN7rocprim17ROCPRIM_400000_NS6detail17trampoline_kernelINS0_14default_configENS1_22reduce_config_selectorIN6thrust23THRUST_200600_302600_NS5tupleIblNS6_9null_typeES8_S8_S8_S8_S8_S8_S8_EEEEZNS1_11reduce_implILb1ES3_NS6_12zip_iteratorINS7_INS6_11hip_rocprim26transform_input_iterator_tIbNSD_35transform_pair_of_input_iterators_tIbNS6_6detail15normal_iteratorINS6_10device_ptrIKjEEEESL_NS6_8equal_toIjEEEENSG_9not_fun_tINSD_8identityEEEEENSD_19counting_iterator_tIlEES8_S8_S8_S8_S8_S8_S8_S8_EEEEPS9_S9_NSD_9__find_if7functorIS9_EEEE10hipError_tPvRmT1_T2_T3_mT4_P12ihipStream_tbEUlT_E1_NS1_11comp_targetILNS1_3genE5ELNS1_11target_archE942ELNS1_3gpuE9ELNS1_3repE0EEENS1_30default_config_static_selectorELNS0_4arch9wavefront6targetE0EEEvS14_,"axG",@progbits,_ZN7rocprim17ROCPRIM_400000_NS6detail17trampoline_kernelINS0_14default_configENS1_22reduce_config_selectorIN6thrust23THRUST_200600_302600_NS5tupleIblNS6_9null_typeES8_S8_S8_S8_S8_S8_S8_EEEEZNS1_11reduce_implILb1ES3_NS6_12zip_iteratorINS7_INS6_11hip_rocprim26transform_input_iterator_tIbNSD_35transform_pair_of_input_iterators_tIbNS6_6detail15normal_iteratorINS6_10device_ptrIKjEEEESL_NS6_8equal_toIjEEEENSG_9not_fun_tINSD_8identityEEEEENSD_19counting_iterator_tIlEES8_S8_S8_S8_S8_S8_S8_S8_EEEEPS9_S9_NSD_9__find_if7functorIS9_EEEE10hipError_tPvRmT1_T2_T3_mT4_P12ihipStream_tbEUlT_E1_NS1_11comp_targetILNS1_3genE5ELNS1_11target_archE942ELNS1_3gpuE9ELNS1_3repE0EEENS1_30default_config_static_selectorELNS0_4arch9wavefront6targetE0EEEvS14_,comdat
	.protected	_ZN7rocprim17ROCPRIM_400000_NS6detail17trampoline_kernelINS0_14default_configENS1_22reduce_config_selectorIN6thrust23THRUST_200600_302600_NS5tupleIblNS6_9null_typeES8_S8_S8_S8_S8_S8_S8_EEEEZNS1_11reduce_implILb1ES3_NS6_12zip_iteratorINS7_INS6_11hip_rocprim26transform_input_iterator_tIbNSD_35transform_pair_of_input_iterators_tIbNS6_6detail15normal_iteratorINS6_10device_ptrIKjEEEESL_NS6_8equal_toIjEEEENSG_9not_fun_tINSD_8identityEEEEENSD_19counting_iterator_tIlEES8_S8_S8_S8_S8_S8_S8_S8_EEEEPS9_S9_NSD_9__find_if7functorIS9_EEEE10hipError_tPvRmT1_T2_T3_mT4_P12ihipStream_tbEUlT_E1_NS1_11comp_targetILNS1_3genE5ELNS1_11target_archE942ELNS1_3gpuE9ELNS1_3repE0EEENS1_30default_config_static_selectorELNS0_4arch9wavefront6targetE0EEEvS14_ ; -- Begin function _ZN7rocprim17ROCPRIM_400000_NS6detail17trampoline_kernelINS0_14default_configENS1_22reduce_config_selectorIN6thrust23THRUST_200600_302600_NS5tupleIblNS6_9null_typeES8_S8_S8_S8_S8_S8_S8_EEEEZNS1_11reduce_implILb1ES3_NS6_12zip_iteratorINS7_INS6_11hip_rocprim26transform_input_iterator_tIbNSD_35transform_pair_of_input_iterators_tIbNS6_6detail15normal_iteratorINS6_10device_ptrIKjEEEESL_NS6_8equal_toIjEEEENSG_9not_fun_tINSD_8identityEEEEENSD_19counting_iterator_tIlEES8_S8_S8_S8_S8_S8_S8_S8_EEEEPS9_S9_NSD_9__find_if7functorIS9_EEEE10hipError_tPvRmT1_T2_T3_mT4_P12ihipStream_tbEUlT_E1_NS1_11comp_targetILNS1_3genE5ELNS1_11target_archE942ELNS1_3gpuE9ELNS1_3repE0EEENS1_30default_config_static_selectorELNS0_4arch9wavefront6targetE0EEEvS14_
	.globl	_ZN7rocprim17ROCPRIM_400000_NS6detail17trampoline_kernelINS0_14default_configENS1_22reduce_config_selectorIN6thrust23THRUST_200600_302600_NS5tupleIblNS6_9null_typeES8_S8_S8_S8_S8_S8_S8_EEEEZNS1_11reduce_implILb1ES3_NS6_12zip_iteratorINS7_INS6_11hip_rocprim26transform_input_iterator_tIbNSD_35transform_pair_of_input_iterators_tIbNS6_6detail15normal_iteratorINS6_10device_ptrIKjEEEESL_NS6_8equal_toIjEEEENSG_9not_fun_tINSD_8identityEEEEENSD_19counting_iterator_tIlEES8_S8_S8_S8_S8_S8_S8_S8_EEEEPS9_S9_NSD_9__find_if7functorIS9_EEEE10hipError_tPvRmT1_T2_T3_mT4_P12ihipStream_tbEUlT_E1_NS1_11comp_targetILNS1_3genE5ELNS1_11target_archE942ELNS1_3gpuE9ELNS1_3repE0EEENS1_30default_config_static_selectorELNS0_4arch9wavefront6targetE0EEEvS14_
	.p2align	8
	.type	_ZN7rocprim17ROCPRIM_400000_NS6detail17trampoline_kernelINS0_14default_configENS1_22reduce_config_selectorIN6thrust23THRUST_200600_302600_NS5tupleIblNS6_9null_typeES8_S8_S8_S8_S8_S8_S8_EEEEZNS1_11reduce_implILb1ES3_NS6_12zip_iteratorINS7_INS6_11hip_rocprim26transform_input_iterator_tIbNSD_35transform_pair_of_input_iterators_tIbNS6_6detail15normal_iteratorINS6_10device_ptrIKjEEEESL_NS6_8equal_toIjEEEENSG_9not_fun_tINSD_8identityEEEEENSD_19counting_iterator_tIlEES8_S8_S8_S8_S8_S8_S8_S8_EEEEPS9_S9_NSD_9__find_if7functorIS9_EEEE10hipError_tPvRmT1_T2_T3_mT4_P12ihipStream_tbEUlT_E1_NS1_11comp_targetILNS1_3genE5ELNS1_11target_archE942ELNS1_3gpuE9ELNS1_3repE0EEENS1_30default_config_static_selectorELNS0_4arch9wavefront6targetE0EEEvS14_,@function
_ZN7rocprim17ROCPRIM_400000_NS6detail17trampoline_kernelINS0_14default_configENS1_22reduce_config_selectorIN6thrust23THRUST_200600_302600_NS5tupleIblNS6_9null_typeES8_S8_S8_S8_S8_S8_S8_EEEEZNS1_11reduce_implILb1ES3_NS6_12zip_iteratorINS7_INS6_11hip_rocprim26transform_input_iterator_tIbNSD_35transform_pair_of_input_iterators_tIbNS6_6detail15normal_iteratorINS6_10device_ptrIKjEEEESL_NS6_8equal_toIjEEEENSG_9not_fun_tINSD_8identityEEEEENSD_19counting_iterator_tIlEES8_S8_S8_S8_S8_S8_S8_S8_EEEEPS9_S9_NSD_9__find_if7functorIS9_EEEE10hipError_tPvRmT1_T2_T3_mT4_P12ihipStream_tbEUlT_E1_NS1_11comp_targetILNS1_3genE5ELNS1_11target_archE942ELNS1_3gpuE9ELNS1_3repE0EEENS1_30default_config_static_selectorELNS0_4arch9wavefront6targetE0EEEvS14_: ; @_ZN7rocprim17ROCPRIM_400000_NS6detail17trampoline_kernelINS0_14default_configENS1_22reduce_config_selectorIN6thrust23THRUST_200600_302600_NS5tupleIblNS6_9null_typeES8_S8_S8_S8_S8_S8_S8_EEEEZNS1_11reduce_implILb1ES3_NS6_12zip_iteratorINS7_INS6_11hip_rocprim26transform_input_iterator_tIbNSD_35transform_pair_of_input_iterators_tIbNS6_6detail15normal_iteratorINS6_10device_ptrIKjEEEESL_NS6_8equal_toIjEEEENSG_9not_fun_tINSD_8identityEEEEENSD_19counting_iterator_tIlEES8_S8_S8_S8_S8_S8_S8_S8_EEEEPS9_S9_NSD_9__find_if7functorIS9_EEEE10hipError_tPvRmT1_T2_T3_mT4_P12ihipStream_tbEUlT_E1_NS1_11comp_targetILNS1_3genE5ELNS1_11target_archE942ELNS1_3gpuE9ELNS1_3repE0EEENS1_30default_config_static_selectorELNS0_4arch9wavefront6targetE0EEEvS14_
; %bb.0:
	.section	.rodata,"a",@progbits
	.p2align	6, 0x0
	.amdhsa_kernel _ZN7rocprim17ROCPRIM_400000_NS6detail17trampoline_kernelINS0_14default_configENS1_22reduce_config_selectorIN6thrust23THRUST_200600_302600_NS5tupleIblNS6_9null_typeES8_S8_S8_S8_S8_S8_S8_EEEEZNS1_11reduce_implILb1ES3_NS6_12zip_iteratorINS7_INS6_11hip_rocprim26transform_input_iterator_tIbNSD_35transform_pair_of_input_iterators_tIbNS6_6detail15normal_iteratorINS6_10device_ptrIKjEEEESL_NS6_8equal_toIjEEEENSG_9not_fun_tINSD_8identityEEEEENSD_19counting_iterator_tIlEES8_S8_S8_S8_S8_S8_S8_S8_EEEEPS9_S9_NSD_9__find_if7functorIS9_EEEE10hipError_tPvRmT1_T2_T3_mT4_P12ihipStream_tbEUlT_E1_NS1_11comp_targetILNS1_3genE5ELNS1_11target_archE942ELNS1_3gpuE9ELNS1_3repE0EEENS1_30default_config_static_selectorELNS0_4arch9wavefront6targetE0EEEvS14_
		.amdhsa_group_segment_fixed_size 0
		.amdhsa_private_segment_fixed_size 0
		.amdhsa_kernarg_size 88
		.amdhsa_user_sgpr_count 6
		.amdhsa_user_sgpr_private_segment_buffer 1
		.amdhsa_user_sgpr_dispatch_ptr 0
		.amdhsa_user_sgpr_queue_ptr 0
		.amdhsa_user_sgpr_kernarg_segment_ptr 1
		.amdhsa_user_sgpr_dispatch_id 0
		.amdhsa_user_sgpr_flat_scratch_init 0
		.amdhsa_user_sgpr_private_segment_size 0
		.amdhsa_wavefront_size32 1
		.amdhsa_uses_dynamic_stack 0
		.amdhsa_system_sgpr_private_segment_wavefront_offset 0
		.amdhsa_system_sgpr_workgroup_id_x 1
		.amdhsa_system_sgpr_workgroup_id_y 0
		.amdhsa_system_sgpr_workgroup_id_z 0
		.amdhsa_system_sgpr_workgroup_info 0
		.amdhsa_system_vgpr_workitem_id 0
		.amdhsa_next_free_vgpr 1
		.amdhsa_next_free_sgpr 1
		.amdhsa_reserve_vcc 0
		.amdhsa_reserve_flat_scratch 0
		.amdhsa_float_round_mode_32 0
		.amdhsa_float_round_mode_16_64 0
		.amdhsa_float_denorm_mode_32 3
		.amdhsa_float_denorm_mode_16_64 3
		.amdhsa_dx10_clamp 1
		.amdhsa_ieee_mode 1
		.amdhsa_fp16_overflow 0
		.amdhsa_workgroup_processor_mode 1
		.amdhsa_memory_ordered 1
		.amdhsa_forward_progress 1
		.amdhsa_shared_vgpr_count 0
		.amdhsa_exception_fp_ieee_invalid_op 0
		.amdhsa_exception_fp_denorm_src 0
		.amdhsa_exception_fp_ieee_div_zero 0
		.amdhsa_exception_fp_ieee_overflow 0
		.amdhsa_exception_fp_ieee_underflow 0
		.amdhsa_exception_fp_ieee_inexact 0
		.amdhsa_exception_int_div_zero 0
	.end_amdhsa_kernel
	.section	.text._ZN7rocprim17ROCPRIM_400000_NS6detail17trampoline_kernelINS0_14default_configENS1_22reduce_config_selectorIN6thrust23THRUST_200600_302600_NS5tupleIblNS6_9null_typeES8_S8_S8_S8_S8_S8_S8_EEEEZNS1_11reduce_implILb1ES3_NS6_12zip_iteratorINS7_INS6_11hip_rocprim26transform_input_iterator_tIbNSD_35transform_pair_of_input_iterators_tIbNS6_6detail15normal_iteratorINS6_10device_ptrIKjEEEESL_NS6_8equal_toIjEEEENSG_9not_fun_tINSD_8identityEEEEENSD_19counting_iterator_tIlEES8_S8_S8_S8_S8_S8_S8_S8_EEEEPS9_S9_NSD_9__find_if7functorIS9_EEEE10hipError_tPvRmT1_T2_T3_mT4_P12ihipStream_tbEUlT_E1_NS1_11comp_targetILNS1_3genE5ELNS1_11target_archE942ELNS1_3gpuE9ELNS1_3repE0EEENS1_30default_config_static_selectorELNS0_4arch9wavefront6targetE0EEEvS14_,"axG",@progbits,_ZN7rocprim17ROCPRIM_400000_NS6detail17trampoline_kernelINS0_14default_configENS1_22reduce_config_selectorIN6thrust23THRUST_200600_302600_NS5tupleIblNS6_9null_typeES8_S8_S8_S8_S8_S8_S8_EEEEZNS1_11reduce_implILb1ES3_NS6_12zip_iteratorINS7_INS6_11hip_rocprim26transform_input_iterator_tIbNSD_35transform_pair_of_input_iterators_tIbNS6_6detail15normal_iteratorINS6_10device_ptrIKjEEEESL_NS6_8equal_toIjEEEENSG_9not_fun_tINSD_8identityEEEEENSD_19counting_iterator_tIlEES8_S8_S8_S8_S8_S8_S8_S8_EEEEPS9_S9_NSD_9__find_if7functorIS9_EEEE10hipError_tPvRmT1_T2_T3_mT4_P12ihipStream_tbEUlT_E1_NS1_11comp_targetILNS1_3genE5ELNS1_11target_archE942ELNS1_3gpuE9ELNS1_3repE0EEENS1_30default_config_static_selectorELNS0_4arch9wavefront6targetE0EEEvS14_,comdat
.Lfunc_end161:
	.size	_ZN7rocprim17ROCPRIM_400000_NS6detail17trampoline_kernelINS0_14default_configENS1_22reduce_config_selectorIN6thrust23THRUST_200600_302600_NS5tupleIblNS6_9null_typeES8_S8_S8_S8_S8_S8_S8_EEEEZNS1_11reduce_implILb1ES3_NS6_12zip_iteratorINS7_INS6_11hip_rocprim26transform_input_iterator_tIbNSD_35transform_pair_of_input_iterators_tIbNS6_6detail15normal_iteratorINS6_10device_ptrIKjEEEESL_NS6_8equal_toIjEEEENSG_9not_fun_tINSD_8identityEEEEENSD_19counting_iterator_tIlEES8_S8_S8_S8_S8_S8_S8_S8_EEEEPS9_S9_NSD_9__find_if7functorIS9_EEEE10hipError_tPvRmT1_T2_T3_mT4_P12ihipStream_tbEUlT_E1_NS1_11comp_targetILNS1_3genE5ELNS1_11target_archE942ELNS1_3gpuE9ELNS1_3repE0EEENS1_30default_config_static_selectorELNS0_4arch9wavefront6targetE0EEEvS14_, .Lfunc_end161-_ZN7rocprim17ROCPRIM_400000_NS6detail17trampoline_kernelINS0_14default_configENS1_22reduce_config_selectorIN6thrust23THRUST_200600_302600_NS5tupleIblNS6_9null_typeES8_S8_S8_S8_S8_S8_S8_EEEEZNS1_11reduce_implILb1ES3_NS6_12zip_iteratorINS7_INS6_11hip_rocprim26transform_input_iterator_tIbNSD_35transform_pair_of_input_iterators_tIbNS6_6detail15normal_iteratorINS6_10device_ptrIKjEEEESL_NS6_8equal_toIjEEEENSG_9not_fun_tINSD_8identityEEEEENSD_19counting_iterator_tIlEES8_S8_S8_S8_S8_S8_S8_S8_EEEEPS9_S9_NSD_9__find_if7functorIS9_EEEE10hipError_tPvRmT1_T2_T3_mT4_P12ihipStream_tbEUlT_E1_NS1_11comp_targetILNS1_3genE5ELNS1_11target_archE942ELNS1_3gpuE9ELNS1_3repE0EEENS1_30default_config_static_selectorELNS0_4arch9wavefront6targetE0EEEvS14_
                                        ; -- End function
	.set _ZN7rocprim17ROCPRIM_400000_NS6detail17trampoline_kernelINS0_14default_configENS1_22reduce_config_selectorIN6thrust23THRUST_200600_302600_NS5tupleIblNS6_9null_typeES8_S8_S8_S8_S8_S8_S8_EEEEZNS1_11reduce_implILb1ES3_NS6_12zip_iteratorINS7_INS6_11hip_rocprim26transform_input_iterator_tIbNSD_35transform_pair_of_input_iterators_tIbNS6_6detail15normal_iteratorINS6_10device_ptrIKjEEEESL_NS6_8equal_toIjEEEENSG_9not_fun_tINSD_8identityEEEEENSD_19counting_iterator_tIlEES8_S8_S8_S8_S8_S8_S8_S8_EEEEPS9_S9_NSD_9__find_if7functorIS9_EEEE10hipError_tPvRmT1_T2_T3_mT4_P12ihipStream_tbEUlT_E1_NS1_11comp_targetILNS1_3genE5ELNS1_11target_archE942ELNS1_3gpuE9ELNS1_3repE0EEENS1_30default_config_static_selectorELNS0_4arch9wavefront6targetE0EEEvS14_.num_vgpr, 0
	.set _ZN7rocprim17ROCPRIM_400000_NS6detail17trampoline_kernelINS0_14default_configENS1_22reduce_config_selectorIN6thrust23THRUST_200600_302600_NS5tupleIblNS6_9null_typeES8_S8_S8_S8_S8_S8_S8_EEEEZNS1_11reduce_implILb1ES3_NS6_12zip_iteratorINS7_INS6_11hip_rocprim26transform_input_iterator_tIbNSD_35transform_pair_of_input_iterators_tIbNS6_6detail15normal_iteratorINS6_10device_ptrIKjEEEESL_NS6_8equal_toIjEEEENSG_9not_fun_tINSD_8identityEEEEENSD_19counting_iterator_tIlEES8_S8_S8_S8_S8_S8_S8_S8_EEEEPS9_S9_NSD_9__find_if7functorIS9_EEEE10hipError_tPvRmT1_T2_T3_mT4_P12ihipStream_tbEUlT_E1_NS1_11comp_targetILNS1_3genE5ELNS1_11target_archE942ELNS1_3gpuE9ELNS1_3repE0EEENS1_30default_config_static_selectorELNS0_4arch9wavefront6targetE0EEEvS14_.num_agpr, 0
	.set _ZN7rocprim17ROCPRIM_400000_NS6detail17trampoline_kernelINS0_14default_configENS1_22reduce_config_selectorIN6thrust23THRUST_200600_302600_NS5tupleIblNS6_9null_typeES8_S8_S8_S8_S8_S8_S8_EEEEZNS1_11reduce_implILb1ES3_NS6_12zip_iteratorINS7_INS6_11hip_rocprim26transform_input_iterator_tIbNSD_35transform_pair_of_input_iterators_tIbNS6_6detail15normal_iteratorINS6_10device_ptrIKjEEEESL_NS6_8equal_toIjEEEENSG_9not_fun_tINSD_8identityEEEEENSD_19counting_iterator_tIlEES8_S8_S8_S8_S8_S8_S8_S8_EEEEPS9_S9_NSD_9__find_if7functorIS9_EEEE10hipError_tPvRmT1_T2_T3_mT4_P12ihipStream_tbEUlT_E1_NS1_11comp_targetILNS1_3genE5ELNS1_11target_archE942ELNS1_3gpuE9ELNS1_3repE0EEENS1_30default_config_static_selectorELNS0_4arch9wavefront6targetE0EEEvS14_.numbered_sgpr, 0
	.set _ZN7rocprim17ROCPRIM_400000_NS6detail17trampoline_kernelINS0_14default_configENS1_22reduce_config_selectorIN6thrust23THRUST_200600_302600_NS5tupleIblNS6_9null_typeES8_S8_S8_S8_S8_S8_S8_EEEEZNS1_11reduce_implILb1ES3_NS6_12zip_iteratorINS7_INS6_11hip_rocprim26transform_input_iterator_tIbNSD_35transform_pair_of_input_iterators_tIbNS6_6detail15normal_iteratorINS6_10device_ptrIKjEEEESL_NS6_8equal_toIjEEEENSG_9not_fun_tINSD_8identityEEEEENSD_19counting_iterator_tIlEES8_S8_S8_S8_S8_S8_S8_S8_EEEEPS9_S9_NSD_9__find_if7functorIS9_EEEE10hipError_tPvRmT1_T2_T3_mT4_P12ihipStream_tbEUlT_E1_NS1_11comp_targetILNS1_3genE5ELNS1_11target_archE942ELNS1_3gpuE9ELNS1_3repE0EEENS1_30default_config_static_selectorELNS0_4arch9wavefront6targetE0EEEvS14_.num_named_barrier, 0
	.set _ZN7rocprim17ROCPRIM_400000_NS6detail17trampoline_kernelINS0_14default_configENS1_22reduce_config_selectorIN6thrust23THRUST_200600_302600_NS5tupleIblNS6_9null_typeES8_S8_S8_S8_S8_S8_S8_EEEEZNS1_11reduce_implILb1ES3_NS6_12zip_iteratorINS7_INS6_11hip_rocprim26transform_input_iterator_tIbNSD_35transform_pair_of_input_iterators_tIbNS6_6detail15normal_iteratorINS6_10device_ptrIKjEEEESL_NS6_8equal_toIjEEEENSG_9not_fun_tINSD_8identityEEEEENSD_19counting_iterator_tIlEES8_S8_S8_S8_S8_S8_S8_S8_EEEEPS9_S9_NSD_9__find_if7functorIS9_EEEE10hipError_tPvRmT1_T2_T3_mT4_P12ihipStream_tbEUlT_E1_NS1_11comp_targetILNS1_3genE5ELNS1_11target_archE942ELNS1_3gpuE9ELNS1_3repE0EEENS1_30default_config_static_selectorELNS0_4arch9wavefront6targetE0EEEvS14_.private_seg_size, 0
	.set _ZN7rocprim17ROCPRIM_400000_NS6detail17trampoline_kernelINS0_14default_configENS1_22reduce_config_selectorIN6thrust23THRUST_200600_302600_NS5tupleIblNS6_9null_typeES8_S8_S8_S8_S8_S8_S8_EEEEZNS1_11reduce_implILb1ES3_NS6_12zip_iteratorINS7_INS6_11hip_rocprim26transform_input_iterator_tIbNSD_35transform_pair_of_input_iterators_tIbNS6_6detail15normal_iteratorINS6_10device_ptrIKjEEEESL_NS6_8equal_toIjEEEENSG_9not_fun_tINSD_8identityEEEEENSD_19counting_iterator_tIlEES8_S8_S8_S8_S8_S8_S8_S8_EEEEPS9_S9_NSD_9__find_if7functorIS9_EEEE10hipError_tPvRmT1_T2_T3_mT4_P12ihipStream_tbEUlT_E1_NS1_11comp_targetILNS1_3genE5ELNS1_11target_archE942ELNS1_3gpuE9ELNS1_3repE0EEENS1_30default_config_static_selectorELNS0_4arch9wavefront6targetE0EEEvS14_.uses_vcc, 0
	.set _ZN7rocprim17ROCPRIM_400000_NS6detail17trampoline_kernelINS0_14default_configENS1_22reduce_config_selectorIN6thrust23THRUST_200600_302600_NS5tupleIblNS6_9null_typeES8_S8_S8_S8_S8_S8_S8_EEEEZNS1_11reduce_implILb1ES3_NS6_12zip_iteratorINS7_INS6_11hip_rocprim26transform_input_iterator_tIbNSD_35transform_pair_of_input_iterators_tIbNS6_6detail15normal_iteratorINS6_10device_ptrIKjEEEESL_NS6_8equal_toIjEEEENSG_9not_fun_tINSD_8identityEEEEENSD_19counting_iterator_tIlEES8_S8_S8_S8_S8_S8_S8_S8_EEEEPS9_S9_NSD_9__find_if7functorIS9_EEEE10hipError_tPvRmT1_T2_T3_mT4_P12ihipStream_tbEUlT_E1_NS1_11comp_targetILNS1_3genE5ELNS1_11target_archE942ELNS1_3gpuE9ELNS1_3repE0EEENS1_30default_config_static_selectorELNS0_4arch9wavefront6targetE0EEEvS14_.uses_flat_scratch, 0
	.set _ZN7rocprim17ROCPRIM_400000_NS6detail17trampoline_kernelINS0_14default_configENS1_22reduce_config_selectorIN6thrust23THRUST_200600_302600_NS5tupleIblNS6_9null_typeES8_S8_S8_S8_S8_S8_S8_EEEEZNS1_11reduce_implILb1ES3_NS6_12zip_iteratorINS7_INS6_11hip_rocprim26transform_input_iterator_tIbNSD_35transform_pair_of_input_iterators_tIbNS6_6detail15normal_iteratorINS6_10device_ptrIKjEEEESL_NS6_8equal_toIjEEEENSG_9not_fun_tINSD_8identityEEEEENSD_19counting_iterator_tIlEES8_S8_S8_S8_S8_S8_S8_S8_EEEEPS9_S9_NSD_9__find_if7functorIS9_EEEE10hipError_tPvRmT1_T2_T3_mT4_P12ihipStream_tbEUlT_E1_NS1_11comp_targetILNS1_3genE5ELNS1_11target_archE942ELNS1_3gpuE9ELNS1_3repE0EEENS1_30default_config_static_selectorELNS0_4arch9wavefront6targetE0EEEvS14_.has_dyn_sized_stack, 0
	.set _ZN7rocprim17ROCPRIM_400000_NS6detail17trampoline_kernelINS0_14default_configENS1_22reduce_config_selectorIN6thrust23THRUST_200600_302600_NS5tupleIblNS6_9null_typeES8_S8_S8_S8_S8_S8_S8_EEEEZNS1_11reduce_implILb1ES3_NS6_12zip_iteratorINS7_INS6_11hip_rocprim26transform_input_iterator_tIbNSD_35transform_pair_of_input_iterators_tIbNS6_6detail15normal_iteratorINS6_10device_ptrIKjEEEESL_NS6_8equal_toIjEEEENSG_9not_fun_tINSD_8identityEEEEENSD_19counting_iterator_tIlEES8_S8_S8_S8_S8_S8_S8_S8_EEEEPS9_S9_NSD_9__find_if7functorIS9_EEEE10hipError_tPvRmT1_T2_T3_mT4_P12ihipStream_tbEUlT_E1_NS1_11comp_targetILNS1_3genE5ELNS1_11target_archE942ELNS1_3gpuE9ELNS1_3repE0EEENS1_30default_config_static_selectorELNS0_4arch9wavefront6targetE0EEEvS14_.has_recursion, 0
	.set _ZN7rocprim17ROCPRIM_400000_NS6detail17trampoline_kernelINS0_14default_configENS1_22reduce_config_selectorIN6thrust23THRUST_200600_302600_NS5tupleIblNS6_9null_typeES8_S8_S8_S8_S8_S8_S8_EEEEZNS1_11reduce_implILb1ES3_NS6_12zip_iteratorINS7_INS6_11hip_rocprim26transform_input_iterator_tIbNSD_35transform_pair_of_input_iterators_tIbNS6_6detail15normal_iteratorINS6_10device_ptrIKjEEEESL_NS6_8equal_toIjEEEENSG_9not_fun_tINSD_8identityEEEEENSD_19counting_iterator_tIlEES8_S8_S8_S8_S8_S8_S8_S8_EEEEPS9_S9_NSD_9__find_if7functorIS9_EEEE10hipError_tPvRmT1_T2_T3_mT4_P12ihipStream_tbEUlT_E1_NS1_11comp_targetILNS1_3genE5ELNS1_11target_archE942ELNS1_3gpuE9ELNS1_3repE0EEENS1_30default_config_static_selectorELNS0_4arch9wavefront6targetE0EEEvS14_.has_indirect_call, 0
	.section	.AMDGPU.csdata,"",@progbits
; Kernel info:
; codeLenInByte = 0
; TotalNumSgprs: 0
; NumVgprs: 0
; ScratchSize: 0
; MemoryBound: 0
; FloatMode: 240
; IeeeMode: 1
; LDSByteSize: 0 bytes/workgroup (compile time only)
; SGPRBlocks: 0
; VGPRBlocks: 0
; NumSGPRsForWavesPerEU: 1
; NumVGPRsForWavesPerEU: 1
; Occupancy: 16
; WaveLimiterHint : 0
; COMPUTE_PGM_RSRC2:SCRATCH_EN: 0
; COMPUTE_PGM_RSRC2:USER_SGPR: 6
; COMPUTE_PGM_RSRC2:TRAP_HANDLER: 0
; COMPUTE_PGM_RSRC2:TGID_X_EN: 1
; COMPUTE_PGM_RSRC2:TGID_Y_EN: 0
; COMPUTE_PGM_RSRC2:TGID_Z_EN: 0
; COMPUTE_PGM_RSRC2:TIDIG_COMP_CNT: 0
	.section	.text._ZN7rocprim17ROCPRIM_400000_NS6detail17trampoline_kernelINS0_14default_configENS1_22reduce_config_selectorIN6thrust23THRUST_200600_302600_NS5tupleIblNS6_9null_typeES8_S8_S8_S8_S8_S8_S8_EEEEZNS1_11reduce_implILb1ES3_NS6_12zip_iteratorINS7_INS6_11hip_rocprim26transform_input_iterator_tIbNSD_35transform_pair_of_input_iterators_tIbNS6_6detail15normal_iteratorINS6_10device_ptrIKjEEEESL_NS6_8equal_toIjEEEENSG_9not_fun_tINSD_8identityEEEEENSD_19counting_iterator_tIlEES8_S8_S8_S8_S8_S8_S8_S8_EEEEPS9_S9_NSD_9__find_if7functorIS9_EEEE10hipError_tPvRmT1_T2_T3_mT4_P12ihipStream_tbEUlT_E1_NS1_11comp_targetILNS1_3genE4ELNS1_11target_archE910ELNS1_3gpuE8ELNS1_3repE0EEENS1_30default_config_static_selectorELNS0_4arch9wavefront6targetE0EEEvS14_,"axG",@progbits,_ZN7rocprim17ROCPRIM_400000_NS6detail17trampoline_kernelINS0_14default_configENS1_22reduce_config_selectorIN6thrust23THRUST_200600_302600_NS5tupleIblNS6_9null_typeES8_S8_S8_S8_S8_S8_S8_EEEEZNS1_11reduce_implILb1ES3_NS6_12zip_iteratorINS7_INS6_11hip_rocprim26transform_input_iterator_tIbNSD_35transform_pair_of_input_iterators_tIbNS6_6detail15normal_iteratorINS6_10device_ptrIKjEEEESL_NS6_8equal_toIjEEEENSG_9not_fun_tINSD_8identityEEEEENSD_19counting_iterator_tIlEES8_S8_S8_S8_S8_S8_S8_S8_EEEEPS9_S9_NSD_9__find_if7functorIS9_EEEE10hipError_tPvRmT1_T2_T3_mT4_P12ihipStream_tbEUlT_E1_NS1_11comp_targetILNS1_3genE4ELNS1_11target_archE910ELNS1_3gpuE8ELNS1_3repE0EEENS1_30default_config_static_selectorELNS0_4arch9wavefront6targetE0EEEvS14_,comdat
	.protected	_ZN7rocprim17ROCPRIM_400000_NS6detail17trampoline_kernelINS0_14default_configENS1_22reduce_config_selectorIN6thrust23THRUST_200600_302600_NS5tupleIblNS6_9null_typeES8_S8_S8_S8_S8_S8_S8_EEEEZNS1_11reduce_implILb1ES3_NS6_12zip_iteratorINS7_INS6_11hip_rocprim26transform_input_iterator_tIbNSD_35transform_pair_of_input_iterators_tIbNS6_6detail15normal_iteratorINS6_10device_ptrIKjEEEESL_NS6_8equal_toIjEEEENSG_9not_fun_tINSD_8identityEEEEENSD_19counting_iterator_tIlEES8_S8_S8_S8_S8_S8_S8_S8_EEEEPS9_S9_NSD_9__find_if7functorIS9_EEEE10hipError_tPvRmT1_T2_T3_mT4_P12ihipStream_tbEUlT_E1_NS1_11comp_targetILNS1_3genE4ELNS1_11target_archE910ELNS1_3gpuE8ELNS1_3repE0EEENS1_30default_config_static_selectorELNS0_4arch9wavefront6targetE0EEEvS14_ ; -- Begin function _ZN7rocprim17ROCPRIM_400000_NS6detail17trampoline_kernelINS0_14default_configENS1_22reduce_config_selectorIN6thrust23THRUST_200600_302600_NS5tupleIblNS6_9null_typeES8_S8_S8_S8_S8_S8_S8_EEEEZNS1_11reduce_implILb1ES3_NS6_12zip_iteratorINS7_INS6_11hip_rocprim26transform_input_iterator_tIbNSD_35transform_pair_of_input_iterators_tIbNS6_6detail15normal_iteratorINS6_10device_ptrIKjEEEESL_NS6_8equal_toIjEEEENSG_9not_fun_tINSD_8identityEEEEENSD_19counting_iterator_tIlEES8_S8_S8_S8_S8_S8_S8_S8_EEEEPS9_S9_NSD_9__find_if7functorIS9_EEEE10hipError_tPvRmT1_T2_T3_mT4_P12ihipStream_tbEUlT_E1_NS1_11comp_targetILNS1_3genE4ELNS1_11target_archE910ELNS1_3gpuE8ELNS1_3repE0EEENS1_30default_config_static_selectorELNS0_4arch9wavefront6targetE0EEEvS14_
	.globl	_ZN7rocprim17ROCPRIM_400000_NS6detail17trampoline_kernelINS0_14default_configENS1_22reduce_config_selectorIN6thrust23THRUST_200600_302600_NS5tupleIblNS6_9null_typeES8_S8_S8_S8_S8_S8_S8_EEEEZNS1_11reduce_implILb1ES3_NS6_12zip_iteratorINS7_INS6_11hip_rocprim26transform_input_iterator_tIbNSD_35transform_pair_of_input_iterators_tIbNS6_6detail15normal_iteratorINS6_10device_ptrIKjEEEESL_NS6_8equal_toIjEEEENSG_9not_fun_tINSD_8identityEEEEENSD_19counting_iterator_tIlEES8_S8_S8_S8_S8_S8_S8_S8_EEEEPS9_S9_NSD_9__find_if7functorIS9_EEEE10hipError_tPvRmT1_T2_T3_mT4_P12ihipStream_tbEUlT_E1_NS1_11comp_targetILNS1_3genE4ELNS1_11target_archE910ELNS1_3gpuE8ELNS1_3repE0EEENS1_30default_config_static_selectorELNS0_4arch9wavefront6targetE0EEEvS14_
	.p2align	8
	.type	_ZN7rocprim17ROCPRIM_400000_NS6detail17trampoline_kernelINS0_14default_configENS1_22reduce_config_selectorIN6thrust23THRUST_200600_302600_NS5tupleIblNS6_9null_typeES8_S8_S8_S8_S8_S8_S8_EEEEZNS1_11reduce_implILb1ES3_NS6_12zip_iteratorINS7_INS6_11hip_rocprim26transform_input_iterator_tIbNSD_35transform_pair_of_input_iterators_tIbNS6_6detail15normal_iteratorINS6_10device_ptrIKjEEEESL_NS6_8equal_toIjEEEENSG_9not_fun_tINSD_8identityEEEEENSD_19counting_iterator_tIlEES8_S8_S8_S8_S8_S8_S8_S8_EEEEPS9_S9_NSD_9__find_if7functorIS9_EEEE10hipError_tPvRmT1_T2_T3_mT4_P12ihipStream_tbEUlT_E1_NS1_11comp_targetILNS1_3genE4ELNS1_11target_archE910ELNS1_3gpuE8ELNS1_3repE0EEENS1_30default_config_static_selectorELNS0_4arch9wavefront6targetE0EEEvS14_,@function
_ZN7rocprim17ROCPRIM_400000_NS6detail17trampoline_kernelINS0_14default_configENS1_22reduce_config_selectorIN6thrust23THRUST_200600_302600_NS5tupleIblNS6_9null_typeES8_S8_S8_S8_S8_S8_S8_EEEEZNS1_11reduce_implILb1ES3_NS6_12zip_iteratorINS7_INS6_11hip_rocprim26transform_input_iterator_tIbNSD_35transform_pair_of_input_iterators_tIbNS6_6detail15normal_iteratorINS6_10device_ptrIKjEEEESL_NS6_8equal_toIjEEEENSG_9not_fun_tINSD_8identityEEEEENSD_19counting_iterator_tIlEES8_S8_S8_S8_S8_S8_S8_S8_EEEEPS9_S9_NSD_9__find_if7functorIS9_EEEE10hipError_tPvRmT1_T2_T3_mT4_P12ihipStream_tbEUlT_E1_NS1_11comp_targetILNS1_3genE4ELNS1_11target_archE910ELNS1_3gpuE8ELNS1_3repE0EEENS1_30default_config_static_selectorELNS0_4arch9wavefront6targetE0EEEvS14_: ; @_ZN7rocprim17ROCPRIM_400000_NS6detail17trampoline_kernelINS0_14default_configENS1_22reduce_config_selectorIN6thrust23THRUST_200600_302600_NS5tupleIblNS6_9null_typeES8_S8_S8_S8_S8_S8_S8_EEEEZNS1_11reduce_implILb1ES3_NS6_12zip_iteratorINS7_INS6_11hip_rocprim26transform_input_iterator_tIbNSD_35transform_pair_of_input_iterators_tIbNS6_6detail15normal_iteratorINS6_10device_ptrIKjEEEESL_NS6_8equal_toIjEEEENSG_9not_fun_tINSD_8identityEEEEENSD_19counting_iterator_tIlEES8_S8_S8_S8_S8_S8_S8_S8_EEEEPS9_S9_NSD_9__find_if7functorIS9_EEEE10hipError_tPvRmT1_T2_T3_mT4_P12ihipStream_tbEUlT_E1_NS1_11comp_targetILNS1_3genE4ELNS1_11target_archE910ELNS1_3gpuE8ELNS1_3repE0EEENS1_30default_config_static_selectorELNS0_4arch9wavefront6targetE0EEEvS14_
; %bb.0:
	.section	.rodata,"a",@progbits
	.p2align	6, 0x0
	.amdhsa_kernel _ZN7rocprim17ROCPRIM_400000_NS6detail17trampoline_kernelINS0_14default_configENS1_22reduce_config_selectorIN6thrust23THRUST_200600_302600_NS5tupleIblNS6_9null_typeES8_S8_S8_S8_S8_S8_S8_EEEEZNS1_11reduce_implILb1ES3_NS6_12zip_iteratorINS7_INS6_11hip_rocprim26transform_input_iterator_tIbNSD_35transform_pair_of_input_iterators_tIbNS6_6detail15normal_iteratorINS6_10device_ptrIKjEEEESL_NS6_8equal_toIjEEEENSG_9not_fun_tINSD_8identityEEEEENSD_19counting_iterator_tIlEES8_S8_S8_S8_S8_S8_S8_S8_EEEEPS9_S9_NSD_9__find_if7functorIS9_EEEE10hipError_tPvRmT1_T2_T3_mT4_P12ihipStream_tbEUlT_E1_NS1_11comp_targetILNS1_3genE4ELNS1_11target_archE910ELNS1_3gpuE8ELNS1_3repE0EEENS1_30default_config_static_selectorELNS0_4arch9wavefront6targetE0EEEvS14_
		.amdhsa_group_segment_fixed_size 0
		.amdhsa_private_segment_fixed_size 0
		.amdhsa_kernarg_size 88
		.amdhsa_user_sgpr_count 6
		.amdhsa_user_sgpr_private_segment_buffer 1
		.amdhsa_user_sgpr_dispatch_ptr 0
		.amdhsa_user_sgpr_queue_ptr 0
		.amdhsa_user_sgpr_kernarg_segment_ptr 1
		.amdhsa_user_sgpr_dispatch_id 0
		.amdhsa_user_sgpr_flat_scratch_init 0
		.amdhsa_user_sgpr_private_segment_size 0
		.amdhsa_wavefront_size32 1
		.amdhsa_uses_dynamic_stack 0
		.amdhsa_system_sgpr_private_segment_wavefront_offset 0
		.amdhsa_system_sgpr_workgroup_id_x 1
		.amdhsa_system_sgpr_workgroup_id_y 0
		.amdhsa_system_sgpr_workgroup_id_z 0
		.amdhsa_system_sgpr_workgroup_info 0
		.amdhsa_system_vgpr_workitem_id 0
		.amdhsa_next_free_vgpr 1
		.amdhsa_next_free_sgpr 1
		.amdhsa_reserve_vcc 0
		.amdhsa_reserve_flat_scratch 0
		.amdhsa_float_round_mode_32 0
		.amdhsa_float_round_mode_16_64 0
		.amdhsa_float_denorm_mode_32 3
		.amdhsa_float_denorm_mode_16_64 3
		.amdhsa_dx10_clamp 1
		.amdhsa_ieee_mode 1
		.amdhsa_fp16_overflow 0
		.amdhsa_workgroup_processor_mode 1
		.amdhsa_memory_ordered 1
		.amdhsa_forward_progress 1
		.amdhsa_shared_vgpr_count 0
		.amdhsa_exception_fp_ieee_invalid_op 0
		.amdhsa_exception_fp_denorm_src 0
		.amdhsa_exception_fp_ieee_div_zero 0
		.amdhsa_exception_fp_ieee_overflow 0
		.amdhsa_exception_fp_ieee_underflow 0
		.amdhsa_exception_fp_ieee_inexact 0
		.amdhsa_exception_int_div_zero 0
	.end_amdhsa_kernel
	.section	.text._ZN7rocprim17ROCPRIM_400000_NS6detail17trampoline_kernelINS0_14default_configENS1_22reduce_config_selectorIN6thrust23THRUST_200600_302600_NS5tupleIblNS6_9null_typeES8_S8_S8_S8_S8_S8_S8_EEEEZNS1_11reduce_implILb1ES3_NS6_12zip_iteratorINS7_INS6_11hip_rocprim26transform_input_iterator_tIbNSD_35transform_pair_of_input_iterators_tIbNS6_6detail15normal_iteratorINS6_10device_ptrIKjEEEESL_NS6_8equal_toIjEEEENSG_9not_fun_tINSD_8identityEEEEENSD_19counting_iterator_tIlEES8_S8_S8_S8_S8_S8_S8_S8_EEEEPS9_S9_NSD_9__find_if7functorIS9_EEEE10hipError_tPvRmT1_T2_T3_mT4_P12ihipStream_tbEUlT_E1_NS1_11comp_targetILNS1_3genE4ELNS1_11target_archE910ELNS1_3gpuE8ELNS1_3repE0EEENS1_30default_config_static_selectorELNS0_4arch9wavefront6targetE0EEEvS14_,"axG",@progbits,_ZN7rocprim17ROCPRIM_400000_NS6detail17trampoline_kernelINS0_14default_configENS1_22reduce_config_selectorIN6thrust23THRUST_200600_302600_NS5tupleIblNS6_9null_typeES8_S8_S8_S8_S8_S8_S8_EEEEZNS1_11reduce_implILb1ES3_NS6_12zip_iteratorINS7_INS6_11hip_rocprim26transform_input_iterator_tIbNSD_35transform_pair_of_input_iterators_tIbNS6_6detail15normal_iteratorINS6_10device_ptrIKjEEEESL_NS6_8equal_toIjEEEENSG_9not_fun_tINSD_8identityEEEEENSD_19counting_iterator_tIlEES8_S8_S8_S8_S8_S8_S8_S8_EEEEPS9_S9_NSD_9__find_if7functorIS9_EEEE10hipError_tPvRmT1_T2_T3_mT4_P12ihipStream_tbEUlT_E1_NS1_11comp_targetILNS1_3genE4ELNS1_11target_archE910ELNS1_3gpuE8ELNS1_3repE0EEENS1_30default_config_static_selectorELNS0_4arch9wavefront6targetE0EEEvS14_,comdat
.Lfunc_end162:
	.size	_ZN7rocprim17ROCPRIM_400000_NS6detail17trampoline_kernelINS0_14default_configENS1_22reduce_config_selectorIN6thrust23THRUST_200600_302600_NS5tupleIblNS6_9null_typeES8_S8_S8_S8_S8_S8_S8_EEEEZNS1_11reduce_implILb1ES3_NS6_12zip_iteratorINS7_INS6_11hip_rocprim26transform_input_iterator_tIbNSD_35transform_pair_of_input_iterators_tIbNS6_6detail15normal_iteratorINS6_10device_ptrIKjEEEESL_NS6_8equal_toIjEEEENSG_9not_fun_tINSD_8identityEEEEENSD_19counting_iterator_tIlEES8_S8_S8_S8_S8_S8_S8_S8_EEEEPS9_S9_NSD_9__find_if7functorIS9_EEEE10hipError_tPvRmT1_T2_T3_mT4_P12ihipStream_tbEUlT_E1_NS1_11comp_targetILNS1_3genE4ELNS1_11target_archE910ELNS1_3gpuE8ELNS1_3repE0EEENS1_30default_config_static_selectorELNS0_4arch9wavefront6targetE0EEEvS14_, .Lfunc_end162-_ZN7rocprim17ROCPRIM_400000_NS6detail17trampoline_kernelINS0_14default_configENS1_22reduce_config_selectorIN6thrust23THRUST_200600_302600_NS5tupleIblNS6_9null_typeES8_S8_S8_S8_S8_S8_S8_EEEEZNS1_11reduce_implILb1ES3_NS6_12zip_iteratorINS7_INS6_11hip_rocprim26transform_input_iterator_tIbNSD_35transform_pair_of_input_iterators_tIbNS6_6detail15normal_iteratorINS6_10device_ptrIKjEEEESL_NS6_8equal_toIjEEEENSG_9not_fun_tINSD_8identityEEEEENSD_19counting_iterator_tIlEES8_S8_S8_S8_S8_S8_S8_S8_EEEEPS9_S9_NSD_9__find_if7functorIS9_EEEE10hipError_tPvRmT1_T2_T3_mT4_P12ihipStream_tbEUlT_E1_NS1_11comp_targetILNS1_3genE4ELNS1_11target_archE910ELNS1_3gpuE8ELNS1_3repE0EEENS1_30default_config_static_selectorELNS0_4arch9wavefront6targetE0EEEvS14_
                                        ; -- End function
	.set _ZN7rocprim17ROCPRIM_400000_NS6detail17trampoline_kernelINS0_14default_configENS1_22reduce_config_selectorIN6thrust23THRUST_200600_302600_NS5tupleIblNS6_9null_typeES8_S8_S8_S8_S8_S8_S8_EEEEZNS1_11reduce_implILb1ES3_NS6_12zip_iteratorINS7_INS6_11hip_rocprim26transform_input_iterator_tIbNSD_35transform_pair_of_input_iterators_tIbNS6_6detail15normal_iteratorINS6_10device_ptrIKjEEEESL_NS6_8equal_toIjEEEENSG_9not_fun_tINSD_8identityEEEEENSD_19counting_iterator_tIlEES8_S8_S8_S8_S8_S8_S8_S8_EEEEPS9_S9_NSD_9__find_if7functorIS9_EEEE10hipError_tPvRmT1_T2_T3_mT4_P12ihipStream_tbEUlT_E1_NS1_11comp_targetILNS1_3genE4ELNS1_11target_archE910ELNS1_3gpuE8ELNS1_3repE0EEENS1_30default_config_static_selectorELNS0_4arch9wavefront6targetE0EEEvS14_.num_vgpr, 0
	.set _ZN7rocprim17ROCPRIM_400000_NS6detail17trampoline_kernelINS0_14default_configENS1_22reduce_config_selectorIN6thrust23THRUST_200600_302600_NS5tupleIblNS6_9null_typeES8_S8_S8_S8_S8_S8_S8_EEEEZNS1_11reduce_implILb1ES3_NS6_12zip_iteratorINS7_INS6_11hip_rocprim26transform_input_iterator_tIbNSD_35transform_pair_of_input_iterators_tIbNS6_6detail15normal_iteratorINS6_10device_ptrIKjEEEESL_NS6_8equal_toIjEEEENSG_9not_fun_tINSD_8identityEEEEENSD_19counting_iterator_tIlEES8_S8_S8_S8_S8_S8_S8_S8_EEEEPS9_S9_NSD_9__find_if7functorIS9_EEEE10hipError_tPvRmT1_T2_T3_mT4_P12ihipStream_tbEUlT_E1_NS1_11comp_targetILNS1_3genE4ELNS1_11target_archE910ELNS1_3gpuE8ELNS1_3repE0EEENS1_30default_config_static_selectorELNS0_4arch9wavefront6targetE0EEEvS14_.num_agpr, 0
	.set _ZN7rocprim17ROCPRIM_400000_NS6detail17trampoline_kernelINS0_14default_configENS1_22reduce_config_selectorIN6thrust23THRUST_200600_302600_NS5tupleIblNS6_9null_typeES8_S8_S8_S8_S8_S8_S8_EEEEZNS1_11reduce_implILb1ES3_NS6_12zip_iteratorINS7_INS6_11hip_rocprim26transform_input_iterator_tIbNSD_35transform_pair_of_input_iterators_tIbNS6_6detail15normal_iteratorINS6_10device_ptrIKjEEEESL_NS6_8equal_toIjEEEENSG_9not_fun_tINSD_8identityEEEEENSD_19counting_iterator_tIlEES8_S8_S8_S8_S8_S8_S8_S8_EEEEPS9_S9_NSD_9__find_if7functorIS9_EEEE10hipError_tPvRmT1_T2_T3_mT4_P12ihipStream_tbEUlT_E1_NS1_11comp_targetILNS1_3genE4ELNS1_11target_archE910ELNS1_3gpuE8ELNS1_3repE0EEENS1_30default_config_static_selectorELNS0_4arch9wavefront6targetE0EEEvS14_.numbered_sgpr, 0
	.set _ZN7rocprim17ROCPRIM_400000_NS6detail17trampoline_kernelINS0_14default_configENS1_22reduce_config_selectorIN6thrust23THRUST_200600_302600_NS5tupleIblNS6_9null_typeES8_S8_S8_S8_S8_S8_S8_EEEEZNS1_11reduce_implILb1ES3_NS6_12zip_iteratorINS7_INS6_11hip_rocprim26transform_input_iterator_tIbNSD_35transform_pair_of_input_iterators_tIbNS6_6detail15normal_iteratorINS6_10device_ptrIKjEEEESL_NS6_8equal_toIjEEEENSG_9not_fun_tINSD_8identityEEEEENSD_19counting_iterator_tIlEES8_S8_S8_S8_S8_S8_S8_S8_EEEEPS9_S9_NSD_9__find_if7functorIS9_EEEE10hipError_tPvRmT1_T2_T3_mT4_P12ihipStream_tbEUlT_E1_NS1_11comp_targetILNS1_3genE4ELNS1_11target_archE910ELNS1_3gpuE8ELNS1_3repE0EEENS1_30default_config_static_selectorELNS0_4arch9wavefront6targetE0EEEvS14_.num_named_barrier, 0
	.set _ZN7rocprim17ROCPRIM_400000_NS6detail17trampoline_kernelINS0_14default_configENS1_22reduce_config_selectorIN6thrust23THRUST_200600_302600_NS5tupleIblNS6_9null_typeES8_S8_S8_S8_S8_S8_S8_EEEEZNS1_11reduce_implILb1ES3_NS6_12zip_iteratorINS7_INS6_11hip_rocprim26transform_input_iterator_tIbNSD_35transform_pair_of_input_iterators_tIbNS6_6detail15normal_iteratorINS6_10device_ptrIKjEEEESL_NS6_8equal_toIjEEEENSG_9not_fun_tINSD_8identityEEEEENSD_19counting_iterator_tIlEES8_S8_S8_S8_S8_S8_S8_S8_EEEEPS9_S9_NSD_9__find_if7functorIS9_EEEE10hipError_tPvRmT1_T2_T3_mT4_P12ihipStream_tbEUlT_E1_NS1_11comp_targetILNS1_3genE4ELNS1_11target_archE910ELNS1_3gpuE8ELNS1_3repE0EEENS1_30default_config_static_selectorELNS0_4arch9wavefront6targetE0EEEvS14_.private_seg_size, 0
	.set _ZN7rocprim17ROCPRIM_400000_NS6detail17trampoline_kernelINS0_14default_configENS1_22reduce_config_selectorIN6thrust23THRUST_200600_302600_NS5tupleIblNS6_9null_typeES8_S8_S8_S8_S8_S8_S8_EEEEZNS1_11reduce_implILb1ES3_NS6_12zip_iteratorINS7_INS6_11hip_rocprim26transform_input_iterator_tIbNSD_35transform_pair_of_input_iterators_tIbNS6_6detail15normal_iteratorINS6_10device_ptrIKjEEEESL_NS6_8equal_toIjEEEENSG_9not_fun_tINSD_8identityEEEEENSD_19counting_iterator_tIlEES8_S8_S8_S8_S8_S8_S8_S8_EEEEPS9_S9_NSD_9__find_if7functorIS9_EEEE10hipError_tPvRmT1_T2_T3_mT4_P12ihipStream_tbEUlT_E1_NS1_11comp_targetILNS1_3genE4ELNS1_11target_archE910ELNS1_3gpuE8ELNS1_3repE0EEENS1_30default_config_static_selectorELNS0_4arch9wavefront6targetE0EEEvS14_.uses_vcc, 0
	.set _ZN7rocprim17ROCPRIM_400000_NS6detail17trampoline_kernelINS0_14default_configENS1_22reduce_config_selectorIN6thrust23THRUST_200600_302600_NS5tupleIblNS6_9null_typeES8_S8_S8_S8_S8_S8_S8_EEEEZNS1_11reduce_implILb1ES3_NS6_12zip_iteratorINS7_INS6_11hip_rocprim26transform_input_iterator_tIbNSD_35transform_pair_of_input_iterators_tIbNS6_6detail15normal_iteratorINS6_10device_ptrIKjEEEESL_NS6_8equal_toIjEEEENSG_9not_fun_tINSD_8identityEEEEENSD_19counting_iterator_tIlEES8_S8_S8_S8_S8_S8_S8_S8_EEEEPS9_S9_NSD_9__find_if7functorIS9_EEEE10hipError_tPvRmT1_T2_T3_mT4_P12ihipStream_tbEUlT_E1_NS1_11comp_targetILNS1_3genE4ELNS1_11target_archE910ELNS1_3gpuE8ELNS1_3repE0EEENS1_30default_config_static_selectorELNS0_4arch9wavefront6targetE0EEEvS14_.uses_flat_scratch, 0
	.set _ZN7rocprim17ROCPRIM_400000_NS6detail17trampoline_kernelINS0_14default_configENS1_22reduce_config_selectorIN6thrust23THRUST_200600_302600_NS5tupleIblNS6_9null_typeES8_S8_S8_S8_S8_S8_S8_EEEEZNS1_11reduce_implILb1ES3_NS6_12zip_iteratorINS7_INS6_11hip_rocprim26transform_input_iterator_tIbNSD_35transform_pair_of_input_iterators_tIbNS6_6detail15normal_iteratorINS6_10device_ptrIKjEEEESL_NS6_8equal_toIjEEEENSG_9not_fun_tINSD_8identityEEEEENSD_19counting_iterator_tIlEES8_S8_S8_S8_S8_S8_S8_S8_EEEEPS9_S9_NSD_9__find_if7functorIS9_EEEE10hipError_tPvRmT1_T2_T3_mT4_P12ihipStream_tbEUlT_E1_NS1_11comp_targetILNS1_3genE4ELNS1_11target_archE910ELNS1_3gpuE8ELNS1_3repE0EEENS1_30default_config_static_selectorELNS0_4arch9wavefront6targetE0EEEvS14_.has_dyn_sized_stack, 0
	.set _ZN7rocprim17ROCPRIM_400000_NS6detail17trampoline_kernelINS0_14default_configENS1_22reduce_config_selectorIN6thrust23THRUST_200600_302600_NS5tupleIblNS6_9null_typeES8_S8_S8_S8_S8_S8_S8_EEEEZNS1_11reduce_implILb1ES3_NS6_12zip_iteratorINS7_INS6_11hip_rocprim26transform_input_iterator_tIbNSD_35transform_pair_of_input_iterators_tIbNS6_6detail15normal_iteratorINS6_10device_ptrIKjEEEESL_NS6_8equal_toIjEEEENSG_9not_fun_tINSD_8identityEEEEENSD_19counting_iterator_tIlEES8_S8_S8_S8_S8_S8_S8_S8_EEEEPS9_S9_NSD_9__find_if7functorIS9_EEEE10hipError_tPvRmT1_T2_T3_mT4_P12ihipStream_tbEUlT_E1_NS1_11comp_targetILNS1_3genE4ELNS1_11target_archE910ELNS1_3gpuE8ELNS1_3repE0EEENS1_30default_config_static_selectorELNS0_4arch9wavefront6targetE0EEEvS14_.has_recursion, 0
	.set _ZN7rocprim17ROCPRIM_400000_NS6detail17trampoline_kernelINS0_14default_configENS1_22reduce_config_selectorIN6thrust23THRUST_200600_302600_NS5tupleIblNS6_9null_typeES8_S8_S8_S8_S8_S8_S8_EEEEZNS1_11reduce_implILb1ES3_NS6_12zip_iteratorINS7_INS6_11hip_rocprim26transform_input_iterator_tIbNSD_35transform_pair_of_input_iterators_tIbNS6_6detail15normal_iteratorINS6_10device_ptrIKjEEEESL_NS6_8equal_toIjEEEENSG_9not_fun_tINSD_8identityEEEEENSD_19counting_iterator_tIlEES8_S8_S8_S8_S8_S8_S8_S8_EEEEPS9_S9_NSD_9__find_if7functorIS9_EEEE10hipError_tPvRmT1_T2_T3_mT4_P12ihipStream_tbEUlT_E1_NS1_11comp_targetILNS1_3genE4ELNS1_11target_archE910ELNS1_3gpuE8ELNS1_3repE0EEENS1_30default_config_static_selectorELNS0_4arch9wavefront6targetE0EEEvS14_.has_indirect_call, 0
	.section	.AMDGPU.csdata,"",@progbits
; Kernel info:
; codeLenInByte = 0
; TotalNumSgprs: 0
; NumVgprs: 0
; ScratchSize: 0
; MemoryBound: 0
; FloatMode: 240
; IeeeMode: 1
; LDSByteSize: 0 bytes/workgroup (compile time only)
; SGPRBlocks: 0
; VGPRBlocks: 0
; NumSGPRsForWavesPerEU: 1
; NumVGPRsForWavesPerEU: 1
; Occupancy: 16
; WaveLimiterHint : 0
; COMPUTE_PGM_RSRC2:SCRATCH_EN: 0
; COMPUTE_PGM_RSRC2:USER_SGPR: 6
; COMPUTE_PGM_RSRC2:TRAP_HANDLER: 0
; COMPUTE_PGM_RSRC2:TGID_X_EN: 1
; COMPUTE_PGM_RSRC2:TGID_Y_EN: 0
; COMPUTE_PGM_RSRC2:TGID_Z_EN: 0
; COMPUTE_PGM_RSRC2:TIDIG_COMP_CNT: 0
	.section	.text._ZN7rocprim17ROCPRIM_400000_NS6detail17trampoline_kernelINS0_14default_configENS1_22reduce_config_selectorIN6thrust23THRUST_200600_302600_NS5tupleIblNS6_9null_typeES8_S8_S8_S8_S8_S8_S8_EEEEZNS1_11reduce_implILb1ES3_NS6_12zip_iteratorINS7_INS6_11hip_rocprim26transform_input_iterator_tIbNSD_35transform_pair_of_input_iterators_tIbNS6_6detail15normal_iteratorINS6_10device_ptrIKjEEEESL_NS6_8equal_toIjEEEENSG_9not_fun_tINSD_8identityEEEEENSD_19counting_iterator_tIlEES8_S8_S8_S8_S8_S8_S8_S8_EEEEPS9_S9_NSD_9__find_if7functorIS9_EEEE10hipError_tPvRmT1_T2_T3_mT4_P12ihipStream_tbEUlT_E1_NS1_11comp_targetILNS1_3genE3ELNS1_11target_archE908ELNS1_3gpuE7ELNS1_3repE0EEENS1_30default_config_static_selectorELNS0_4arch9wavefront6targetE0EEEvS14_,"axG",@progbits,_ZN7rocprim17ROCPRIM_400000_NS6detail17trampoline_kernelINS0_14default_configENS1_22reduce_config_selectorIN6thrust23THRUST_200600_302600_NS5tupleIblNS6_9null_typeES8_S8_S8_S8_S8_S8_S8_EEEEZNS1_11reduce_implILb1ES3_NS6_12zip_iteratorINS7_INS6_11hip_rocprim26transform_input_iterator_tIbNSD_35transform_pair_of_input_iterators_tIbNS6_6detail15normal_iteratorINS6_10device_ptrIKjEEEESL_NS6_8equal_toIjEEEENSG_9not_fun_tINSD_8identityEEEEENSD_19counting_iterator_tIlEES8_S8_S8_S8_S8_S8_S8_S8_EEEEPS9_S9_NSD_9__find_if7functorIS9_EEEE10hipError_tPvRmT1_T2_T3_mT4_P12ihipStream_tbEUlT_E1_NS1_11comp_targetILNS1_3genE3ELNS1_11target_archE908ELNS1_3gpuE7ELNS1_3repE0EEENS1_30default_config_static_selectorELNS0_4arch9wavefront6targetE0EEEvS14_,comdat
	.protected	_ZN7rocprim17ROCPRIM_400000_NS6detail17trampoline_kernelINS0_14default_configENS1_22reduce_config_selectorIN6thrust23THRUST_200600_302600_NS5tupleIblNS6_9null_typeES8_S8_S8_S8_S8_S8_S8_EEEEZNS1_11reduce_implILb1ES3_NS6_12zip_iteratorINS7_INS6_11hip_rocprim26transform_input_iterator_tIbNSD_35transform_pair_of_input_iterators_tIbNS6_6detail15normal_iteratorINS6_10device_ptrIKjEEEESL_NS6_8equal_toIjEEEENSG_9not_fun_tINSD_8identityEEEEENSD_19counting_iterator_tIlEES8_S8_S8_S8_S8_S8_S8_S8_EEEEPS9_S9_NSD_9__find_if7functorIS9_EEEE10hipError_tPvRmT1_T2_T3_mT4_P12ihipStream_tbEUlT_E1_NS1_11comp_targetILNS1_3genE3ELNS1_11target_archE908ELNS1_3gpuE7ELNS1_3repE0EEENS1_30default_config_static_selectorELNS0_4arch9wavefront6targetE0EEEvS14_ ; -- Begin function _ZN7rocprim17ROCPRIM_400000_NS6detail17trampoline_kernelINS0_14default_configENS1_22reduce_config_selectorIN6thrust23THRUST_200600_302600_NS5tupleIblNS6_9null_typeES8_S8_S8_S8_S8_S8_S8_EEEEZNS1_11reduce_implILb1ES3_NS6_12zip_iteratorINS7_INS6_11hip_rocprim26transform_input_iterator_tIbNSD_35transform_pair_of_input_iterators_tIbNS6_6detail15normal_iteratorINS6_10device_ptrIKjEEEESL_NS6_8equal_toIjEEEENSG_9not_fun_tINSD_8identityEEEEENSD_19counting_iterator_tIlEES8_S8_S8_S8_S8_S8_S8_S8_EEEEPS9_S9_NSD_9__find_if7functorIS9_EEEE10hipError_tPvRmT1_T2_T3_mT4_P12ihipStream_tbEUlT_E1_NS1_11comp_targetILNS1_3genE3ELNS1_11target_archE908ELNS1_3gpuE7ELNS1_3repE0EEENS1_30default_config_static_selectorELNS0_4arch9wavefront6targetE0EEEvS14_
	.globl	_ZN7rocprim17ROCPRIM_400000_NS6detail17trampoline_kernelINS0_14default_configENS1_22reduce_config_selectorIN6thrust23THRUST_200600_302600_NS5tupleIblNS6_9null_typeES8_S8_S8_S8_S8_S8_S8_EEEEZNS1_11reduce_implILb1ES3_NS6_12zip_iteratorINS7_INS6_11hip_rocprim26transform_input_iterator_tIbNSD_35transform_pair_of_input_iterators_tIbNS6_6detail15normal_iteratorINS6_10device_ptrIKjEEEESL_NS6_8equal_toIjEEEENSG_9not_fun_tINSD_8identityEEEEENSD_19counting_iterator_tIlEES8_S8_S8_S8_S8_S8_S8_S8_EEEEPS9_S9_NSD_9__find_if7functorIS9_EEEE10hipError_tPvRmT1_T2_T3_mT4_P12ihipStream_tbEUlT_E1_NS1_11comp_targetILNS1_3genE3ELNS1_11target_archE908ELNS1_3gpuE7ELNS1_3repE0EEENS1_30default_config_static_selectorELNS0_4arch9wavefront6targetE0EEEvS14_
	.p2align	8
	.type	_ZN7rocprim17ROCPRIM_400000_NS6detail17trampoline_kernelINS0_14default_configENS1_22reduce_config_selectorIN6thrust23THRUST_200600_302600_NS5tupleIblNS6_9null_typeES8_S8_S8_S8_S8_S8_S8_EEEEZNS1_11reduce_implILb1ES3_NS6_12zip_iteratorINS7_INS6_11hip_rocprim26transform_input_iterator_tIbNSD_35transform_pair_of_input_iterators_tIbNS6_6detail15normal_iteratorINS6_10device_ptrIKjEEEESL_NS6_8equal_toIjEEEENSG_9not_fun_tINSD_8identityEEEEENSD_19counting_iterator_tIlEES8_S8_S8_S8_S8_S8_S8_S8_EEEEPS9_S9_NSD_9__find_if7functorIS9_EEEE10hipError_tPvRmT1_T2_T3_mT4_P12ihipStream_tbEUlT_E1_NS1_11comp_targetILNS1_3genE3ELNS1_11target_archE908ELNS1_3gpuE7ELNS1_3repE0EEENS1_30default_config_static_selectorELNS0_4arch9wavefront6targetE0EEEvS14_,@function
_ZN7rocprim17ROCPRIM_400000_NS6detail17trampoline_kernelINS0_14default_configENS1_22reduce_config_selectorIN6thrust23THRUST_200600_302600_NS5tupleIblNS6_9null_typeES8_S8_S8_S8_S8_S8_S8_EEEEZNS1_11reduce_implILb1ES3_NS6_12zip_iteratorINS7_INS6_11hip_rocprim26transform_input_iterator_tIbNSD_35transform_pair_of_input_iterators_tIbNS6_6detail15normal_iteratorINS6_10device_ptrIKjEEEESL_NS6_8equal_toIjEEEENSG_9not_fun_tINSD_8identityEEEEENSD_19counting_iterator_tIlEES8_S8_S8_S8_S8_S8_S8_S8_EEEEPS9_S9_NSD_9__find_if7functorIS9_EEEE10hipError_tPvRmT1_T2_T3_mT4_P12ihipStream_tbEUlT_E1_NS1_11comp_targetILNS1_3genE3ELNS1_11target_archE908ELNS1_3gpuE7ELNS1_3repE0EEENS1_30default_config_static_selectorELNS0_4arch9wavefront6targetE0EEEvS14_: ; @_ZN7rocprim17ROCPRIM_400000_NS6detail17trampoline_kernelINS0_14default_configENS1_22reduce_config_selectorIN6thrust23THRUST_200600_302600_NS5tupleIblNS6_9null_typeES8_S8_S8_S8_S8_S8_S8_EEEEZNS1_11reduce_implILb1ES3_NS6_12zip_iteratorINS7_INS6_11hip_rocprim26transform_input_iterator_tIbNSD_35transform_pair_of_input_iterators_tIbNS6_6detail15normal_iteratorINS6_10device_ptrIKjEEEESL_NS6_8equal_toIjEEEENSG_9not_fun_tINSD_8identityEEEEENSD_19counting_iterator_tIlEES8_S8_S8_S8_S8_S8_S8_S8_EEEEPS9_S9_NSD_9__find_if7functorIS9_EEEE10hipError_tPvRmT1_T2_T3_mT4_P12ihipStream_tbEUlT_E1_NS1_11comp_targetILNS1_3genE3ELNS1_11target_archE908ELNS1_3gpuE7ELNS1_3repE0EEENS1_30default_config_static_selectorELNS0_4arch9wavefront6targetE0EEEvS14_
; %bb.0:
	.section	.rodata,"a",@progbits
	.p2align	6, 0x0
	.amdhsa_kernel _ZN7rocprim17ROCPRIM_400000_NS6detail17trampoline_kernelINS0_14default_configENS1_22reduce_config_selectorIN6thrust23THRUST_200600_302600_NS5tupleIblNS6_9null_typeES8_S8_S8_S8_S8_S8_S8_EEEEZNS1_11reduce_implILb1ES3_NS6_12zip_iteratorINS7_INS6_11hip_rocprim26transform_input_iterator_tIbNSD_35transform_pair_of_input_iterators_tIbNS6_6detail15normal_iteratorINS6_10device_ptrIKjEEEESL_NS6_8equal_toIjEEEENSG_9not_fun_tINSD_8identityEEEEENSD_19counting_iterator_tIlEES8_S8_S8_S8_S8_S8_S8_S8_EEEEPS9_S9_NSD_9__find_if7functorIS9_EEEE10hipError_tPvRmT1_T2_T3_mT4_P12ihipStream_tbEUlT_E1_NS1_11comp_targetILNS1_3genE3ELNS1_11target_archE908ELNS1_3gpuE7ELNS1_3repE0EEENS1_30default_config_static_selectorELNS0_4arch9wavefront6targetE0EEEvS14_
		.amdhsa_group_segment_fixed_size 0
		.amdhsa_private_segment_fixed_size 0
		.amdhsa_kernarg_size 88
		.amdhsa_user_sgpr_count 6
		.amdhsa_user_sgpr_private_segment_buffer 1
		.amdhsa_user_sgpr_dispatch_ptr 0
		.amdhsa_user_sgpr_queue_ptr 0
		.amdhsa_user_sgpr_kernarg_segment_ptr 1
		.amdhsa_user_sgpr_dispatch_id 0
		.amdhsa_user_sgpr_flat_scratch_init 0
		.amdhsa_user_sgpr_private_segment_size 0
		.amdhsa_wavefront_size32 1
		.amdhsa_uses_dynamic_stack 0
		.amdhsa_system_sgpr_private_segment_wavefront_offset 0
		.amdhsa_system_sgpr_workgroup_id_x 1
		.amdhsa_system_sgpr_workgroup_id_y 0
		.amdhsa_system_sgpr_workgroup_id_z 0
		.amdhsa_system_sgpr_workgroup_info 0
		.amdhsa_system_vgpr_workitem_id 0
		.amdhsa_next_free_vgpr 1
		.amdhsa_next_free_sgpr 1
		.amdhsa_reserve_vcc 0
		.amdhsa_reserve_flat_scratch 0
		.amdhsa_float_round_mode_32 0
		.amdhsa_float_round_mode_16_64 0
		.amdhsa_float_denorm_mode_32 3
		.amdhsa_float_denorm_mode_16_64 3
		.amdhsa_dx10_clamp 1
		.amdhsa_ieee_mode 1
		.amdhsa_fp16_overflow 0
		.amdhsa_workgroup_processor_mode 1
		.amdhsa_memory_ordered 1
		.amdhsa_forward_progress 1
		.amdhsa_shared_vgpr_count 0
		.amdhsa_exception_fp_ieee_invalid_op 0
		.amdhsa_exception_fp_denorm_src 0
		.amdhsa_exception_fp_ieee_div_zero 0
		.amdhsa_exception_fp_ieee_overflow 0
		.amdhsa_exception_fp_ieee_underflow 0
		.amdhsa_exception_fp_ieee_inexact 0
		.amdhsa_exception_int_div_zero 0
	.end_amdhsa_kernel
	.section	.text._ZN7rocprim17ROCPRIM_400000_NS6detail17trampoline_kernelINS0_14default_configENS1_22reduce_config_selectorIN6thrust23THRUST_200600_302600_NS5tupleIblNS6_9null_typeES8_S8_S8_S8_S8_S8_S8_EEEEZNS1_11reduce_implILb1ES3_NS6_12zip_iteratorINS7_INS6_11hip_rocprim26transform_input_iterator_tIbNSD_35transform_pair_of_input_iterators_tIbNS6_6detail15normal_iteratorINS6_10device_ptrIKjEEEESL_NS6_8equal_toIjEEEENSG_9not_fun_tINSD_8identityEEEEENSD_19counting_iterator_tIlEES8_S8_S8_S8_S8_S8_S8_S8_EEEEPS9_S9_NSD_9__find_if7functorIS9_EEEE10hipError_tPvRmT1_T2_T3_mT4_P12ihipStream_tbEUlT_E1_NS1_11comp_targetILNS1_3genE3ELNS1_11target_archE908ELNS1_3gpuE7ELNS1_3repE0EEENS1_30default_config_static_selectorELNS0_4arch9wavefront6targetE0EEEvS14_,"axG",@progbits,_ZN7rocprim17ROCPRIM_400000_NS6detail17trampoline_kernelINS0_14default_configENS1_22reduce_config_selectorIN6thrust23THRUST_200600_302600_NS5tupleIblNS6_9null_typeES8_S8_S8_S8_S8_S8_S8_EEEEZNS1_11reduce_implILb1ES3_NS6_12zip_iteratorINS7_INS6_11hip_rocprim26transform_input_iterator_tIbNSD_35transform_pair_of_input_iterators_tIbNS6_6detail15normal_iteratorINS6_10device_ptrIKjEEEESL_NS6_8equal_toIjEEEENSG_9not_fun_tINSD_8identityEEEEENSD_19counting_iterator_tIlEES8_S8_S8_S8_S8_S8_S8_S8_EEEEPS9_S9_NSD_9__find_if7functorIS9_EEEE10hipError_tPvRmT1_T2_T3_mT4_P12ihipStream_tbEUlT_E1_NS1_11comp_targetILNS1_3genE3ELNS1_11target_archE908ELNS1_3gpuE7ELNS1_3repE0EEENS1_30default_config_static_selectorELNS0_4arch9wavefront6targetE0EEEvS14_,comdat
.Lfunc_end163:
	.size	_ZN7rocprim17ROCPRIM_400000_NS6detail17trampoline_kernelINS0_14default_configENS1_22reduce_config_selectorIN6thrust23THRUST_200600_302600_NS5tupleIblNS6_9null_typeES8_S8_S8_S8_S8_S8_S8_EEEEZNS1_11reduce_implILb1ES3_NS6_12zip_iteratorINS7_INS6_11hip_rocprim26transform_input_iterator_tIbNSD_35transform_pair_of_input_iterators_tIbNS6_6detail15normal_iteratorINS6_10device_ptrIKjEEEESL_NS6_8equal_toIjEEEENSG_9not_fun_tINSD_8identityEEEEENSD_19counting_iterator_tIlEES8_S8_S8_S8_S8_S8_S8_S8_EEEEPS9_S9_NSD_9__find_if7functorIS9_EEEE10hipError_tPvRmT1_T2_T3_mT4_P12ihipStream_tbEUlT_E1_NS1_11comp_targetILNS1_3genE3ELNS1_11target_archE908ELNS1_3gpuE7ELNS1_3repE0EEENS1_30default_config_static_selectorELNS0_4arch9wavefront6targetE0EEEvS14_, .Lfunc_end163-_ZN7rocprim17ROCPRIM_400000_NS6detail17trampoline_kernelINS0_14default_configENS1_22reduce_config_selectorIN6thrust23THRUST_200600_302600_NS5tupleIblNS6_9null_typeES8_S8_S8_S8_S8_S8_S8_EEEEZNS1_11reduce_implILb1ES3_NS6_12zip_iteratorINS7_INS6_11hip_rocprim26transform_input_iterator_tIbNSD_35transform_pair_of_input_iterators_tIbNS6_6detail15normal_iteratorINS6_10device_ptrIKjEEEESL_NS6_8equal_toIjEEEENSG_9not_fun_tINSD_8identityEEEEENSD_19counting_iterator_tIlEES8_S8_S8_S8_S8_S8_S8_S8_EEEEPS9_S9_NSD_9__find_if7functorIS9_EEEE10hipError_tPvRmT1_T2_T3_mT4_P12ihipStream_tbEUlT_E1_NS1_11comp_targetILNS1_3genE3ELNS1_11target_archE908ELNS1_3gpuE7ELNS1_3repE0EEENS1_30default_config_static_selectorELNS0_4arch9wavefront6targetE0EEEvS14_
                                        ; -- End function
	.set _ZN7rocprim17ROCPRIM_400000_NS6detail17trampoline_kernelINS0_14default_configENS1_22reduce_config_selectorIN6thrust23THRUST_200600_302600_NS5tupleIblNS6_9null_typeES8_S8_S8_S8_S8_S8_S8_EEEEZNS1_11reduce_implILb1ES3_NS6_12zip_iteratorINS7_INS6_11hip_rocprim26transform_input_iterator_tIbNSD_35transform_pair_of_input_iterators_tIbNS6_6detail15normal_iteratorINS6_10device_ptrIKjEEEESL_NS6_8equal_toIjEEEENSG_9not_fun_tINSD_8identityEEEEENSD_19counting_iterator_tIlEES8_S8_S8_S8_S8_S8_S8_S8_EEEEPS9_S9_NSD_9__find_if7functorIS9_EEEE10hipError_tPvRmT1_T2_T3_mT4_P12ihipStream_tbEUlT_E1_NS1_11comp_targetILNS1_3genE3ELNS1_11target_archE908ELNS1_3gpuE7ELNS1_3repE0EEENS1_30default_config_static_selectorELNS0_4arch9wavefront6targetE0EEEvS14_.num_vgpr, 0
	.set _ZN7rocprim17ROCPRIM_400000_NS6detail17trampoline_kernelINS0_14default_configENS1_22reduce_config_selectorIN6thrust23THRUST_200600_302600_NS5tupleIblNS6_9null_typeES8_S8_S8_S8_S8_S8_S8_EEEEZNS1_11reduce_implILb1ES3_NS6_12zip_iteratorINS7_INS6_11hip_rocprim26transform_input_iterator_tIbNSD_35transform_pair_of_input_iterators_tIbNS6_6detail15normal_iteratorINS6_10device_ptrIKjEEEESL_NS6_8equal_toIjEEEENSG_9not_fun_tINSD_8identityEEEEENSD_19counting_iterator_tIlEES8_S8_S8_S8_S8_S8_S8_S8_EEEEPS9_S9_NSD_9__find_if7functorIS9_EEEE10hipError_tPvRmT1_T2_T3_mT4_P12ihipStream_tbEUlT_E1_NS1_11comp_targetILNS1_3genE3ELNS1_11target_archE908ELNS1_3gpuE7ELNS1_3repE0EEENS1_30default_config_static_selectorELNS0_4arch9wavefront6targetE0EEEvS14_.num_agpr, 0
	.set _ZN7rocprim17ROCPRIM_400000_NS6detail17trampoline_kernelINS0_14default_configENS1_22reduce_config_selectorIN6thrust23THRUST_200600_302600_NS5tupleIblNS6_9null_typeES8_S8_S8_S8_S8_S8_S8_EEEEZNS1_11reduce_implILb1ES3_NS6_12zip_iteratorINS7_INS6_11hip_rocprim26transform_input_iterator_tIbNSD_35transform_pair_of_input_iterators_tIbNS6_6detail15normal_iteratorINS6_10device_ptrIKjEEEESL_NS6_8equal_toIjEEEENSG_9not_fun_tINSD_8identityEEEEENSD_19counting_iterator_tIlEES8_S8_S8_S8_S8_S8_S8_S8_EEEEPS9_S9_NSD_9__find_if7functorIS9_EEEE10hipError_tPvRmT1_T2_T3_mT4_P12ihipStream_tbEUlT_E1_NS1_11comp_targetILNS1_3genE3ELNS1_11target_archE908ELNS1_3gpuE7ELNS1_3repE0EEENS1_30default_config_static_selectorELNS0_4arch9wavefront6targetE0EEEvS14_.numbered_sgpr, 0
	.set _ZN7rocprim17ROCPRIM_400000_NS6detail17trampoline_kernelINS0_14default_configENS1_22reduce_config_selectorIN6thrust23THRUST_200600_302600_NS5tupleIblNS6_9null_typeES8_S8_S8_S8_S8_S8_S8_EEEEZNS1_11reduce_implILb1ES3_NS6_12zip_iteratorINS7_INS6_11hip_rocprim26transform_input_iterator_tIbNSD_35transform_pair_of_input_iterators_tIbNS6_6detail15normal_iteratorINS6_10device_ptrIKjEEEESL_NS6_8equal_toIjEEEENSG_9not_fun_tINSD_8identityEEEEENSD_19counting_iterator_tIlEES8_S8_S8_S8_S8_S8_S8_S8_EEEEPS9_S9_NSD_9__find_if7functorIS9_EEEE10hipError_tPvRmT1_T2_T3_mT4_P12ihipStream_tbEUlT_E1_NS1_11comp_targetILNS1_3genE3ELNS1_11target_archE908ELNS1_3gpuE7ELNS1_3repE0EEENS1_30default_config_static_selectorELNS0_4arch9wavefront6targetE0EEEvS14_.num_named_barrier, 0
	.set _ZN7rocprim17ROCPRIM_400000_NS6detail17trampoline_kernelINS0_14default_configENS1_22reduce_config_selectorIN6thrust23THRUST_200600_302600_NS5tupleIblNS6_9null_typeES8_S8_S8_S8_S8_S8_S8_EEEEZNS1_11reduce_implILb1ES3_NS6_12zip_iteratorINS7_INS6_11hip_rocprim26transform_input_iterator_tIbNSD_35transform_pair_of_input_iterators_tIbNS6_6detail15normal_iteratorINS6_10device_ptrIKjEEEESL_NS6_8equal_toIjEEEENSG_9not_fun_tINSD_8identityEEEEENSD_19counting_iterator_tIlEES8_S8_S8_S8_S8_S8_S8_S8_EEEEPS9_S9_NSD_9__find_if7functorIS9_EEEE10hipError_tPvRmT1_T2_T3_mT4_P12ihipStream_tbEUlT_E1_NS1_11comp_targetILNS1_3genE3ELNS1_11target_archE908ELNS1_3gpuE7ELNS1_3repE0EEENS1_30default_config_static_selectorELNS0_4arch9wavefront6targetE0EEEvS14_.private_seg_size, 0
	.set _ZN7rocprim17ROCPRIM_400000_NS6detail17trampoline_kernelINS0_14default_configENS1_22reduce_config_selectorIN6thrust23THRUST_200600_302600_NS5tupleIblNS6_9null_typeES8_S8_S8_S8_S8_S8_S8_EEEEZNS1_11reduce_implILb1ES3_NS6_12zip_iteratorINS7_INS6_11hip_rocprim26transform_input_iterator_tIbNSD_35transform_pair_of_input_iterators_tIbNS6_6detail15normal_iteratorINS6_10device_ptrIKjEEEESL_NS6_8equal_toIjEEEENSG_9not_fun_tINSD_8identityEEEEENSD_19counting_iterator_tIlEES8_S8_S8_S8_S8_S8_S8_S8_EEEEPS9_S9_NSD_9__find_if7functorIS9_EEEE10hipError_tPvRmT1_T2_T3_mT4_P12ihipStream_tbEUlT_E1_NS1_11comp_targetILNS1_3genE3ELNS1_11target_archE908ELNS1_3gpuE7ELNS1_3repE0EEENS1_30default_config_static_selectorELNS0_4arch9wavefront6targetE0EEEvS14_.uses_vcc, 0
	.set _ZN7rocprim17ROCPRIM_400000_NS6detail17trampoline_kernelINS0_14default_configENS1_22reduce_config_selectorIN6thrust23THRUST_200600_302600_NS5tupleIblNS6_9null_typeES8_S8_S8_S8_S8_S8_S8_EEEEZNS1_11reduce_implILb1ES3_NS6_12zip_iteratorINS7_INS6_11hip_rocprim26transform_input_iterator_tIbNSD_35transform_pair_of_input_iterators_tIbNS6_6detail15normal_iteratorINS6_10device_ptrIKjEEEESL_NS6_8equal_toIjEEEENSG_9not_fun_tINSD_8identityEEEEENSD_19counting_iterator_tIlEES8_S8_S8_S8_S8_S8_S8_S8_EEEEPS9_S9_NSD_9__find_if7functorIS9_EEEE10hipError_tPvRmT1_T2_T3_mT4_P12ihipStream_tbEUlT_E1_NS1_11comp_targetILNS1_3genE3ELNS1_11target_archE908ELNS1_3gpuE7ELNS1_3repE0EEENS1_30default_config_static_selectorELNS0_4arch9wavefront6targetE0EEEvS14_.uses_flat_scratch, 0
	.set _ZN7rocprim17ROCPRIM_400000_NS6detail17trampoline_kernelINS0_14default_configENS1_22reduce_config_selectorIN6thrust23THRUST_200600_302600_NS5tupleIblNS6_9null_typeES8_S8_S8_S8_S8_S8_S8_EEEEZNS1_11reduce_implILb1ES3_NS6_12zip_iteratorINS7_INS6_11hip_rocprim26transform_input_iterator_tIbNSD_35transform_pair_of_input_iterators_tIbNS6_6detail15normal_iteratorINS6_10device_ptrIKjEEEESL_NS6_8equal_toIjEEEENSG_9not_fun_tINSD_8identityEEEEENSD_19counting_iterator_tIlEES8_S8_S8_S8_S8_S8_S8_S8_EEEEPS9_S9_NSD_9__find_if7functorIS9_EEEE10hipError_tPvRmT1_T2_T3_mT4_P12ihipStream_tbEUlT_E1_NS1_11comp_targetILNS1_3genE3ELNS1_11target_archE908ELNS1_3gpuE7ELNS1_3repE0EEENS1_30default_config_static_selectorELNS0_4arch9wavefront6targetE0EEEvS14_.has_dyn_sized_stack, 0
	.set _ZN7rocprim17ROCPRIM_400000_NS6detail17trampoline_kernelINS0_14default_configENS1_22reduce_config_selectorIN6thrust23THRUST_200600_302600_NS5tupleIblNS6_9null_typeES8_S8_S8_S8_S8_S8_S8_EEEEZNS1_11reduce_implILb1ES3_NS6_12zip_iteratorINS7_INS6_11hip_rocprim26transform_input_iterator_tIbNSD_35transform_pair_of_input_iterators_tIbNS6_6detail15normal_iteratorINS6_10device_ptrIKjEEEESL_NS6_8equal_toIjEEEENSG_9not_fun_tINSD_8identityEEEEENSD_19counting_iterator_tIlEES8_S8_S8_S8_S8_S8_S8_S8_EEEEPS9_S9_NSD_9__find_if7functorIS9_EEEE10hipError_tPvRmT1_T2_T3_mT4_P12ihipStream_tbEUlT_E1_NS1_11comp_targetILNS1_3genE3ELNS1_11target_archE908ELNS1_3gpuE7ELNS1_3repE0EEENS1_30default_config_static_selectorELNS0_4arch9wavefront6targetE0EEEvS14_.has_recursion, 0
	.set _ZN7rocprim17ROCPRIM_400000_NS6detail17trampoline_kernelINS0_14default_configENS1_22reduce_config_selectorIN6thrust23THRUST_200600_302600_NS5tupleIblNS6_9null_typeES8_S8_S8_S8_S8_S8_S8_EEEEZNS1_11reduce_implILb1ES3_NS6_12zip_iteratorINS7_INS6_11hip_rocprim26transform_input_iterator_tIbNSD_35transform_pair_of_input_iterators_tIbNS6_6detail15normal_iteratorINS6_10device_ptrIKjEEEESL_NS6_8equal_toIjEEEENSG_9not_fun_tINSD_8identityEEEEENSD_19counting_iterator_tIlEES8_S8_S8_S8_S8_S8_S8_S8_EEEEPS9_S9_NSD_9__find_if7functorIS9_EEEE10hipError_tPvRmT1_T2_T3_mT4_P12ihipStream_tbEUlT_E1_NS1_11comp_targetILNS1_3genE3ELNS1_11target_archE908ELNS1_3gpuE7ELNS1_3repE0EEENS1_30default_config_static_selectorELNS0_4arch9wavefront6targetE0EEEvS14_.has_indirect_call, 0
	.section	.AMDGPU.csdata,"",@progbits
; Kernel info:
; codeLenInByte = 0
; TotalNumSgprs: 0
; NumVgprs: 0
; ScratchSize: 0
; MemoryBound: 0
; FloatMode: 240
; IeeeMode: 1
; LDSByteSize: 0 bytes/workgroup (compile time only)
; SGPRBlocks: 0
; VGPRBlocks: 0
; NumSGPRsForWavesPerEU: 1
; NumVGPRsForWavesPerEU: 1
; Occupancy: 16
; WaveLimiterHint : 0
; COMPUTE_PGM_RSRC2:SCRATCH_EN: 0
; COMPUTE_PGM_RSRC2:USER_SGPR: 6
; COMPUTE_PGM_RSRC2:TRAP_HANDLER: 0
; COMPUTE_PGM_RSRC2:TGID_X_EN: 1
; COMPUTE_PGM_RSRC2:TGID_Y_EN: 0
; COMPUTE_PGM_RSRC2:TGID_Z_EN: 0
; COMPUTE_PGM_RSRC2:TIDIG_COMP_CNT: 0
	.section	.text._ZN7rocprim17ROCPRIM_400000_NS6detail17trampoline_kernelINS0_14default_configENS1_22reduce_config_selectorIN6thrust23THRUST_200600_302600_NS5tupleIblNS6_9null_typeES8_S8_S8_S8_S8_S8_S8_EEEEZNS1_11reduce_implILb1ES3_NS6_12zip_iteratorINS7_INS6_11hip_rocprim26transform_input_iterator_tIbNSD_35transform_pair_of_input_iterators_tIbNS6_6detail15normal_iteratorINS6_10device_ptrIKjEEEESL_NS6_8equal_toIjEEEENSG_9not_fun_tINSD_8identityEEEEENSD_19counting_iterator_tIlEES8_S8_S8_S8_S8_S8_S8_S8_EEEEPS9_S9_NSD_9__find_if7functorIS9_EEEE10hipError_tPvRmT1_T2_T3_mT4_P12ihipStream_tbEUlT_E1_NS1_11comp_targetILNS1_3genE2ELNS1_11target_archE906ELNS1_3gpuE6ELNS1_3repE0EEENS1_30default_config_static_selectorELNS0_4arch9wavefront6targetE0EEEvS14_,"axG",@progbits,_ZN7rocprim17ROCPRIM_400000_NS6detail17trampoline_kernelINS0_14default_configENS1_22reduce_config_selectorIN6thrust23THRUST_200600_302600_NS5tupleIblNS6_9null_typeES8_S8_S8_S8_S8_S8_S8_EEEEZNS1_11reduce_implILb1ES3_NS6_12zip_iteratorINS7_INS6_11hip_rocprim26transform_input_iterator_tIbNSD_35transform_pair_of_input_iterators_tIbNS6_6detail15normal_iteratorINS6_10device_ptrIKjEEEESL_NS6_8equal_toIjEEEENSG_9not_fun_tINSD_8identityEEEEENSD_19counting_iterator_tIlEES8_S8_S8_S8_S8_S8_S8_S8_EEEEPS9_S9_NSD_9__find_if7functorIS9_EEEE10hipError_tPvRmT1_T2_T3_mT4_P12ihipStream_tbEUlT_E1_NS1_11comp_targetILNS1_3genE2ELNS1_11target_archE906ELNS1_3gpuE6ELNS1_3repE0EEENS1_30default_config_static_selectorELNS0_4arch9wavefront6targetE0EEEvS14_,comdat
	.protected	_ZN7rocprim17ROCPRIM_400000_NS6detail17trampoline_kernelINS0_14default_configENS1_22reduce_config_selectorIN6thrust23THRUST_200600_302600_NS5tupleIblNS6_9null_typeES8_S8_S8_S8_S8_S8_S8_EEEEZNS1_11reduce_implILb1ES3_NS6_12zip_iteratorINS7_INS6_11hip_rocprim26transform_input_iterator_tIbNSD_35transform_pair_of_input_iterators_tIbNS6_6detail15normal_iteratorINS6_10device_ptrIKjEEEESL_NS6_8equal_toIjEEEENSG_9not_fun_tINSD_8identityEEEEENSD_19counting_iterator_tIlEES8_S8_S8_S8_S8_S8_S8_S8_EEEEPS9_S9_NSD_9__find_if7functorIS9_EEEE10hipError_tPvRmT1_T2_T3_mT4_P12ihipStream_tbEUlT_E1_NS1_11comp_targetILNS1_3genE2ELNS1_11target_archE906ELNS1_3gpuE6ELNS1_3repE0EEENS1_30default_config_static_selectorELNS0_4arch9wavefront6targetE0EEEvS14_ ; -- Begin function _ZN7rocprim17ROCPRIM_400000_NS6detail17trampoline_kernelINS0_14default_configENS1_22reduce_config_selectorIN6thrust23THRUST_200600_302600_NS5tupleIblNS6_9null_typeES8_S8_S8_S8_S8_S8_S8_EEEEZNS1_11reduce_implILb1ES3_NS6_12zip_iteratorINS7_INS6_11hip_rocprim26transform_input_iterator_tIbNSD_35transform_pair_of_input_iterators_tIbNS6_6detail15normal_iteratorINS6_10device_ptrIKjEEEESL_NS6_8equal_toIjEEEENSG_9not_fun_tINSD_8identityEEEEENSD_19counting_iterator_tIlEES8_S8_S8_S8_S8_S8_S8_S8_EEEEPS9_S9_NSD_9__find_if7functorIS9_EEEE10hipError_tPvRmT1_T2_T3_mT4_P12ihipStream_tbEUlT_E1_NS1_11comp_targetILNS1_3genE2ELNS1_11target_archE906ELNS1_3gpuE6ELNS1_3repE0EEENS1_30default_config_static_selectorELNS0_4arch9wavefront6targetE0EEEvS14_
	.globl	_ZN7rocprim17ROCPRIM_400000_NS6detail17trampoline_kernelINS0_14default_configENS1_22reduce_config_selectorIN6thrust23THRUST_200600_302600_NS5tupleIblNS6_9null_typeES8_S8_S8_S8_S8_S8_S8_EEEEZNS1_11reduce_implILb1ES3_NS6_12zip_iteratorINS7_INS6_11hip_rocprim26transform_input_iterator_tIbNSD_35transform_pair_of_input_iterators_tIbNS6_6detail15normal_iteratorINS6_10device_ptrIKjEEEESL_NS6_8equal_toIjEEEENSG_9not_fun_tINSD_8identityEEEEENSD_19counting_iterator_tIlEES8_S8_S8_S8_S8_S8_S8_S8_EEEEPS9_S9_NSD_9__find_if7functorIS9_EEEE10hipError_tPvRmT1_T2_T3_mT4_P12ihipStream_tbEUlT_E1_NS1_11comp_targetILNS1_3genE2ELNS1_11target_archE906ELNS1_3gpuE6ELNS1_3repE0EEENS1_30default_config_static_selectorELNS0_4arch9wavefront6targetE0EEEvS14_
	.p2align	8
	.type	_ZN7rocprim17ROCPRIM_400000_NS6detail17trampoline_kernelINS0_14default_configENS1_22reduce_config_selectorIN6thrust23THRUST_200600_302600_NS5tupleIblNS6_9null_typeES8_S8_S8_S8_S8_S8_S8_EEEEZNS1_11reduce_implILb1ES3_NS6_12zip_iteratorINS7_INS6_11hip_rocprim26transform_input_iterator_tIbNSD_35transform_pair_of_input_iterators_tIbNS6_6detail15normal_iteratorINS6_10device_ptrIKjEEEESL_NS6_8equal_toIjEEEENSG_9not_fun_tINSD_8identityEEEEENSD_19counting_iterator_tIlEES8_S8_S8_S8_S8_S8_S8_S8_EEEEPS9_S9_NSD_9__find_if7functorIS9_EEEE10hipError_tPvRmT1_T2_T3_mT4_P12ihipStream_tbEUlT_E1_NS1_11comp_targetILNS1_3genE2ELNS1_11target_archE906ELNS1_3gpuE6ELNS1_3repE0EEENS1_30default_config_static_selectorELNS0_4arch9wavefront6targetE0EEEvS14_,@function
_ZN7rocprim17ROCPRIM_400000_NS6detail17trampoline_kernelINS0_14default_configENS1_22reduce_config_selectorIN6thrust23THRUST_200600_302600_NS5tupleIblNS6_9null_typeES8_S8_S8_S8_S8_S8_S8_EEEEZNS1_11reduce_implILb1ES3_NS6_12zip_iteratorINS7_INS6_11hip_rocprim26transform_input_iterator_tIbNSD_35transform_pair_of_input_iterators_tIbNS6_6detail15normal_iteratorINS6_10device_ptrIKjEEEESL_NS6_8equal_toIjEEEENSG_9not_fun_tINSD_8identityEEEEENSD_19counting_iterator_tIlEES8_S8_S8_S8_S8_S8_S8_S8_EEEEPS9_S9_NSD_9__find_if7functorIS9_EEEE10hipError_tPvRmT1_T2_T3_mT4_P12ihipStream_tbEUlT_E1_NS1_11comp_targetILNS1_3genE2ELNS1_11target_archE906ELNS1_3gpuE6ELNS1_3repE0EEENS1_30default_config_static_selectorELNS0_4arch9wavefront6targetE0EEEvS14_: ; @_ZN7rocprim17ROCPRIM_400000_NS6detail17trampoline_kernelINS0_14default_configENS1_22reduce_config_selectorIN6thrust23THRUST_200600_302600_NS5tupleIblNS6_9null_typeES8_S8_S8_S8_S8_S8_S8_EEEEZNS1_11reduce_implILb1ES3_NS6_12zip_iteratorINS7_INS6_11hip_rocprim26transform_input_iterator_tIbNSD_35transform_pair_of_input_iterators_tIbNS6_6detail15normal_iteratorINS6_10device_ptrIKjEEEESL_NS6_8equal_toIjEEEENSG_9not_fun_tINSD_8identityEEEEENSD_19counting_iterator_tIlEES8_S8_S8_S8_S8_S8_S8_S8_EEEEPS9_S9_NSD_9__find_if7functorIS9_EEEE10hipError_tPvRmT1_T2_T3_mT4_P12ihipStream_tbEUlT_E1_NS1_11comp_targetILNS1_3genE2ELNS1_11target_archE906ELNS1_3gpuE6ELNS1_3repE0EEENS1_30default_config_static_selectorELNS0_4arch9wavefront6targetE0EEEvS14_
; %bb.0:
	.section	.rodata,"a",@progbits
	.p2align	6, 0x0
	.amdhsa_kernel _ZN7rocprim17ROCPRIM_400000_NS6detail17trampoline_kernelINS0_14default_configENS1_22reduce_config_selectorIN6thrust23THRUST_200600_302600_NS5tupleIblNS6_9null_typeES8_S8_S8_S8_S8_S8_S8_EEEEZNS1_11reduce_implILb1ES3_NS6_12zip_iteratorINS7_INS6_11hip_rocprim26transform_input_iterator_tIbNSD_35transform_pair_of_input_iterators_tIbNS6_6detail15normal_iteratorINS6_10device_ptrIKjEEEESL_NS6_8equal_toIjEEEENSG_9not_fun_tINSD_8identityEEEEENSD_19counting_iterator_tIlEES8_S8_S8_S8_S8_S8_S8_S8_EEEEPS9_S9_NSD_9__find_if7functorIS9_EEEE10hipError_tPvRmT1_T2_T3_mT4_P12ihipStream_tbEUlT_E1_NS1_11comp_targetILNS1_3genE2ELNS1_11target_archE906ELNS1_3gpuE6ELNS1_3repE0EEENS1_30default_config_static_selectorELNS0_4arch9wavefront6targetE0EEEvS14_
		.amdhsa_group_segment_fixed_size 0
		.amdhsa_private_segment_fixed_size 0
		.amdhsa_kernarg_size 88
		.amdhsa_user_sgpr_count 6
		.amdhsa_user_sgpr_private_segment_buffer 1
		.amdhsa_user_sgpr_dispatch_ptr 0
		.amdhsa_user_sgpr_queue_ptr 0
		.amdhsa_user_sgpr_kernarg_segment_ptr 1
		.amdhsa_user_sgpr_dispatch_id 0
		.amdhsa_user_sgpr_flat_scratch_init 0
		.amdhsa_user_sgpr_private_segment_size 0
		.amdhsa_wavefront_size32 1
		.amdhsa_uses_dynamic_stack 0
		.amdhsa_system_sgpr_private_segment_wavefront_offset 0
		.amdhsa_system_sgpr_workgroup_id_x 1
		.amdhsa_system_sgpr_workgroup_id_y 0
		.amdhsa_system_sgpr_workgroup_id_z 0
		.amdhsa_system_sgpr_workgroup_info 0
		.amdhsa_system_vgpr_workitem_id 0
		.amdhsa_next_free_vgpr 1
		.amdhsa_next_free_sgpr 1
		.amdhsa_reserve_vcc 0
		.amdhsa_reserve_flat_scratch 0
		.amdhsa_float_round_mode_32 0
		.amdhsa_float_round_mode_16_64 0
		.amdhsa_float_denorm_mode_32 3
		.amdhsa_float_denorm_mode_16_64 3
		.amdhsa_dx10_clamp 1
		.amdhsa_ieee_mode 1
		.amdhsa_fp16_overflow 0
		.amdhsa_workgroup_processor_mode 1
		.amdhsa_memory_ordered 1
		.amdhsa_forward_progress 1
		.amdhsa_shared_vgpr_count 0
		.amdhsa_exception_fp_ieee_invalid_op 0
		.amdhsa_exception_fp_denorm_src 0
		.amdhsa_exception_fp_ieee_div_zero 0
		.amdhsa_exception_fp_ieee_overflow 0
		.amdhsa_exception_fp_ieee_underflow 0
		.amdhsa_exception_fp_ieee_inexact 0
		.amdhsa_exception_int_div_zero 0
	.end_amdhsa_kernel
	.section	.text._ZN7rocprim17ROCPRIM_400000_NS6detail17trampoline_kernelINS0_14default_configENS1_22reduce_config_selectorIN6thrust23THRUST_200600_302600_NS5tupleIblNS6_9null_typeES8_S8_S8_S8_S8_S8_S8_EEEEZNS1_11reduce_implILb1ES3_NS6_12zip_iteratorINS7_INS6_11hip_rocprim26transform_input_iterator_tIbNSD_35transform_pair_of_input_iterators_tIbNS6_6detail15normal_iteratorINS6_10device_ptrIKjEEEESL_NS6_8equal_toIjEEEENSG_9not_fun_tINSD_8identityEEEEENSD_19counting_iterator_tIlEES8_S8_S8_S8_S8_S8_S8_S8_EEEEPS9_S9_NSD_9__find_if7functorIS9_EEEE10hipError_tPvRmT1_T2_T3_mT4_P12ihipStream_tbEUlT_E1_NS1_11comp_targetILNS1_3genE2ELNS1_11target_archE906ELNS1_3gpuE6ELNS1_3repE0EEENS1_30default_config_static_selectorELNS0_4arch9wavefront6targetE0EEEvS14_,"axG",@progbits,_ZN7rocprim17ROCPRIM_400000_NS6detail17trampoline_kernelINS0_14default_configENS1_22reduce_config_selectorIN6thrust23THRUST_200600_302600_NS5tupleIblNS6_9null_typeES8_S8_S8_S8_S8_S8_S8_EEEEZNS1_11reduce_implILb1ES3_NS6_12zip_iteratorINS7_INS6_11hip_rocprim26transform_input_iterator_tIbNSD_35transform_pair_of_input_iterators_tIbNS6_6detail15normal_iteratorINS6_10device_ptrIKjEEEESL_NS6_8equal_toIjEEEENSG_9not_fun_tINSD_8identityEEEEENSD_19counting_iterator_tIlEES8_S8_S8_S8_S8_S8_S8_S8_EEEEPS9_S9_NSD_9__find_if7functorIS9_EEEE10hipError_tPvRmT1_T2_T3_mT4_P12ihipStream_tbEUlT_E1_NS1_11comp_targetILNS1_3genE2ELNS1_11target_archE906ELNS1_3gpuE6ELNS1_3repE0EEENS1_30default_config_static_selectorELNS0_4arch9wavefront6targetE0EEEvS14_,comdat
.Lfunc_end164:
	.size	_ZN7rocprim17ROCPRIM_400000_NS6detail17trampoline_kernelINS0_14default_configENS1_22reduce_config_selectorIN6thrust23THRUST_200600_302600_NS5tupleIblNS6_9null_typeES8_S8_S8_S8_S8_S8_S8_EEEEZNS1_11reduce_implILb1ES3_NS6_12zip_iteratorINS7_INS6_11hip_rocprim26transform_input_iterator_tIbNSD_35transform_pair_of_input_iterators_tIbNS6_6detail15normal_iteratorINS6_10device_ptrIKjEEEESL_NS6_8equal_toIjEEEENSG_9not_fun_tINSD_8identityEEEEENSD_19counting_iterator_tIlEES8_S8_S8_S8_S8_S8_S8_S8_EEEEPS9_S9_NSD_9__find_if7functorIS9_EEEE10hipError_tPvRmT1_T2_T3_mT4_P12ihipStream_tbEUlT_E1_NS1_11comp_targetILNS1_3genE2ELNS1_11target_archE906ELNS1_3gpuE6ELNS1_3repE0EEENS1_30default_config_static_selectorELNS0_4arch9wavefront6targetE0EEEvS14_, .Lfunc_end164-_ZN7rocprim17ROCPRIM_400000_NS6detail17trampoline_kernelINS0_14default_configENS1_22reduce_config_selectorIN6thrust23THRUST_200600_302600_NS5tupleIblNS6_9null_typeES8_S8_S8_S8_S8_S8_S8_EEEEZNS1_11reduce_implILb1ES3_NS6_12zip_iteratorINS7_INS6_11hip_rocprim26transform_input_iterator_tIbNSD_35transform_pair_of_input_iterators_tIbNS6_6detail15normal_iteratorINS6_10device_ptrIKjEEEESL_NS6_8equal_toIjEEEENSG_9not_fun_tINSD_8identityEEEEENSD_19counting_iterator_tIlEES8_S8_S8_S8_S8_S8_S8_S8_EEEEPS9_S9_NSD_9__find_if7functorIS9_EEEE10hipError_tPvRmT1_T2_T3_mT4_P12ihipStream_tbEUlT_E1_NS1_11comp_targetILNS1_3genE2ELNS1_11target_archE906ELNS1_3gpuE6ELNS1_3repE0EEENS1_30default_config_static_selectorELNS0_4arch9wavefront6targetE0EEEvS14_
                                        ; -- End function
	.set _ZN7rocprim17ROCPRIM_400000_NS6detail17trampoline_kernelINS0_14default_configENS1_22reduce_config_selectorIN6thrust23THRUST_200600_302600_NS5tupleIblNS6_9null_typeES8_S8_S8_S8_S8_S8_S8_EEEEZNS1_11reduce_implILb1ES3_NS6_12zip_iteratorINS7_INS6_11hip_rocprim26transform_input_iterator_tIbNSD_35transform_pair_of_input_iterators_tIbNS6_6detail15normal_iteratorINS6_10device_ptrIKjEEEESL_NS6_8equal_toIjEEEENSG_9not_fun_tINSD_8identityEEEEENSD_19counting_iterator_tIlEES8_S8_S8_S8_S8_S8_S8_S8_EEEEPS9_S9_NSD_9__find_if7functorIS9_EEEE10hipError_tPvRmT1_T2_T3_mT4_P12ihipStream_tbEUlT_E1_NS1_11comp_targetILNS1_3genE2ELNS1_11target_archE906ELNS1_3gpuE6ELNS1_3repE0EEENS1_30default_config_static_selectorELNS0_4arch9wavefront6targetE0EEEvS14_.num_vgpr, 0
	.set _ZN7rocprim17ROCPRIM_400000_NS6detail17trampoline_kernelINS0_14default_configENS1_22reduce_config_selectorIN6thrust23THRUST_200600_302600_NS5tupleIblNS6_9null_typeES8_S8_S8_S8_S8_S8_S8_EEEEZNS1_11reduce_implILb1ES3_NS6_12zip_iteratorINS7_INS6_11hip_rocprim26transform_input_iterator_tIbNSD_35transform_pair_of_input_iterators_tIbNS6_6detail15normal_iteratorINS6_10device_ptrIKjEEEESL_NS6_8equal_toIjEEEENSG_9not_fun_tINSD_8identityEEEEENSD_19counting_iterator_tIlEES8_S8_S8_S8_S8_S8_S8_S8_EEEEPS9_S9_NSD_9__find_if7functorIS9_EEEE10hipError_tPvRmT1_T2_T3_mT4_P12ihipStream_tbEUlT_E1_NS1_11comp_targetILNS1_3genE2ELNS1_11target_archE906ELNS1_3gpuE6ELNS1_3repE0EEENS1_30default_config_static_selectorELNS0_4arch9wavefront6targetE0EEEvS14_.num_agpr, 0
	.set _ZN7rocprim17ROCPRIM_400000_NS6detail17trampoline_kernelINS0_14default_configENS1_22reduce_config_selectorIN6thrust23THRUST_200600_302600_NS5tupleIblNS6_9null_typeES8_S8_S8_S8_S8_S8_S8_EEEEZNS1_11reduce_implILb1ES3_NS6_12zip_iteratorINS7_INS6_11hip_rocprim26transform_input_iterator_tIbNSD_35transform_pair_of_input_iterators_tIbNS6_6detail15normal_iteratorINS6_10device_ptrIKjEEEESL_NS6_8equal_toIjEEEENSG_9not_fun_tINSD_8identityEEEEENSD_19counting_iterator_tIlEES8_S8_S8_S8_S8_S8_S8_S8_EEEEPS9_S9_NSD_9__find_if7functorIS9_EEEE10hipError_tPvRmT1_T2_T3_mT4_P12ihipStream_tbEUlT_E1_NS1_11comp_targetILNS1_3genE2ELNS1_11target_archE906ELNS1_3gpuE6ELNS1_3repE0EEENS1_30default_config_static_selectorELNS0_4arch9wavefront6targetE0EEEvS14_.numbered_sgpr, 0
	.set _ZN7rocprim17ROCPRIM_400000_NS6detail17trampoline_kernelINS0_14default_configENS1_22reduce_config_selectorIN6thrust23THRUST_200600_302600_NS5tupleIblNS6_9null_typeES8_S8_S8_S8_S8_S8_S8_EEEEZNS1_11reduce_implILb1ES3_NS6_12zip_iteratorINS7_INS6_11hip_rocprim26transform_input_iterator_tIbNSD_35transform_pair_of_input_iterators_tIbNS6_6detail15normal_iteratorINS6_10device_ptrIKjEEEESL_NS6_8equal_toIjEEEENSG_9not_fun_tINSD_8identityEEEEENSD_19counting_iterator_tIlEES8_S8_S8_S8_S8_S8_S8_S8_EEEEPS9_S9_NSD_9__find_if7functorIS9_EEEE10hipError_tPvRmT1_T2_T3_mT4_P12ihipStream_tbEUlT_E1_NS1_11comp_targetILNS1_3genE2ELNS1_11target_archE906ELNS1_3gpuE6ELNS1_3repE0EEENS1_30default_config_static_selectorELNS0_4arch9wavefront6targetE0EEEvS14_.num_named_barrier, 0
	.set _ZN7rocprim17ROCPRIM_400000_NS6detail17trampoline_kernelINS0_14default_configENS1_22reduce_config_selectorIN6thrust23THRUST_200600_302600_NS5tupleIblNS6_9null_typeES8_S8_S8_S8_S8_S8_S8_EEEEZNS1_11reduce_implILb1ES3_NS6_12zip_iteratorINS7_INS6_11hip_rocprim26transform_input_iterator_tIbNSD_35transform_pair_of_input_iterators_tIbNS6_6detail15normal_iteratorINS6_10device_ptrIKjEEEESL_NS6_8equal_toIjEEEENSG_9not_fun_tINSD_8identityEEEEENSD_19counting_iterator_tIlEES8_S8_S8_S8_S8_S8_S8_S8_EEEEPS9_S9_NSD_9__find_if7functorIS9_EEEE10hipError_tPvRmT1_T2_T3_mT4_P12ihipStream_tbEUlT_E1_NS1_11comp_targetILNS1_3genE2ELNS1_11target_archE906ELNS1_3gpuE6ELNS1_3repE0EEENS1_30default_config_static_selectorELNS0_4arch9wavefront6targetE0EEEvS14_.private_seg_size, 0
	.set _ZN7rocprim17ROCPRIM_400000_NS6detail17trampoline_kernelINS0_14default_configENS1_22reduce_config_selectorIN6thrust23THRUST_200600_302600_NS5tupleIblNS6_9null_typeES8_S8_S8_S8_S8_S8_S8_EEEEZNS1_11reduce_implILb1ES3_NS6_12zip_iteratorINS7_INS6_11hip_rocprim26transform_input_iterator_tIbNSD_35transform_pair_of_input_iterators_tIbNS6_6detail15normal_iteratorINS6_10device_ptrIKjEEEESL_NS6_8equal_toIjEEEENSG_9not_fun_tINSD_8identityEEEEENSD_19counting_iterator_tIlEES8_S8_S8_S8_S8_S8_S8_S8_EEEEPS9_S9_NSD_9__find_if7functorIS9_EEEE10hipError_tPvRmT1_T2_T3_mT4_P12ihipStream_tbEUlT_E1_NS1_11comp_targetILNS1_3genE2ELNS1_11target_archE906ELNS1_3gpuE6ELNS1_3repE0EEENS1_30default_config_static_selectorELNS0_4arch9wavefront6targetE0EEEvS14_.uses_vcc, 0
	.set _ZN7rocprim17ROCPRIM_400000_NS6detail17trampoline_kernelINS0_14default_configENS1_22reduce_config_selectorIN6thrust23THRUST_200600_302600_NS5tupleIblNS6_9null_typeES8_S8_S8_S8_S8_S8_S8_EEEEZNS1_11reduce_implILb1ES3_NS6_12zip_iteratorINS7_INS6_11hip_rocprim26transform_input_iterator_tIbNSD_35transform_pair_of_input_iterators_tIbNS6_6detail15normal_iteratorINS6_10device_ptrIKjEEEESL_NS6_8equal_toIjEEEENSG_9not_fun_tINSD_8identityEEEEENSD_19counting_iterator_tIlEES8_S8_S8_S8_S8_S8_S8_S8_EEEEPS9_S9_NSD_9__find_if7functorIS9_EEEE10hipError_tPvRmT1_T2_T3_mT4_P12ihipStream_tbEUlT_E1_NS1_11comp_targetILNS1_3genE2ELNS1_11target_archE906ELNS1_3gpuE6ELNS1_3repE0EEENS1_30default_config_static_selectorELNS0_4arch9wavefront6targetE0EEEvS14_.uses_flat_scratch, 0
	.set _ZN7rocprim17ROCPRIM_400000_NS6detail17trampoline_kernelINS0_14default_configENS1_22reduce_config_selectorIN6thrust23THRUST_200600_302600_NS5tupleIblNS6_9null_typeES8_S8_S8_S8_S8_S8_S8_EEEEZNS1_11reduce_implILb1ES3_NS6_12zip_iteratorINS7_INS6_11hip_rocprim26transform_input_iterator_tIbNSD_35transform_pair_of_input_iterators_tIbNS6_6detail15normal_iteratorINS6_10device_ptrIKjEEEESL_NS6_8equal_toIjEEEENSG_9not_fun_tINSD_8identityEEEEENSD_19counting_iterator_tIlEES8_S8_S8_S8_S8_S8_S8_S8_EEEEPS9_S9_NSD_9__find_if7functorIS9_EEEE10hipError_tPvRmT1_T2_T3_mT4_P12ihipStream_tbEUlT_E1_NS1_11comp_targetILNS1_3genE2ELNS1_11target_archE906ELNS1_3gpuE6ELNS1_3repE0EEENS1_30default_config_static_selectorELNS0_4arch9wavefront6targetE0EEEvS14_.has_dyn_sized_stack, 0
	.set _ZN7rocprim17ROCPRIM_400000_NS6detail17trampoline_kernelINS0_14default_configENS1_22reduce_config_selectorIN6thrust23THRUST_200600_302600_NS5tupleIblNS6_9null_typeES8_S8_S8_S8_S8_S8_S8_EEEEZNS1_11reduce_implILb1ES3_NS6_12zip_iteratorINS7_INS6_11hip_rocprim26transform_input_iterator_tIbNSD_35transform_pair_of_input_iterators_tIbNS6_6detail15normal_iteratorINS6_10device_ptrIKjEEEESL_NS6_8equal_toIjEEEENSG_9not_fun_tINSD_8identityEEEEENSD_19counting_iterator_tIlEES8_S8_S8_S8_S8_S8_S8_S8_EEEEPS9_S9_NSD_9__find_if7functorIS9_EEEE10hipError_tPvRmT1_T2_T3_mT4_P12ihipStream_tbEUlT_E1_NS1_11comp_targetILNS1_3genE2ELNS1_11target_archE906ELNS1_3gpuE6ELNS1_3repE0EEENS1_30default_config_static_selectorELNS0_4arch9wavefront6targetE0EEEvS14_.has_recursion, 0
	.set _ZN7rocprim17ROCPRIM_400000_NS6detail17trampoline_kernelINS0_14default_configENS1_22reduce_config_selectorIN6thrust23THRUST_200600_302600_NS5tupleIblNS6_9null_typeES8_S8_S8_S8_S8_S8_S8_EEEEZNS1_11reduce_implILb1ES3_NS6_12zip_iteratorINS7_INS6_11hip_rocprim26transform_input_iterator_tIbNSD_35transform_pair_of_input_iterators_tIbNS6_6detail15normal_iteratorINS6_10device_ptrIKjEEEESL_NS6_8equal_toIjEEEENSG_9not_fun_tINSD_8identityEEEEENSD_19counting_iterator_tIlEES8_S8_S8_S8_S8_S8_S8_S8_EEEEPS9_S9_NSD_9__find_if7functorIS9_EEEE10hipError_tPvRmT1_T2_T3_mT4_P12ihipStream_tbEUlT_E1_NS1_11comp_targetILNS1_3genE2ELNS1_11target_archE906ELNS1_3gpuE6ELNS1_3repE0EEENS1_30default_config_static_selectorELNS0_4arch9wavefront6targetE0EEEvS14_.has_indirect_call, 0
	.section	.AMDGPU.csdata,"",@progbits
; Kernel info:
; codeLenInByte = 0
; TotalNumSgprs: 0
; NumVgprs: 0
; ScratchSize: 0
; MemoryBound: 0
; FloatMode: 240
; IeeeMode: 1
; LDSByteSize: 0 bytes/workgroup (compile time only)
; SGPRBlocks: 0
; VGPRBlocks: 0
; NumSGPRsForWavesPerEU: 1
; NumVGPRsForWavesPerEU: 1
; Occupancy: 16
; WaveLimiterHint : 0
; COMPUTE_PGM_RSRC2:SCRATCH_EN: 0
; COMPUTE_PGM_RSRC2:USER_SGPR: 6
; COMPUTE_PGM_RSRC2:TRAP_HANDLER: 0
; COMPUTE_PGM_RSRC2:TGID_X_EN: 1
; COMPUTE_PGM_RSRC2:TGID_Y_EN: 0
; COMPUTE_PGM_RSRC2:TGID_Z_EN: 0
; COMPUTE_PGM_RSRC2:TIDIG_COMP_CNT: 0
	.section	.text._ZN7rocprim17ROCPRIM_400000_NS6detail17trampoline_kernelINS0_14default_configENS1_22reduce_config_selectorIN6thrust23THRUST_200600_302600_NS5tupleIblNS6_9null_typeES8_S8_S8_S8_S8_S8_S8_EEEEZNS1_11reduce_implILb1ES3_NS6_12zip_iteratorINS7_INS6_11hip_rocprim26transform_input_iterator_tIbNSD_35transform_pair_of_input_iterators_tIbNS6_6detail15normal_iteratorINS6_10device_ptrIKjEEEESL_NS6_8equal_toIjEEEENSG_9not_fun_tINSD_8identityEEEEENSD_19counting_iterator_tIlEES8_S8_S8_S8_S8_S8_S8_S8_EEEEPS9_S9_NSD_9__find_if7functorIS9_EEEE10hipError_tPvRmT1_T2_T3_mT4_P12ihipStream_tbEUlT_E1_NS1_11comp_targetILNS1_3genE10ELNS1_11target_archE1201ELNS1_3gpuE5ELNS1_3repE0EEENS1_30default_config_static_selectorELNS0_4arch9wavefront6targetE0EEEvS14_,"axG",@progbits,_ZN7rocprim17ROCPRIM_400000_NS6detail17trampoline_kernelINS0_14default_configENS1_22reduce_config_selectorIN6thrust23THRUST_200600_302600_NS5tupleIblNS6_9null_typeES8_S8_S8_S8_S8_S8_S8_EEEEZNS1_11reduce_implILb1ES3_NS6_12zip_iteratorINS7_INS6_11hip_rocprim26transform_input_iterator_tIbNSD_35transform_pair_of_input_iterators_tIbNS6_6detail15normal_iteratorINS6_10device_ptrIKjEEEESL_NS6_8equal_toIjEEEENSG_9not_fun_tINSD_8identityEEEEENSD_19counting_iterator_tIlEES8_S8_S8_S8_S8_S8_S8_S8_EEEEPS9_S9_NSD_9__find_if7functorIS9_EEEE10hipError_tPvRmT1_T2_T3_mT4_P12ihipStream_tbEUlT_E1_NS1_11comp_targetILNS1_3genE10ELNS1_11target_archE1201ELNS1_3gpuE5ELNS1_3repE0EEENS1_30default_config_static_selectorELNS0_4arch9wavefront6targetE0EEEvS14_,comdat
	.protected	_ZN7rocprim17ROCPRIM_400000_NS6detail17trampoline_kernelINS0_14default_configENS1_22reduce_config_selectorIN6thrust23THRUST_200600_302600_NS5tupleIblNS6_9null_typeES8_S8_S8_S8_S8_S8_S8_EEEEZNS1_11reduce_implILb1ES3_NS6_12zip_iteratorINS7_INS6_11hip_rocprim26transform_input_iterator_tIbNSD_35transform_pair_of_input_iterators_tIbNS6_6detail15normal_iteratorINS6_10device_ptrIKjEEEESL_NS6_8equal_toIjEEEENSG_9not_fun_tINSD_8identityEEEEENSD_19counting_iterator_tIlEES8_S8_S8_S8_S8_S8_S8_S8_EEEEPS9_S9_NSD_9__find_if7functorIS9_EEEE10hipError_tPvRmT1_T2_T3_mT4_P12ihipStream_tbEUlT_E1_NS1_11comp_targetILNS1_3genE10ELNS1_11target_archE1201ELNS1_3gpuE5ELNS1_3repE0EEENS1_30default_config_static_selectorELNS0_4arch9wavefront6targetE0EEEvS14_ ; -- Begin function _ZN7rocprim17ROCPRIM_400000_NS6detail17trampoline_kernelINS0_14default_configENS1_22reduce_config_selectorIN6thrust23THRUST_200600_302600_NS5tupleIblNS6_9null_typeES8_S8_S8_S8_S8_S8_S8_EEEEZNS1_11reduce_implILb1ES3_NS6_12zip_iteratorINS7_INS6_11hip_rocprim26transform_input_iterator_tIbNSD_35transform_pair_of_input_iterators_tIbNS6_6detail15normal_iteratorINS6_10device_ptrIKjEEEESL_NS6_8equal_toIjEEEENSG_9not_fun_tINSD_8identityEEEEENSD_19counting_iterator_tIlEES8_S8_S8_S8_S8_S8_S8_S8_EEEEPS9_S9_NSD_9__find_if7functorIS9_EEEE10hipError_tPvRmT1_T2_T3_mT4_P12ihipStream_tbEUlT_E1_NS1_11comp_targetILNS1_3genE10ELNS1_11target_archE1201ELNS1_3gpuE5ELNS1_3repE0EEENS1_30default_config_static_selectorELNS0_4arch9wavefront6targetE0EEEvS14_
	.globl	_ZN7rocprim17ROCPRIM_400000_NS6detail17trampoline_kernelINS0_14default_configENS1_22reduce_config_selectorIN6thrust23THRUST_200600_302600_NS5tupleIblNS6_9null_typeES8_S8_S8_S8_S8_S8_S8_EEEEZNS1_11reduce_implILb1ES3_NS6_12zip_iteratorINS7_INS6_11hip_rocprim26transform_input_iterator_tIbNSD_35transform_pair_of_input_iterators_tIbNS6_6detail15normal_iteratorINS6_10device_ptrIKjEEEESL_NS6_8equal_toIjEEEENSG_9not_fun_tINSD_8identityEEEEENSD_19counting_iterator_tIlEES8_S8_S8_S8_S8_S8_S8_S8_EEEEPS9_S9_NSD_9__find_if7functorIS9_EEEE10hipError_tPvRmT1_T2_T3_mT4_P12ihipStream_tbEUlT_E1_NS1_11comp_targetILNS1_3genE10ELNS1_11target_archE1201ELNS1_3gpuE5ELNS1_3repE0EEENS1_30default_config_static_selectorELNS0_4arch9wavefront6targetE0EEEvS14_
	.p2align	8
	.type	_ZN7rocprim17ROCPRIM_400000_NS6detail17trampoline_kernelINS0_14default_configENS1_22reduce_config_selectorIN6thrust23THRUST_200600_302600_NS5tupleIblNS6_9null_typeES8_S8_S8_S8_S8_S8_S8_EEEEZNS1_11reduce_implILb1ES3_NS6_12zip_iteratorINS7_INS6_11hip_rocprim26transform_input_iterator_tIbNSD_35transform_pair_of_input_iterators_tIbNS6_6detail15normal_iteratorINS6_10device_ptrIKjEEEESL_NS6_8equal_toIjEEEENSG_9not_fun_tINSD_8identityEEEEENSD_19counting_iterator_tIlEES8_S8_S8_S8_S8_S8_S8_S8_EEEEPS9_S9_NSD_9__find_if7functorIS9_EEEE10hipError_tPvRmT1_T2_T3_mT4_P12ihipStream_tbEUlT_E1_NS1_11comp_targetILNS1_3genE10ELNS1_11target_archE1201ELNS1_3gpuE5ELNS1_3repE0EEENS1_30default_config_static_selectorELNS0_4arch9wavefront6targetE0EEEvS14_,@function
_ZN7rocprim17ROCPRIM_400000_NS6detail17trampoline_kernelINS0_14default_configENS1_22reduce_config_selectorIN6thrust23THRUST_200600_302600_NS5tupleIblNS6_9null_typeES8_S8_S8_S8_S8_S8_S8_EEEEZNS1_11reduce_implILb1ES3_NS6_12zip_iteratorINS7_INS6_11hip_rocprim26transform_input_iterator_tIbNSD_35transform_pair_of_input_iterators_tIbNS6_6detail15normal_iteratorINS6_10device_ptrIKjEEEESL_NS6_8equal_toIjEEEENSG_9not_fun_tINSD_8identityEEEEENSD_19counting_iterator_tIlEES8_S8_S8_S8_S8_S8_S8_S8_EEEEPS9_S9_NSD_9__find_if7functorIS9_EEEE10hipError_tPvRmT1_T2_T3_mT4_P12ihipStream_tbEUlT_E1_NS1_11comp_targetILNS1_3genE10ELNS1_11target_archE1201ELNS1_3gpuE5ELNS1_3repE0EEENS1_30default_config_static_selectorELNS0_4arch9wavefront6targetE0EEEvS14_: ; @_ZN7rocprim17ROCPRIM_400000_NS6detail17trampoline_kernelINS0_14default_configENS1_22reduce_config_selectorIN6thrust23THRUST_200600_302600_NS5tupleIblNS6_9null_typeES8_S8_S8_S8_S8_S8_S8_EEEEZNS1_11reduce_implILb1ES3_NS6_12zip_iteratorINS7_INS6_11hip_rocprim26transform_input_iterator_tIbNSD_35transform_pair_of_input_iterators_tIbNS6_6detail15normal_iteratorINS6_10device_ptrIKjEEEESL_NS6_8equal_toIjEEEENSG_9not_fun_tINSD_8identityEEEEENSD_19counting_iterator_tIlEES8_S8_S8_S8_S8_S8_S8_S8_EEEEPS9_S9_NSD_9__find_if7functorIS9_EEEE10hipError_tPvRmT1_T2_T3_mT4_P12ihipStream_tbEUlT_E1_NS1_11comp_targetILNS1_3genE10ELNS1_11target_archE1201ELNS1_3gpuE5ELNS1_3repE0EEENS1_30default_config_static_selectorELNS0_4arch9wavefront6targetE0EEEvS14_
; %bb.0:
	.section	.rodata,"a",@progbits
	.p2align	6, 0x0
	.amdhsa_kernel _ZN7rocprim17ROCPRIM_400000_NS6detail17trampoline_kernelINS0_14default_configENS1_22reduce_config_selectorIN6thrust23THRUST_200600_302600_NS5tupleIblNS6_9null_typeES8_S8_S8_S8_S8_S8_S8_EEEEZNS1_11reduce_implILb1ES3_NS6_12zip_iteratorINS7_INS6_11hip_rocprim26transform_input_iterator_tIbNSD_35transform_pair_of_input_iterators_tIbNS6_6detail15normal_iteratorINS6_10device_ptrIKjEEEESL_NS6_8equal_toIjEEEENSG_9not_fun_tINSD_8identityEEEEENSD_19counting_iterator_tIlEES8_S8_S8_S8_S8_S8_S8_S8_EEEEPS9_S9_NSD_9__find_if7functorIS9_EEEE10hipError_tPvRmT1_T2_T3_mT4_P12ihipStream_tbEUlT_E1_NS1_11comp_targetILNS1_3genE10ELNS1_11target_archE1201ELNS1_3gpuE5ELNS1_3repE0EEENS1_30default_config_static_selectorELNS0_4arch9wavefront6targetE0EEEvS14_
		.amdhsa_group_segment_fixed_size 0
		.amdhsa_private_segment_fixed_size 0
		.amdhsa_kernarg_size 88
		.amdhsa_user_sgpr_count 6
		.amdhsa_user_sgpr_private_segment_buffer 1
		.amdhsa_user_sgpr_dispatch_ptr 0
		.amdhsa_user_sgpr_queue_ptr 0
		.amdhsa_user_sgpr_kernarg_segment_ptr 1
		.amdhsa_user_sgpr_dispatch_id 0
		.amdhsa_user_sgpr_flat_scratch_init 0
		.amdhsa_user_sgpr_private_segment_size 0
		.amdhsa_wavefront_size32 1
		.amdhsa_uses_dynamic_stack 0
		.amdhsa_system_sgpr_private_segment_wavefront_offset 0
		.amdhsa_system_sgpr_workgroup_id_x 1
		.amdhsa_system_sgpr_workgroup_id_y 0
		.amdhsa_system_sgpr_workgroup_id_z 0
		.amdhsa_system_sgpr_workgroup_info 0
		.amdhsa_system_vgpr_workitem_id 0
		.amdhsa_next_free_vgpr 1
		.amdhsa_next_free_sgpr 1
		.amdhsa_reserve_vcc 0
		.amdhsa_reserve_flat_scratch 0
		.amdhsa_float_round_mode_32 0
		.amdhsa_float_round_mode_16_64 0
		.amdhsa_float_denorm_mode_32 3
		.amdhsa_float_denorm_mode_16_64 3
		.amdhsa_dx10_clamp 1
		.amdhsa_ieee_mode 1
		.amdhsa_fp16_overflow 0
		.amdhsa_workgroup_processor_mode 1
		.amdhsa_memory_ordered 1
		.amdhsa_forward_progress 1
		.amdhsa_shared_vgpr_count 0
		.amdhsa_exception_fp_ieee_invalid_op 0
		.amdhsa_exception_fp_denorm_src 0
		.amdhsa_exception_fp_ieee_div_zero 0
		.amdhsa_exception_fp_ieee_overflow 0
		.amdhsa_exception_fp_ieee_underflow 0
		.amdhsa_exception_fp_ieee_inexact 0
		.amdhsa_exception_int_div_zero 0
	.end_amdhsa_kernel
	.section	.text._ZN7rocprim17ROCPRIM_400000_NS6detail17trampoline_kernelINS0_14default_configENS1_22reduce_config_selectorIN6thrust23THRUST_200600_302600_NS5tupleIblNS6_9null_typeES8_S8_S8_S8_S8_S8_S8_EEEEZNS1_11reduce_implILb1ES3_NS6_12zip_iteratorINS7_INS6_11hip_rocprim26transform_input_iterator_tIbNSD_35transform_pair_of_input_iterators_tIbNS6_6detail15normal_iteratorINS6_10device_ptrIKjEEEESL_NS6_8equal_toIjEEEENSG_9not_fun_tINSD_8identityEEEEENSD_19counting_iterator_tIlEES8_S8_S8_S8_S8_S8_S8_S8_EEEEPS9_S9_NSD_9__find_if7functorIS9_EEEE10hipError_tPvRmT1_T2_T3_mT4_P12ihipStream_tbEUlT_E1_NS1_11comp_targetILNS1_3genE10ELNS1_11target_archE1201ELNS1_3gpuE5ELNS1_3repE0EEENS1_30default_config_static_selectorELNS0_4arch9wavefront6targetE0EEEvS14_,"axG",@progbits,_ZN7rocprim17ROCPRIM_400000_NS6detail17trampoline_kernelINS0_14default_configENS1_22reduce_config_selectorIN6thrust23THRUST_200600_302600_NS5tupleIblNS6_9null_typeES8_S8_S8_S8_S8_S8_S8_EEEEZNS1_11reduce_implILb1ES3_NS6_12zip_iteratorINS7_INS6_11hip_rocprim26transform_input_iterator_tIbNSD_35transform_pair_of_input_iterators_tIbNS6_6detail15normal_iteratorINS6_10device_ptrIKjEEEESL_NS6_8equal_toIjEEEENSG_9not_fun_tINSD_8identityEEEEENSD_19counting_iterator_tIlEES8_S8_S8_S8_S8_S8_S8_S8_EEEEPS9_S9_NSD_9__find_if7functorIS9_EEEE10hipError_tPvRmT1_T2_T3_mT4_P12ihipStream_tbEUlT_E1_NS1_11comp_targetILNS1_3genE10ELNS1_11target_archE1201ELNS1_3gpuE5ELNS1_3repE0EEENS1_30default_config_static_selectorELNS0_4arch9wavefront6targetE0EEEvS14_,comdat
.Lfunc_end165:
	.size	_ZN7rocprim17ROCPRIM_400000_NS6detail17trampoline_kernelINS0_14default_configENS1_22reduce_config_selectorIN6thrust23THRUST_200600_302600_NS5tupleIblNS6_9null_typeES8_S8_S8_S8_S8_S8_S8_EEEEZNS1_11reduce_implILb1ES3_NS6_12zip_iteratorINS7_INS6_11hip_rocprim26transform_input_iterator_tIbNSD_35transform_pair_of_input_iterators_tIbNS6_6detail15normal_iteratorINS6_10device_ptrIKjEEEESL_NS6_8equal_toIjEEEENSG_9not_fun_tINSD_8identityEEEEENSD_19counting_iterator_tIlEES8_S8_S8_S8_S8_S8_S8_S8_EEEEPS9_S9_NSD_9__find_if7functorIS9_EEEE10hipError_tPvRmT1_T2_T3_mT4_P12ihipStream_tbEUlT_E1_NS1_11comp_targetILNS1_3genE10ELNS1_11target_archE1201ELNS1_3gpuE5ELNS1_3repE0EEENS1_30default_config_static_selectorELNS0_4arch9wavefront6targetE0EEEvS14_, .Lfunc_end165-_ZN7rocprim17ROCPRIM_400000_NS6detail17trampoline_kernelINS0_14default_configENS1_22reduce_config_selectorIN6thrust23THRUST_200600_302600_NS5tupleIblNS6_9null_typeES8_S8_S8_S8_S8_S8_S8_EEEEZNS1_11reduce_implILb1ES3_NS6_12zip_iteratorINS7_INS6_11hip_rocprim26transform_input_iterator_tIbNSD_35transform_pair_of_input_iterators_tIbNS6_6detail15normal_iteratorINS6_10device_ptrIKjEEEESL_NS6_8equal_toIjEEEENSG_9not_fun_tINSD_8identityEEEEENSD_19counting_iterator_tIlEES8_S8_S8_S8_S8_S8_S8_S8_EEEEPS9_S9_NSD_9__find_if7functorIS9_EEEE10hipError_tPvRmT1_T2_T3_mT4_P12ihipStream_tbEUlT_E1_NS1_11comp_targetILNS1_3genE10ELNS1_11target_archE1201ELNS1_3gpuE5ELNS1_3repE0EEENS1_30default_config_static_selectorELNS0_4arch9wavefront6targetE0EEEvS14_
                                        ; -- End function
	.set _ZN7rocprim17ROCPRIM_400000_NS6detail17trampoline_kernelINS0_14default_configENS1_22reduce_config_selectorIN6thrust23THRUST_200600_302600_NS5tupleIblNS6_9null_typeES8_S8_S8_S8_S8_S8_S8_EEEEZNS1_11reduce_implILb1ES3_NS6_12zip_iteratorINS7_INS6_11hip_rocprim26transform_input_iterator_tIbNSD_35transform_pair_of_input_iterators_tIbNS6_6detail15normal_iteratorINS6_10device_ptrIKjEEEESL_NS6_8equal_toIjEEEENSG_9not_fun_tINSD_8identityEEEEENSD_19counting_iterator_tIlEES8_S8_S8_S8_S8_S8_S8_S8_EEEEPS9_S9_NSD_9__find_if7functorIS9_EEEE10hipError_tPvRmT1_T2_T3_mT4_P12ihipStream_tbEUlT_E1_NS1_11comp_targetILNS1_3genE10ELNS1_11target_archE1201ELNS1_3gpuE5ELNS1_3repE0EEENS1_30default_config_static_selectorELNS0_4arch9wavefront6targetE0EEEvS14_.num_vgpr, 0
	.set _ZN7rocprim17ROCPRIM_400000_NS6detail17trampoline_kernelINS0_14default_configENS1_22reduce_config_selectorIN6thrust23THRUST_200600_302600_NS5tupleIblNS6_9null_typeES8_S8_S8_S8_S8_S8_S8_EEEEZNS1_11reduce_implILb1ES3_NS6_12zip_iteratorINS7_INS6_11hip_rocprim26transform_input_iterator_tIbNSD_35transform_pair_of_input_iterators_tIbNS6_6detail15normal_iteratorINS6_10device_ptrIKjEEEESL_NS6_8equal_toIjEEEENSG_9not_fun_tINSD_8identityEEEEENSD_19counting_iterator_tIlEES8_S8_S8_S8_S8_S8_S8_S8_EEEEPS9_S9_NSD_9__find_if7functorIS9_EEEE10hipError_tPvRmT1_T2_T3_mT4_P12ihipStream_tbEUlT_E1_NS1_11comp_targetILNS1_3genE10ELNS1_11target_archE1201ELNS1_3gpuE5ELNS1_3repE0EEENS1_30default_config_static_selectorELNS0_4arch9wavefront6targetE0EEEvS14_.num_agpr, 0
	.set _ZN7rocprim17ROCPRIM_400000_NS6detail17trampoline_kernelINS0_14default_configENS1_22reduce_config_selectorIN6thrust23THRUST_200600_302600_NS5tupleIblNS6_9null_typeES8_S8_S8_S8_S8_S8_S8_EEEEZNS1_11reduce_implILb1ES3_NS6_12zip_iteratorINS7_INS6_11hip_rocprim26transform_input_iterator_tIbNSD_35transform_pair_of_input_iterators_tIbNS6_6detail15normal_iteratorINS6_10device_ptrIKjEEEESL_NS6_8equal_toIjEEEENSG_9not_fun_tINSD_8identityEEEEENSD_19counting_iterator_tIlEES8_S8_S8_S8_S8_S8_S8_S8_EEEEPS9_S9_NSD_9__find_if7functorIS9_EEEE10hipError_tPvRmT1_T2_T3_mT4_P12ihipStream_tbEUlT_E1_NS1_11comp_targetILNS1_3genE10ELNS1_11target_archE1201ELNS1_3gpuE5ELNS1_3repE0EEENS1_30default_config_static_selectorELNS0_4arch9wavefront6targetE0EEEvS14_.numbered_sgpr, 0
	.set _ZN7rocprim17ROCPRIM_400000_NS6detail17trampoline_kernelINS0_14default_configENS1_22reduce_config_selectorIN6thrust23THRUST_200600_302600_NS5tupleIblNS6_9null_typeES8_S8_S8_S8_S8_S8_S8_EEEEZNS1_11reduce_implILb1ES3_NS6_12zip_iteratorINS7_INS6_11hip_rocprim26transform_input_iterator_tIbNSD_35transform_pair_of_input_iterators_tIbNS6_6detail15normal_iteratorINS6_10device_ptrIKjEEEESL_NS6_8equal_toIjEEEENSG_9not_fun_tINSD_8identityEEEEENSD_19counting_iterator_tIlEES8_S8_S8_S8_S8_S8_S8_S8_EEEEPS9_S9_NSD_9__find_if7functorIS9_EEEE10hipError_tPvRmT1_T2_T3_mT4_P12ihipStream_tbEUlT_E1_NS1_11comp_targetILNS1_3genE10ELNS1_11target_archE1201ELNS1_3gpuE5ELNS1_3repE0EEENS1_30default_config_static_selectorELNS0_4arch9wavefront6targetE0EEEvS14_.num_named_barrier, 0
	.set _ZN7rocprim17ROCPRIM_400000_NS6detail17trampoline_kernelINS0_14default_configENS1_22reduce_config_selectorIN6thrust23THRUST_200600_302600_NS5tupleIblNS6_9null_typeES8_S8_S8_S8_S8_S8_S8_EEEEZNS1_11reduce_implILb1ES3_NS6_12zip_iteratorINS7_INS6_11hip_rocprim26transform_input_iterator_tIbNSD_35transform_pair_of_input_iterators_tIbNS6_6detail15normal_iteratorINS6_10device_ptrIKjEEEESL_NS6_8equal_toIjEEEENSG_9not_fun_tINSD_8identityEEEEENSD_19counting_iterator_tIlEES8_S8_S8_S8_S8_S8_S8_S8_EEEEPS9_S9_NSD_9__find_if7functorIS9_EEEE10hipError_tPvRmT1_T2_T3_mT4_P12ihipStream_tbEUlT_E1_NS1_11comp_targetILNS1_3genE10ELNS1_11target_archE1201ELNS1_3gpuE5ELNS1_3repE0EEENS1_30default_config_static_selectorELNS0_4arch9wavefront6targetE0EEEvS14_.private_seg_size, 0
	.set _ZN7rocprim17ROCPRIM_400000_NS6detail17trampoline_kernelINS0_14default_configENS1_22reduce_config_selectorIN6thrust23THRUST_200600_302600_NS5tupleIblNS6_9null_typeES8_S8_S8_S8_S8_S8_S8_EEEEZNS1_11reduce_implILb1ES3_NS6_12zip_iteratorINS7_INS6_11hip_rocprim26transform_input_iterator_tIbNSD_35transform_pair_of_input_iterators_tIbNS6_6detail15normal_iteratorINS6_10device_ptrIKjEEEESL_NS6_8equal_toIjEEEENSG_9not_fun_tINSD_8identityEEEEENSD_19counting_iterator_tIlEES8_S8_S8_S8_S8_S8_S8_S8_EEEEPS9_S9_NSD_9__find_if7functorIS9_EEEE10hipError_tPvRmT1_T2_T3_mT4_P12ihipStream_tbEUlT_E1_NS1_11comp_targetILNS1_3genE10ELNS1_11target_archE1201ELNS1_3gpuE5ELNS1_3repE0EEENS1_30default_config_static_selectorELNS0_4arch9wavefront6targetE0EEEvS14_.uses_vcc, 0
	.set _ZN7rocprim17ROCPRIM_400000_NS6detail17trampoline_kernelINS0_14default_configENS1_22reduce_config_selectorIN6thrust23THRUST_200600_302600_NS5tupleIblNS6_9null_typeES8_S8_S8_S8_S8_S8_S8_EEEEZNS1_11reduce_implILb1ES3_NS6_12zip_iteratorINS7_INS6_11hip_rocprim26transform_input_iterator_tIbNSD_35transform_pair_of_input_iterators_tIbNS6_6detail15normal_iteratorINS6_10device_ptrIKjEEEESL_NS6_8equal_toIjEEEENSG_9not_fun_tINSD_8identityEEEEENSD_19counting_iterator_tIlEES8_S8_S8_S8_S8_S8_S8_S8_EEEEPS9_S9_NSD_9__find_if7functorIS9_EEEE10hipError_tPvRmT1_T2_T3_mT4_P12ihipStream_tbEUlT_E1_NS1_11comp_targetILNS1_3genE10ELNS1_11target_archE1201ELNS1_3gpuE5ELNS1_3repE0EEENS1_30default_config_static_selectorELNS0_4arch9wavefront6targetE0EEEvS14_.uses_flat_scratch, 0
	.set _ZN7rocprim17ROCPRIM_400000_NS6detail17trampoline_kernelINS0_14default_configENS1_22reduce_config_selectorIN6thrust23THRUST_200600_302600_NS5tupleIblNS6_9null_typeES8_S8_S8_S8_S8_S8_S8_EEEEZNS1_11reduce_implILb1ES3_NS6_12zip_iteratorINS7_INS6_11hip_rocprim26transform_input_iterator_tIbNSD_35transform_pair_of_input_iterators_tIbNS6_6detail15normal_iteratorINS6_10device_ptrIKjEEEESL_NS6_8equal_toIjEEEENSG_9not_fun_tINSD_8identityEEEEENSD_19counting_iterator_tIlEES8_S8_S8_S8_S8_S8_S8_S8_EEEEPS9_S9_NSD_9__find_if7functorIS9_EEEE10hipError_tPvRmT1_T2_T3_mT4_P12ihipStream_tbEUlT_E1_NS1_11comp_targetILNS1_3genE10ELNS1_11target_archE1201ELNS1_3gpuE5ELNS1_3repE0EEENS1_30default_config_static_selectorELNS0_4arch9wavefront6targetE0EEEvS14_.has_dyn_sized_stack, 0
	.set _ZN7rocprim17ROCPRIM_400000_NS6detail17trampoline_kernelINS0_14default_configENS1_22reduce_config_selectorIN6thrust23THRUST_200600_302600_NS5tupleIblNS6_9null_typeES8_S8_S8_S8_S8_S8_S8_EEEEZNS1_11reduce_implILb1ES3_NS6_12zip_iteratorINS7_INS6_11hip_rocprim26transform_input_iterator_tIbNSD_35transform_pair_of_input_iterators_tIbNS6_6detail15normal_iteratorINS6_10device_ptrIKjEEEESL_NS6_8equal_toIjEEEENSG_9not_fun_tINSD_8identityEEEEENSD_19counting_iterator_tIlEES8_S8_S8_S8_S8_S8_S8_S8_EEEEPS9_S9_NSD_9__find_if7functorIS9_EEEE10hipError_tPvRmT1_T2_T3_mT4_P12ihipStream_tbEUlT_E1_NS1_11comp_targetILNS1_3genE10ELNS1_11target_archE1201ELNS1_3gpuE5ELNS1_3repE0EEENS1_30default_config_static_selectorELNS0_4arch9wavefront6targetE0EEEvS14_.has_recursion, 0
	.set _ZN7rocprim17ROCPRIM_400000_NS6detail17trampoline_kernelINS0_14default_configENS1_22reduce_config_selectorIN6thrust23THRUST_200600_302600_NS5tupleIblNS6_9null_typeES8_S8_S8_S8_S8_S8_S8_EEEEZNS1_11reduce_implILb1ES3_NS6_12zip_iteratorINS7_INS6_11hip_rocprim26transform_input_iterator_tIbNSD_35transform_pair_of_input_iterators_tIbNS6_6detail15normal_iteratorINS6_10device_ptrIKjEEEESL_NS6_8equal_toIjEEEENSG_9not_fun_tINSD_8identityEEEEENSD_19counting_iterator_tIlEES8_S8_S8_S8_S8_S8_S8_S8_EEEEPS9_S9_NSD_9__find_if7functorIS9_EEEE10hipError_tPvRmT1_T2_T3_mT4_P12ihipStream_tbEUlT_E1_NS1_11comp_targetILNS1_3genE10ELNS1_11target_archE1201ELNS1_3gpuE5ELNS1_3repE0EEENS1_30default_config_static_selectorELNS0_4arch9wavefront6targetE0EEEvS14_.has_indirect_call, 0
	.section	.AMDGPU.csdata,"",@progbits
; Kernel info:
; codeLenInByte = 0
; TotalNumSgprs: 0
; NumVgprs: 0
; ScratchSize: 0
; MemoryBound: 0
; FloatMode: 240
; IeeeMode: 1
; LDSByteSize: 0 bytes/workgroup (compile time only)
; SGPRBlocks: 0
; VGPRBlocks: 0
; NumSGPRsForWavesPerEU: 1
; NumVGPRsForWavesPerEU: 1
; Occupancy: 16
; WaveLimiterHint : 0
; COMPUTE_PGM_RSRC2:SCRATCH_EN: 0
; COMPUTE_PGM_RSRC2:USER_SGPR: 6
; COMPUTE_PGM_RSRC2:TRAP_HANDLER: 0
; COMPUTE_PGM_RSRC2:TGID_X_EN: 1
; COMPUTE_PGM_RSRC2:TGID_Y_EN: 0
; COMPUTE_PGM_RSRC2:TGID_Z_EN: 0
; COMPUTE_PGM_RSRC2:TIDIG_COMP_CNT: 0
	.section	.text._ZN7rocprim17ROCPRIM_400000_NS6detail17trampoline_kernelINS0_14default_configENS1_22reduce_config_selectorIN6thrust23THRUST_200600_302600_NS5tupleIblNS6_9null_typeES8_S8_S8_S8_S8_S8_S8_EEEEZNS1_11reduce_implILb1ES3_NS6_12zip_iteratorINS7_INS6_11hip_rocprim26transform_input_iterator_tIbNSD_35transform_pair_of_input_iterators_tIbNS6_6detail15normal_iteratorINS6_10device_ptrIKjEEEESL_NS6_8equal_toIjEEEENSG_9not_fun_tINSD_8identityEEEEENSD_19counting_iterator_tIlEES8_S8_S8_S8_S8_S8_S8_S8_EEEEPS9_S9_NSD_9__find_if7functorIS9_EEEE10hipError_tPvRmT1_T2_T3_mT4_P12ihipStream_tbEUlT_E1_NS1_11comp_targetILNS1_3genE10ELNS1_11target_archE1200ELNS1_3gpuE4ELNS1_3repE0EEENS1_30default_config_static_selectorELNS0_4arch9wavefront6targetE0EEEvS14_,"axG",@progbits,_ZN7rocprim17ROCPRIM_400000_NS6detail17trampoline_kernelINS0_14default_configENS1_22reduce_config_selectorIN6thrust23THRUST_200600_302600_NS5tupleIblNS6_9null_typeES8_S8_S8_S8_S8_S8_S8_EEEEZNS1_11reduce_implILb1ES3_NS6_12zip_iteratorINS7_INS6_11hip_rocprim26transform_input_iterator_tIbNSD_35transform_pair_of_input_iterators_tIbNS6_6detail15normal_iteratorINS6_10device_ptrIKjEEEESL_NS6_8equal_toIjEEEENSG_9not_fun_tINSD_8identityEEEEENSD_19counting_iterator_tIlEES8_S8_S8_S8_S8_S8_S8_S8_EEEEPS9_S9_NSD_9__find_if7functorIS9_EEEE10hipError_tPvRmT1_T2_T3_mT4_P12ihipStream_tbEUlT_E1_NS1_11comp_targetILNS1_3genE10ELNS1_11target_archE1200ELNS1_3gpuE4ELNS1_3repE0EEENS1_30default_config_static_selectorELNS0_4arch9wavefront6targetE0EEEvS14_,comdat
	.protected	_ZN7rocprim17ROCPRIM_400000_NS6detail17trampoline_kernelINS0_14default_configENS1_22reduce_config_selectorIN6thrust23THRUST_200600_302600_NS5tupleIblNS6_9null_typeES8_S8_S8_S8_S8_S8_S8_EEEEZNS1_11reduce_implILb1ES3_NS6_12zip_iteratorINS7_INS6_11hip_rocprim26transform_input_iterator_tIbNSD_35transform_pair_of_input_iterators_tIbNS6_6detail15normal_iteratorINS6_10device_ptrIKjEEEESL_NS6_8equal_toIjEEEENSG_9not_fun_tINSD_8identityEEEEENSD_19counting_iterator_tIlEES8_S8_S8_S8_S8_S8_S8_S8_EEEEPS9_S9_NSD_9__find_if7functorIS9_EEEE10hipError_tPvRmT1_T2_T3_mT4_P12ihipStream_tbEUlT_E1_NS1_11comp_targetILNS1_3genE10ELNS1_11target_archE1200ELNS1_3gpuE4ELNS1_3repE0EEENS1_30default_config_static_selectorELNS0_4arch9wavefront6targetE0EEEvS14_ ; -- Begin function _ZN7rocprim17ROCPRIM_400000_NS6detail17trampoline_kernelINS0_14default_configENS1_22reduce_config_selectorIN6thrust23THRUST_200600_302600_NS5tupleIblNS6_9null_typeES8_S8_S8_S8_S8_S8_S8_EEEEZNS1_11reduce_implILb1ES3_NS6_12zip_iteratorINS7_INS6_11hip_rocprim26transform_input_iterator_tIbNSD_35transform_pair_of_input_iterators_tIbNS6_6detail15normal_iteratorINS6_10device_ptrIKjEEEESL_NS6_8equal_toIjEEEENSG_9not_fun_tINSD_8identityEEEEENSD_19counting_iterator_tIlEES8_S8_S8_S8_S8_S8_S8_S8_EEEEPS9_S9_NSD_9__find_if7functorIS9_EEEE10hipError_tPvRmT1_T2_T3_mT4_P12ihipStream_tbEUlT_E1_NS1_11comp_targetILNS1_3genE10ELNS1_11target_archE1200ELNS1_3gpuE4ELNS1_3repE0EEENS1_30default_config_static_selectorELNS0_4arch9wavefront6targetE0EEEvS14_
	.globl	_ZN7rocprim17ROCPRIM_400000_NS6detail17trampoline_kernelINS0_14default_configENS1_22reduce_config_selectorIN6thrust23THRUST_200600_302600_NS5tupleIblNS6_9null_typeES8_S8_S8_S8_S8_S8_S8_EEEEZNS1_11reduce_implILb1ES3_NS6_12zip_iteratorINS7_INS6_11hip_rocprim26transform_input_iterator_tIbNSD_35transform_pair_of_input_iterators_tIbNS6_6detail15normal_iteratorINS6_10device_ptrIKjEEEESL_NS6_8equal_toIjEEEENSG_9not_fun_tINSD_8identityEEEEENSD_19counting_iterator_tIlEES8_S8_S8_S8_S8_S8_S8_S8_EEEEPS9_S9_NSD_9__find_if7functorIS9_EEEE10hipError_tPvRmT1_T2_T3_mT4_P12ihipStream_tbEUlT_E1_NS1_11comp_targetILNS1_3genE10ELNS1_11target_archE1200ELNS1_3gpuE4ELNS1_3repE0EEENS1_30default_config_static_selectorELNS0_4arch9wavefront6targetE0EEEvS14_
	.p2align	8
	.type	_ZN7rocprim17ROCPRIM_400000_NS6detail17trampoline_kernelINS0_14default_configENS1_22reduce_config_selectorIN6thrust23THRUST_200600_302600_NS5tupleIblNS6_9null_typeES8_S8_S8_S8_S8_S8_S8_EEEEZNS1_11reduce_implILb1ES3_NS6_12zip_iteratorINS7_INS6_11hip_rocprim26transform_input_iterator_tIbNSD_35transform_pair_of_input_iterators_tIbNS6_6detail15normal_iteratorINS6_10device_ptrIKjEEEESL_NS6_8equal_toIjEEEENSG_9not_fun_tINSD_8identityEEEEENSD_19counting_iterator_tIlEES8_S8_S8_S8_S8_S8_S8_S8_EEEEPS9_S9_NSD_9__find_if7functorIS9_EEEE10hipError_tPvRmT1_T2_T3_mT4_P12ihipStream_tbEUlT_E1_NS1_11comp_targetILNS1_3genE10ELNS1_11target_archE1200ELNS1_3gpuE4ELNS1_3repE0EEENS1_30default_config_static_selectorELNS0_4arch9wavefront6targetE0EEEvS14_,@function
_ZN7rocprim17ROCPRIM_400000_NS6detail17trampoline_kernelINS0_14default_configENS1_22reduce_config_selectorIN6thrust23THRUST_200600_302600_NS5tupleIblNS6_9null_typeES8_S8_S8_S8_S8_S8_S8_EEEEZNS1_11reduce_implILb1ES3_NS6_12zip_iteratorINS7_INS6_11hip_rocprim26transform_input_iterator_tIbNSD_35transform_pair_of_input_iterators_tIbNS6_6detail15normal_iteratorINS6_10device_ptrIKjEEEESL_NS6_8equal_toIjEEEENSG_9not_fun_tINSD_8identityEEEEENSD_19counting_iterator_tIlEES8_S8_S8_S8_S8_S8_S8_S8_EEEEPS9_S9_NSD_9__find_if7functorIS9_EEEE10hipError_tPvRmT1_T2_T3_mT4_P12ihipStream_tbEUlT_E1_NS1_11comp_targetILNS1_3genE10ELNS1_11target_archE1200ELNS1_3gpuE4ELNS1_3repE0EEENS1_30default_config_static_selectorELNS0_4arch9wavefront6targetE0EEEvS14_: ; @_ZN7rocprim17ROCPRIM_400000_NS6detail17trampoline_kernelINS0_14default_configENS1_22reduce_config_selectorIN6thrust23THRUST_200600_302600_NS5tupleIblNS6_9null_typeES8_S8_S8_S8_S8_S8_S8_EEEEZNS1_11reduce_implILb1ES3_NS6_12zip_iteratorINS7_INS6_11hip_rocprim26transform_input_iterator_tIbNSD_35transform_pair_of_input_iterators_tIbNS6_6detail15normal_iteratorINS6_10device_ptrIKjEEEESL_NS6_8equal_toIjEEEENSG_9not_fun_tINSD_8identityEEEEENSD_19counting_iterator_tIlEES8_S8_S8_S8_S8_S8_S8_S8_EEEEPS9_S9_NSD_9__find_if7functorIS9_EEEE10hipError_tPvRmT1_T2_T3_mT4_P12ihipStream_tbEUlT_E1_NS1_11comp_targetILNS1_3genE10ELNS1_11target_archE1200ELNS1_3gpuE4ELNS1_3repE0EEENS1_30default_config_static_selectorELNS0_4arch9wavefront6targetE0EEEvS14_
; %bb.0:
	.section	.rodata,"a",@progbits
	.p2align	6, 0x0
	.amdhsa_kernel _ZN7rocprim17ROCPRIM_400000_NS6detail17trampoline_kernelINS0_14default_configENS1_22reduce_config_selectorIN6thrust23THRUST_200600_302600_NS5tupleIblNS6_9null_typeES8_S8_S8_S8_S8_S8_S8_EEEEZNS1_11reduce_implILb1ES3_NS6_12zip_iteratorINS7_INS6_11hip_rocprim26transform_input_iterator_tIbNSD_35transform_pair_of_input_iterators_tIbNS6_6detail15normal_iteratorINS6_10device_ptrIKjEEEESL_NS6_8equal_toIjEEEENSG_9not_fun_tINSD_8identityEEEEENSD_19counting_iterator_tIlEES8_S8_S8_S8_S8_S8_S8_S8_EEEEPS9_S9_NSD_9__find_if7functorIS9_EEEE10hipError_tPvRmT1_T2_T3_mT4_P12ihipStream_tbEUlT_E1_NS1_11comp_targetILNS1_3genE10ELNS1_11target_archE1200ELNS1_3gpuE4ELNS1_3repE0EEENS1_30default_config_static_selectorELNS0_4arch9wavefront6targetE0EEEvS14_
		.amdhsa_group_segment_fixed_size 0
		.amdhsa_private_segment_fixed_size 0
		.amdhsa_kernarg_size 88
		.amdhsa_user_sgpr_count 6
		.amdhsa_user_sgpr_private_segment_buffer 1
		.amdhsa_user_sgpr_dispatch_ptr 0
		.amdhsa_user_sgpr_queue_ptr 0
		.amdhsa_user_sgpr_kernarg_segment_ptr 1
		.amdhsa_user_sgpr_dispatch_id 0
		.amdhsa_user_sgpr_flat_scratch_init 0
		.amdhsa_user_sgpr_private_segment_size 0
		.amdhsa_wavefront_size32 1
		.amdhsa_uses_dynamic_stack 0
		.amdhsa_system_sgpr_private_segment_wavefront_offset 0
		.amdhsa_system_sgpr_workgroup_id_x 1
		.amdhsa_system_sgpr_workgroup_id_y 0
		.amdhsa_system_sgpr_workgroup_id_z 0
		.amdhsa_system_sgpr_workgroup_info 0
		.amdhsa_system_vgpr_workitem_id 0
		.amdhsa_next_free_vgpr 1
		.amdhsa_next_free_sgpr 1
		.amdhsa_reserve_vcc 0
		.amdhsa_reserve_flat_scratch 0
		.amdhsa_float_round_mode_32 0
		.amdhsa_float_round_mode_16_64 0
		.amdhsa_float_denorm_mode_32 3
		.amdhsa_float_denorm_mode_16_64 3
		.amdhsa_dx10_clamp 1
		.amdhsa_ieee_mode 1
		.amdhsa_fp16_overflow 0
		.amdhsa_workgroup_processor_mode 1
		.amdhsa_memory_ordered 1
		.amdhsa_forward_progress 1
		.amdhsa_shared_vgpr_count 0
		.amdhsa_exception_fp_ieee_invalid_op 0
		.amdhsa_exception_fp_denorm_src 0
		.amdhsa_exception_fp_ieee_div_zero 0
		.amdhsa_exception_fp_ieee_overflow 0
		.amdhsa_exception_fp_ieee_underflow 0
		.amdhsa_exception_fp_ieee_inexact 0
		.amdhsa_exception_int_div_zero 0
	.end_amdhsa_kernel
	.section	.text._ZN7rocprim17ROCPRIM_400000_NS6detail17trampoline_kernelINS0_14default_configENS1_22reduce_config_selectorIN6thrust23THRUST_200600_302600_NS5tupleIblNS6_9null_typeES8_S8_S8_S8_S8_S8_S8_EEEEZNS1_11reduce_implILb1ES3_NS6_12zip_iteratorINS7_INS6_11hip_rocprim26transform_input_iterator_tIbNSD_35transform_pair_of_input_iterators_tIbNS6_6detail15normal_iteratorINS6_10device_ptrIKjEEEESL_NS6_8equal_toIjEEEENSG_9not_fun_tINSD_8identityEEEEENSD_19counting_iterator_tIlEES8_S8_S8_S8_S8_S8_S8_S8_EEEEPS9_S9_NSD_9__find_if7functorIS9_EEEE10hipError_tPvRmT1_T2_T3_mT4_P12ihipStream_tbEUlT_E1_NS1_11comp_targetILNS1_3genE10ELNS1_11target_archE1200ELNS1_3gpuE4ELNS1_3repE0EEENS1_30default_config_static_selectorELNS0_4arch9wavefront6targetE0EEEvS14_,"axG",@progbits,_ZN7rocprim17ROCPRIM_400000_NS6detail17trampoline_kernelINS0_14default_configENS1_22reduce_config_selectorIN6thrust23THRUST_200600_302600_NS5tupleIblNS6_9null_typeES8_S8_S8_S8_S8_S8_S8_EEEEZNS1_11reduce_implILb1ES3_NS6_12zip_iteratorINS7_INS6_11hip_rocprim26transform_input_iterator_tIbNSD_35transform_pair_of_input_iterators_tIbNS6_6detail15normal_iteratorINS6_10device_ptrIKjEEEESL_NS6_8equal_toIjEEEENSG_9not_fun_tINSD_8identityEEEEENSD_19counting_iterator_tIlEES8_S8_S8_S8_S8_S8_S8_S8_EEEEPS9_S9_NSD_9__find_if7functorIS9_EEEE10hipError_tPvRmT1_T2_T3_mT4_P12ihipStream_tbEUlT_E1_NS1_11comp_targetILNS1_3genE10ELNS1_11target_archE1200ELNS1_3gpuE4ELNS1_3repE0EEENS1_30default_config_static_selectorELNS0_4arch9wavefront6targetE0EEEvS14_,comdat
.Lfunc_end166:
	.size	_ZN7rocprim17ROCPRIM_400000_NS6detail17trampoline_kernelINS0_14default_configENS1_22reduce_config_selectorIN6thrust23THRUST_200600_302600_NS5tupleIblNS6_9null_typeES8_S8_S8_S8_S8_S8_S8_EEEEZNS1_11reduce_implILb1ES3_NS6_12zip_iteratorINS7_INS6_11hip_rocprim26transform_input_iterator_tIbNSD_35transform_pair_of_input_iterators_tIbNS6_6detail15normal_iteratorINS6_10device_ptrIKjEEEESL_NS6_8equal_toIjEEEENSG_9not_fun_tINSD_8identityEEEEENSD_19counting_iterator_tIlEES8_S8_S8_S8_S8_S8_S8_S8_EEEEPS9_S9_NSD_9__find_if7functorIS9_EEEE10hipError_tPvRmT1_T2_T3_mT4_P12ihipStream_tbEUlT_E1_NS1_11comp_targetILNS1_3genE10ELNS1_11target_archE1200ELNS1_3gpuE4ELNS1_3repE0EEENS1_30default_config_static_selectorELNS0_4arch9wavefront6targetE0EEEvS14_, .Lfunc_end166-_ZN7rocprim17ROCPRIM_400000_NS6detail17trampoline_kernelINS0_14default_configENS1_22reduce_config_selectorIN6thrust23THRUST_200600_302600_NS5tupleIblNS6_9null_typeES8_S8_S8_S8_S8_S8_S8_EEEEZNS1_11reduce_implILb1ES3_NS6_12zip_iteratorINS7_INS6_11hip_rocprim26transform_input_iterator_tIbNSD_35transform_pair_of_input_iterators_tIbNS6_6detail15normal_iteratorINS6_10device_ptrIKjEEEESL_NS6_8equal_toIjEEEENSG_9not_fun_tINSD_8identityEEEEENSD_19counting_iterator_tIlEES8_S8_S8_S8_S8_S8_S8_S8_EEEEPS9_S9_NSD_9__find_if7functorIS9_EEEE10hipError_tPvRmT1_T2_T3_mT4_P12ihipStream_tbEUlT_E1_NS1_11comp_targetILNS1_3genE10ELNS1_11target_archE1200ELNS1_3gpuE4ELNS1_3repE0EEENS1_30default_config_static_selectorELNS0_4arch9wavefront6targetE0EEEvS14_
                                        ; -- End function
	.set _ZN7rocprim17ROCPRIM_400000_NS6detail17trampoline_kernelINS0_14default_configENS1_22reduce_config_selectorIN6thrust23THRUST_200600_302600_NS5tupleIblNS6_9null_typeES8_S8_S8_S8_S8_S8_S8_EEEEZNS1_11reduce_implILb1ES3_NS6_12zip_iteratorINS7_INS6_11hip_rocprim26transform_input_iterator_tIbNSD_35transform_pair_of_input_iterators_tIbNS6_6detail15normal_iteratorINS6_10device_ptrIKjEEEESL_NS6_8equal_toIjEEEENSG_9not_fun_tINSD_8identityEEEEENSD_19counting_iterator_tIlEES8_S8_S8_S8_S8_S8_S8_S8_EEEEPS9_S9_NSD_9__find_if7functorIS9_EEEE10hipError_tPvRmT1_T2_T3_mT4_P12ihipStream_tbEUlT_E1_NS1_11comp_targetILNS1_3genE10ELNS1_11target_archE1200ELNS1_3gpuE4ELNS1_3repE0EEENS1_30default_config_static_selectorELNS0_4arch9wavefront6targetE0EEEvS14_.num_vgpr, 0
	.set _ZN7rocprim17ROCPRIM_400000_NS6detail17trampoline_kernelINS0_14default_configENS1_22reduce_config_selectorIN6thrust23THRUST_200600_302600_NS5tupleIblNS6_9null_typeES8_S8_S8_S8_S8_S8_S8_EEEEZNS1_11reduce_implILb1ES3_NS6_12zip_iteratorINS7_INS6_11hip_rocprim26transform_input_iterator_tIbNSD_35transform_pair_of_input_iterators_tIbNS6_6detail15normal_iteratorINS6_10device_ptrIKjEEEESL_NS6_8equal_toIjEEEENSG_9not_fun_tINSD_8identityEEEEENSD_19counting_iterator_tIlEES8_S8_S8_S8_S8_S8_S8_S8_EEEEPS9_S9_NSD_9__find_if7functorIS9_EEEE10hipError_tPvRmT1_T2_T3_mT4_P12ihipStream_tbEUlT_E1_NS1_11comp_targetILNS1_3genE10ELNS1_11target_archE1200ELNS1_3gpuE4ELNS1_3repE0EEENS1_30default_config_static_selectorELNS0_4arch9wavefront6targetE0EEEvS14_.num_agpr, 0
	.set _ZN7rocprim17ROCPRIM_400000_NS6detail17trampoline_kernelINS0_14default_configENS1_22reduce_config_selectorIN6thrust23THRUST_200600_302600_NS5tupleIblNS6_9null_typeES8_S8_S8_S8_S8_S8_S8_EEEEZNS1_11reduce_implILb1ES3_NS6_12zip_iteratorINS7_INS6_11hip_rocprim26transform_input_iterator_tIbNSD_35transform_pair_of_input_iterators_tIbNS6_6detail15normal_iteratorINS6_10device_ptrIKjEEEESL_NS6_8equal_toIjEEEENSG_9not_fun_tINSD_8identityEEEEENSD_19counting_iterator_tIlEES8_S8_S8_S8_S8_S8_S8_S8_EEEEPS9_S9_NSD_9__find_if7functorIS9_EEEE10hipError_tPvRmT1_T2_T3_mT4_P12ihipStream_tbEUlT_E1_NS1_11comp_targetILNS1_3genE10ELNS1_11target_archE1200ELNS1_3gpuE4ELNS1_3repE0EEENS1_30default_config_static_selectorELNS0_4arch9wavefront6targetE0EEEvS14_.numbered_sgpr, 0
	.set _ZN7rocprim17ROCPRIM_400000_NS6detail17trampoline_kernelINS0_14default_configENS1_22reduce_config_selectorIN6thrust23THRUST_200600_302600_NS5tupleIblNS6_9null_typeES8_S8_S8_S8_S8_S8_S8_EEEEZNS1_11reduce_implILb1ES3_NS6_12zip_iteratorINS7_INS6_11hip_rocprim26transform_input_iterator_tIbNSD_35transform_pair_of_input_iterators_tIbNS6_6detail15normal_iteratorINS6_10device_ptrIKjEEEESL_NS6_8equal_toIjEEEENSG_9not_fun_tINSD_8identityEEEEENSD_19counting_iterator_tIlEES8_S8_S8_S8_S8_S8_S8_S8_EEEEPS9_S9_NSD_9__find_if7functorIS9_EEEE10hipError_tPvRmT1_T2_T3_mT4_P12ihipStream_tbEUlT_E1_NS1_11comp_targetILNS1_3genE10ELNS1_11target_archE1200ELNS1_3gpuE4ELNS1_3repE0EEENS1_30default_config_static_selectorELNS0_4arch9wavefront6targetE0EEEvS14_.num_named_barrier, 0
	.set _ZN7rocprim17ROCPRIM_400000_NS6detail17trampoline_kernelINS0_14default_configENS1_22reduce_config_selectorIN6thrust23THRUST_200600_302600_NS5tupleIblNS6_9null_typeES8_S8_S8_S8_S8_S8_S8_EEEEZNS1_11reduce_implILb1ES3_NS6_12zip_iteratorINS7_INS6_11hip_rocprim26transform_input_iterator_tIbNSD_35transform_pair_of_input_iterators_tIbNS6_6detail15normal_iteratorINS6_10device_ptrIKjEEEESL_NS6_8equal_toIjEEEENSG_9not_fun_tINSD_8identityEEEEENSD_19counting_iterator_tIlEES8_S8_S8_S8_S8_S8_S8_S8_EEEEPS9_S9_NSD_9__find_if7functorIS9_EEEE10hipError_tPvRmT1_T2_T3_mT4_P12ihipStream_tbEUlT_E1_NS1_11comp_targetILNS1_3genE10ELNS1_11target_archE1200ELNS1_3gpuE4ELNS1_3repE0EEENS1_30default_config_static_selectorELNS0_4arch9wavefront6targetE0EEEvS14_.private_seg_size, 0
	.set _ZN7rocprim17ROCPRIM_400000_NS6detail17trampoline_kernelINS0_14default_configENS1_22reduce_config_selectorIN6thrust23THRUST_200600_302600_NS5tupleIblNS6_9null_typeES8_S8_S8_S8_S8_S8_S8_EEEEZNS1_11reduce_implILb1ES3_NS6_12zip_iteratorINS7_INS6_11hip_rocprim26transform_input_iterator_tIbNSD_35transform_pair_of_input_iterators_tIbNS6_6detail15normal_iteratorINS6_10device_ptrIKjEEEESL_NS6_8equal_toIjEEEENSG_9not_fun_tINSD_8identityEEEEENSD_19counting_iterator_tIlEES8_S8_S8_S8_S8_S8_S8_S8_EEEEPS9_S9_NSD_9__find_if7functorIS9_EEEE10hipError_tPvRmT1_T2_T3_mT4_P12ihipStream_tbEUlT_E1_NS1_11comp_targetILNS1_3genE10ELNS1_11target_archE1200ELNS1_3gpuE4ELNS1_3repE0EEENS1_30default_config_static_selectorELNS0_4arch9wavefront6targetE0EEEvS14_.uses_vcc, 0
	.set _ZN7rocprim17ROCPRIM_400000_NS6detail17trampoline_kernelINS0_14default_configENS1_22reduce_config_selectorIN6thrust23THRUST_200600_302600_NS5tupleIblNS6_9null_typeES8_S8_S8_S8_S8_S8_S8_EEEEZNS1_11reduce_implILb1ES3_NS6_12zip_iteratorINS7_INS6_11hip_rocprim26transform_input_iterator_tIbNSD_35transform_pair_of_input_iterators_tIbNS6_6detail15normal_iteratorINS6_10device_ptrIKjEEEESL_NS6_8equal_toIjEEEENSG_9not_fun_tINSD_8identityEEEEENSD_19counting_iterator_tIlEES8_S8_S8_S8_S8_S8_S8_S8_EEEEPS9_S9_NSD_9__find_if7functorIS9_EEEE10hipError_tPvRmT1_T2_T3_mT4_P12ihipStream_tbEUlT_E1_NS1_11comp_targetILNS1_3genE10ELNS1_11target_archE1200ELNS1_3gpuE4ELNS1_3repE0EEENS1_30default_config_static_selectorELNS0_4arch9wavefront6targetE0EEEvS14_.uses_flat_scratch, 0
	.set _ZN7rocprim17ROCPRIM_400000_NS6detail17trampoline_kernelINS0_14default_configENS1_22reduce_config_selectorIN6thrust23THRUST_200600_302600_NS5tupleIblNS6_9null_typeES8_S8_S8_S8_S8_S8_S8_EEEEZNS1_11reduce_implILb1ES3_NS6_12zip_iteratorINS7_INS6_11hip_rocprim26transform_input_iterator_tIbNSD_35transform_pair_of_input_iterators_tIbNS6_6detail15normal_iteratorINS6_10device_ptrIKjEEEESL_NS6_8equal_toIjEEEENSG_9not_fun_tINSD_8identityEEEEENSD_19counting_iterator_tIlEES8_S8_S8_S8_S8_S8_S8_S8_EEEEPS9_S9_NSD_9__find_if7functorIS9_EEEE10hipError_tPvRmT1_T2_T3_mT4_P12ihipStream_tbEUlT_E1_NS1_11comp_targetILNS1_3genE10ELNS1_11target_archE1200ELNS1_3gpuE4ELNS1_3repE0EEENS1_30default_config_static_selectorELNS0_4arch9wavefront6targetE0EEEvS14_.has_dyn_sized_stack, 0
	.set _ZN7rocprim17ROCPRIM_400000_NS6detail17trampoline_kernelINS0_14default_configENS1_22reduce_config_selectorIN6thrust23THRUST_200600_302600_NS5tupleIblNS6_9null_typeES8_S8_S8_S8_S8_S8_S8_EEEEZNS1_11reduce_implILb1ES3_NS6_12zip_iteratorINS7_INS6_11hip_rocprim26transform_input_iterator_tIbNSD_35transform_pair_of_input_iterators_tIbNS6_6detail15normal_iteratorINS6_10device_ptrIKjEEEESL_NS6_8equal_toIjEEEENSG_9not_fun_tINSD_8identityEEEEENSD_19counting_iterator_tIlEES8_S8_S8_S8_S8_S8_S8_S8_EEEEPS9_S9_NSD_9__find_if7functorIS9_EEEE10hipError_tPvRmT1_T2_T3_mT4_P12ihipStream_tbEUlT_E1_NS1_11comp_targetILNS1_3genE10ELNS1_11target_archE1200ELNS1_3gpuE4ELNS1_3repE0EEENS1_30default_config_static_selectorELNS0_4arch9wavefront6targetE0EEEvS14_.has_recursion, 0
	.set _ZN7rocprim17ROCPRIM_400000_NS6detail17trampoline_kernelINS0_14default_configENS1_22reduce_config_selectorIN6thrust23THRUST_200600_302600_NS5tupleIblNS6_9null_typeES8_S8_S8_S8_S8_S8_S8_EEEEZNS1_11reduce_implILb1ES3_NS6_12zip_iteratorINS7_INS6_11hip_rocprim26transform_input_iterator_tIbNSD_35transform_pair_of_input_iterators_tIbNS6_6detail15normal_iteratorINS6_10device_ptrIKjEEEESL_NS6_8equal_toIjEEEENSG_9not_fun_tINSD_8identityEEEEENSD_19counting_iterator_tIlEES8_S8_S8_S8_S8_S8_S8_S8_EEEEPS9_S9_NSD_9__find_if7functorIS9_EEEE10hipError_tPvRmT1_T2_T3_mT4_P12ihipStream_tbEUlT_E1_NS1_11comp_targetILNS1_3genE10ELNS1_11target_archE1200ELNS1_3gpuE4ELNS1_3repE0EEENS1_30default_config_static_selectorELNS0_4arch9wavefront6targetE0EEEvS14_.has_indirect_call, 0
	.section	.AMDGPU.csdata,"",@progbits
; Kernel info:
; codeLenInByte = 0
; TotalNumSgprs: 0
; NumVgprs: 0
; ScratchSize: 0
; MemoryBound: 0
; FloatMode: 240
; IeeeMode: 1
; LDSByteSize: 0 bytes/workgroup (compile time only)
; SGPRBlocks: 0
; VGPRBlocks: 0
; NumSGPRsForWavesPerEU: 1
; NumVGPRsForWavesPerEU: 1
; Occupancy: 16
; WaveLimiterHint : 0
; COMPUTE_PGM_RSRC2:SCRATCH_EN: 0
; COMPUTE_PGM_RSRC2:USER_SGPR: 6
; COMPUTE_PGM_RSRC2:TRAP_HANDLER: 0
; COMPUTE_PGM_RSRC2:TGID_X_EN: 1
; COMPUTE_PGM_RSRC2:TGID_Y_EN: 0
; COMPUTE_PGM_RSRC2:TGID_Z_EN: 0
; COMPUTE_PGM_RSRC2:TIDIG_COMP_CNT: 0
	.section	.text._ZN7rocprim17ROCPRIM_400000_NS6detail17trampoline_kernelINS0_14default_configENS1_22reduce_config_selectorIN6thrust23THRUST_200600_302600_NS5tupleIblNS6_9null_typeES8_S8_S8_S8_S8_S8_S8_EEEEZNS1_11reduce_implILb1ES3_NS6_12zip_iteratorINS7_INS6_11hip_rocprim26transform_input_iterator_tIbNSD_35transform_pair_of_input_iterators_tIbNS6_6detail15normal_iteratorINS6_10device_ptrIKjEEEESL_NS6_8equal_toIjEEEENSG_9not_fun_tINSD_8identityEEEEENSD_19counting_iterator_tIlEES8_S8_S8_S8_S8_S8_S8_S8_EEEEPS9_S9_NSD_9__find_if7functorIS9_EEEE10hipError_tPvRmT1_T2_T3_mT4_P12ihipStream_tbEUlT_E1_NS1_11comp_targetILNS1_3genE9ELNS1_11target_archE1100ELNS1_3gpuE3ELNS1_3repE0EEENS1_30default_config_static_selectorELNS0_4arch9wavefront6targetE0EEEvS14_,"axG",@progbits,_ZN7rocprim17ROCPRIM_400000_NS6detail17trampoline_kernelINS0_14default_configENS1_22reduce_config_selectorIN6thrust23THRUST_200600_302600_NS5tupleIblNS6_9null_typeES8_S8_S8_S8_S8_S8_S8_EEEEZNS1_11reduce_implILb1ES3_NS6_12zip_iteratorINS7_INS6_11hip_rocprim26transform_input_iterator_tIbNSD_35transform_pair_of_input_iterators_tIbNS6_6detail15normal_iteratorINS6_10device_ptrIKjEEEESL_NS6_8equal_toIjEEEENSG_9not_fun_tINSD_8identityEEEEENSD_19counting_iterator_tIlEES8_S8_S8_S8_S8_S8_S8_S8_EEEEPS9_S9_NSD_9__find_if7functorIS9_EEEE10hipError_tPvRmT1_T2_T3_mT4_P12ihipStream_tbEUlT_E1_NS1_11comp_targetILNS1_3genE9ELNS1_11target_archE1100ELNS1_3gpuE3ELNS1_3repE0EEENS1_30default_config_static_selectorELNS0_4arch9wavefront6targetE0EEEvS14_,comdat
	.protected	_ZN7rocprim17ROCPRIM_400000_NS6detail17trampoline_kernelINS0_14default_configENS1_22reduce_config_selectorIN6thrust23THRUST_200600_302600_NS5tupleIblNS6_9null_typeES8_S8_S8_S8_S8_S8_S8_EEEEZNS1_11reduce_implILb1ES3_NS6_12zip_iteratorINS7_INS6_11hip_rocprim26transform_input_iterator_tIbNSD_35transform_pair_of_input_iterators_tIbNS6_6detail15normal_iteratorINS6_10device_ptrIKjEEEESL_NS6_8equal_toIjEEEENSG_9not_fun_tINSD_8identityEEEEENSD_19counting_iterator_tIlEES8_S8_S8_S8_S8_S8_S8_S8_EEEEPS9_S9_NSD_9__find_if7functorIS9_EEEE10hipError_tPvRmT1_T2_T3_mT4_P12ihipStream_tbEUlT_E1_NS1_11comp_targetILNS1_3genE9ELNS1_11target_archE1100ELNS1_3gpuE3ELNS1_3repE0EEENS1_30default_config_static_selectorELNS0_4arch9wavefront6targetE0EEEvS14_ ; -- Begin function _ZN7rocprim17ROCPRIM_400000_NS6detail17trampoline_kernelINS0_14default_configENS1_22reduce_config_selectorIN6thrust23THRUST_200600_302600_NS5tupleIblNS6_9null_typeES8_S8_S8_S8_S8_S8_S8_EEEEZNS1_11reduce_implILb1ES3_NS6_12zip_iteratorINS7_INS6_11hip_rocprim26transform_input_iterator_tIbNSD_35transform_pair_of_input_iterators_tIbNS6_6detail15normal_iteratorINS6_10device_ptrIKjEEEESL_NS6_8equal_toIjEEEENSG_9not_fun_tINSD_8identityEEEEENSD_19counting_iterator_tIlEES8_S8_S8_S8_S8_S8_S8_S8_EEEEPS9_S9_NSD_9__find_if7functorIS9_EEEE10hipError_tPvRmT1_T2_T3_mT4_P12ihipStream_tbEUlT_E1_NS1_11comp_targetILNS1_3genE9ELNS1_11target_archE1100ELNS1_3gpuE3ELNS1_3repE0EEENS1_30default_config_static_selectorELNS0_4arch9wavefront6targetE0EEEvS14_
	.globl	_ZN7rocprim17ROCPRIM_400000_NS6detail17trampoline_kernelINS0_14default_configENS1_22reduce_config_selectorIN6thrust23THRUST_200600_302600_NS5tupleIblNS6_9null_typeES8_S8_S8_S8_S8_S8_S8_EEEEZNS1_11reduce_implILb1ES3_NS6_12zip_iteratorINS7_INS6_11hip_rocprim26transform_input_iterator_tIbNSD_35transform_pair_of_input_iterators_tIbNS6_6detail15normal_iteratorINS6_10device_ptrIKjEEEESL_NS6_8equal_toIjEEEENSG_9not_fun_tINSD_8identityEEEEENSD_19counting_iterator_tIlEES8_S8_S8_S8_S8_S8_S8_S8_EEEEPS9_S9_NSD_9__find_if7functorIS9_EEEE10hipError_tPvRmT1_T2_T3_mT4_P12ihipStream_tbEUlT_E1_NS1_11comp_targetILNS1_3genE9ELNS1_11target_archE1100ELNS1_3gpuE3ELNS1_3repE0EEENS1_30default_config_static_selectorELNS0_4arch9wavefront6targetE0EEEvS14_
	.p2align	8
	.type	_ZN7rocprim17ROCPRIM_400000_NS6detail17trampoline_kernelINS0_14default_configENS1_22reduce_config_selectorIN6thrust23THRUST_200600_302600_NS5tupleIblNS6_9null_typeES8_S8_S8_S8_S8_S8_S8_EEEEZNS1_11reduce_implILb1ES3_NS6_12zip_iteratorINS7_INS6_11hip_rocprim26transform_input_iterator_tIbNSD_35transform_pair_of_input_iterators_tIbNS6_6detail15normal_iteratorINS6_10device_ptrIKjEEEESL_NS6_8equal_toIjEEEENSG_9not_fun_tINSD_8identityEEEEENSD_19counting_iterator_tIlEES8_S8_S8_S8_S8_S8_S8_S8_EEEEPS9_S9_NSD_9__find_if7functorIS9_EEEE10hipError_tPvRmT1_T2_T3_mT4_P12ihipStream_tbEUlT_E1_NS1_11comp_targetILNS1_3genE9ELNS1_11target_archE1100ELNS1_3gpuE3ELNS1_3repE0EEENS1_30default_config_static_selectorELNS0_4arch9wavefront6targetE0EEEvS14_,@function
_ZN7rocprim17ROCPRIM_400000_NS6detail17trampoline_kernelINS0_14default_configENS1_22reduce_config_selectorIN6thrust23THRUST_200600_302600_NS5tupleIblNS6_9null_typeES8_S8_S8_S8_S8_S8_S8_EEEEZNS1_11reduce_implILb1ES3_NS6_12zip_iteratorINS7_INS6_11hip_rocprim26transform_input_iterator_tIbNSD_35transform_pair_of_input_iterators_tIbNS6_6detail15normal_iteratorINS6_10device_ptrIKjEEEESL_NS6_8equal_toIjEEEENSG_9not_fun_tINSD_8identityEEEEENSD_19counting_iterator_tIlEES8_S8_S8_S8_S8_S8_S8_S8_EEEEPS9_S9_NSD_9__find_if7functorIS9_EEEE10hipError_tPvRmT1_T2_T3_mT4_P12ihipStream_tbEUlT_E1_NS1_11comp_targetILNS1_3genE9ELNS1_11target_archE1100ELNS1_3gpuE3ELNS1_3repE0EEENS1_30default_config_static_selectorELNS0_4arch9wavefront6targetE0EEEvS14_: ; @_ZN7rocprim17ROCPRIM_400000_NS6detail17trampoline_kernelINS0_14default_configENS1_22reduce_config_selectorIN6thrust23THRUST_200600_302600_NS5tupleIblNS6_9null_typeES8_S8_S8_S8_S8_S8_S8_EEEEZNS1_11reduce_implILb1ES3_NS6_12zip_iteratorINS7_INS6_11hip_rocprim26transform_input_iterator_tIbNSD_35transform_pair_of_input_iterators_tIbNS6_6detail15normal_iteratorINS6_10device_ptrIKjEEEESL_NS6_8equal_toIjEEEENSG_9not_fun_tINSD_8identityEEEEENSD_19counting_iterator_tIlEES8_S8_S8_S8_S8_S8_S8_S8_EEEEPS9_S9_NSD_9__find_if7functorIS9_EEEE10hipError_tPvRmT1_T2_T3_mT4_P12ihipStream_tbEUlT_E1_NS1_11comp_targetILNS1_3genE9ELNS1_11target_archE1100ELNS1_3gpuE3ELNS1_3repE0EEENS1_30default_config_static_selectorELNS0_4arch9wavefront6targetE0EEEvS14_
; %bb.0:
	.section	.rodata,"a",@progbits
	.p2align	6, 0x0
	.amdhsa_kernel _ZN7rocprim17ROCPRIM_400000_NS6detail17trampoline_kernelINS0_14default_configENS1_22reduce_config_selectorIN6thrust23THRUST_200600_302600_NS5tupleIblNS6_9null_typeES8_S8_S8_S8_S8_S8_S8_EEEEZNS1_11reduce_implILb1ES3_NS6_12zip_iteratorINS7_INS6_11hip_rocprim26transform_input_iterator_tIbNSD_35transform_pair_of_input_iterators_tIbNS6_6detail15normal_iteratorINS6_10device_ptrIKjEEEESL_NS6_8equal_toIjEEEENSG_9not_fun_tINSD_8identityEEEEENSD_19counting_iterator_tIlEES8_S8_S8_S8_S8_S8_S8_S8_EEEEPS9_S9_NSD_9__find_if7functorIS9_EEEE10hipError_tPvRmT1_T2_T3_mT4_P12ihipStream_tbEUlT_E1_NS1_11comp_targetILNS1_3genE9ELNS1_11target_archE1100ELNS1_3gpuE3ELNS1_3repE0EEENS1_30default_config_static_selectorELNS0_4arch9wavefront6targetE0EEEvS14_
		.amdhsa_group_segment_fixed_size 0
		.amdhsa_private_segment_fixed_size 0
		.amdhsa_kernarg_size 88
		.amdhsa_user_sgpr_count 6
		.amdhsa_user_sgpr_private_segment_buffer 1
		.amdhsa_user_sgpr_dispatch_ptr 0
		.amdhsa_user_sgpr_queue_ptr 0
		.amdhsa_user_sgpr_kernarg_segment_ptr 1
		.amdhsa_user_sgpr_dispatch_id 0
		.amdhsa_user_sgpr_flat_scratch_init 0
		.amdhsa_user_sgpr_private_segment_size 0
		.amdhsa_wavefront_size32 1
		.amdhsa_uses_dynamic_stack 0
		.amdhsa_system_sgpr_private_segment_wavefront_offset 0
		.amdhsa_system_sgpr_workgroup_id_x 1
		.amdhsa_system_sgpr_workgroup_id_y 0
		.amdhsa_system_sgpr_workgroup_id_z 0
		.amdhsa_system_sgpr_workgroup_info 0
		.amdhsa_system_vgpr_workitem_id 0
		.amdhsa_next_free_vgpr 1
		.amdhsa_next_free_sgpr 1
		.amdhsa_reserve_vcc 0
		.amdhsa_reserve_flat_scratch 0
		.amdhsa_float_round_mode_32 0
		.amdhsa_float_round_mode_16_64 0
		.amdhsa_float_denorm_mode_32 3
		.amdhsa_float_denorm_mode_16_64 3
		.amdhsa_dx10_clamp 1
		.amdhsa_ieee_mode 1
		.amdhsa_fp16_overflow 0
		.amdhsa_workgroup_processor_mode 1
		.amdhsa_memory_ordered 1
		.amdhsa_forward_progress 1
		.amdhsa_shared_vgpr_count 0
		.amdhsa_exception_fp_ieee_invalid_op 0
		.amdhsa_exception_fp_denorm_src 0
		.amdhsa_exception_fp_ieee_div_zero 0
		.amdhsa_exception_fp_ieee_overflow 0
		.amdhsa_exception_fp_ieee_underflow 0
		.amdhsa_exception_fp_ieee_inexact 0
		.amdhsa_exception_int_div_zero 0
	.end_amdhsa_kernel
	.section	.text._ZN7rocprim17ROCPRIM_400000_NS6detail17trampoline_kernelINS0_14default_configENS1_22reduce_config_selectorIN6thrust23THRUST_200600_302600_NS5tupleIblNS6_9null_typeES8_S8_S8_S8_S8_S8_S8_EEEEZNS1_11reduce_implILb1ES3_NS6_12zip_iteratorINS7_INS6_11hip_rocprim26transform_input_iterator_tIbNSD_35transform_pair_of_input_iterators_tIbNS6_6detail15normal_iteratorINS6_10device_ptrIKjEEEESL_NS6_8equal_toIjEEEENSG_9not_fun_tINSD_8identityEEEEENSD_19counting_iterator_tIlEES8_S8_S8_S8_S8_S8_S8_S8_EEEEPS9_S9_NSD_9__find_if7functorIS9_EEEE10hipError_tPvRmT1_T2_T3_mT4_P12ihipStream_tbEUlT_E1_NS1_11comp_targetILNS1_3genE9ELNS1_11target_archE1100ELNS1_3gpuE3ELNS1_3repE0EEENS1_30default_config_static_selectorELNS0_4arch9wavefront6targetE0EEEvS14_,"axG",@progbits,_ZN7rocprim17ROCPRIM_400000_NS6detail17trampoline_kernelINS0_14default_configENS1_22reduce_config_selectorIN6thrust23THRUST_200600_302600_NS5tupleIblNS6_9null_typeES8_S8_S8_S8_S8_S8_S8_EEEEZNS1_11reduce_implILb1ES3_NS6_12zip_iteratorINS7_INS6_11hip_rocprim26transform_input_iterator_tIbNSD_35transform_pair_of_input_iterators_tIbNS6_6detail15normal_iteratorINS6_10device_ptrIKjEEEESL_NS6_8equal_toIjEEEENSG_9not_fun_tINSD_8identityEEEEENSD_19counting_iterator_tIlEES8_S8_S8_S8_S8_S8_S8_S8_EEEEPS9_S9_NSD_9__find_if7functorIS9_EEEE10hipError_tPvRmT1_T2_T3_mT4_P12ihipStream_tbEUlT_E1_NS1_11comp_targetILNS1_3genE9ELNS1_11target_archE1100ELNS1_3gpuE3ELNS1_3repE0EEENS1_30default_config_static_selectorELNS0_4arch9wavefront6targetE0EEEvS14_,comdat
.Lfunc_end167:
	.size	_ZN7rocprim17ROCPRIM_400000_NS6detail17trampoline_kernelINS0_14default_configENS1_22reduce_config_selectorIN6thrust23THRUST_200600_302600_NS5tupleIblNS6_9null_typeES8_S8_S8_S8_S8_S8_S8_EEEEZNS1_11reduce_implILb1ES3_NS6_12zip_iteratorINS7_INS6_11hip_rocprim26transform_input_iterator_tIbNSD_35transform_pair_of_input_iterators_tIbNS6_6detail15normal_iteratorINS6_10device_ptrIKjEEEESL_NS6_8equal_toIjEEEENSG_9not_fun_tINSD_8identityEEEEENSD_19counting_iterator_tIlEES8_S8_S8_S8_S8_S8_S8_S8_EEEEPS9_S9_NSD_9__find_if7functorIS9_EEEE10hipError_tPvRmT1_T2_T3_mT4_P12ihipStream_tbEUlT_E1_NS1_11comp_targetILNS1_3genE9ELNS1_11target_archE1100ELNS1_3gpuE3ELNS1_3repE0EEENS1_30default_config_static_selectorELNS0_4arch9wavefront6targetE0EEEvS14_, .Lfunc_end167-_ZN7rocprim17ROCPRIM_400000_NS6detail17trampoline_kernelINS0_14default_configENS1_22reduce_config_selectorIN6thrust23THRUST_200600_302600_NS5tupleIblNS6_9null_typeES8_S8_S8_S8_S8_S8_S8_EEEEZNS1_11reduce_implILb1ES3_NS6_12zip_iteratorINS7_INS6_11hip_rocprim26transform_input_iterator_tIbNSD_35transform_pair_of_input_iterators_tIbNS6_6detail15normal_iteratorINS6_10device_ptrIKjEEEESL_NS6_8equal_toIjEEEENSG_9not_fun_tINSD_8identityEEEEENSD_19counting_iterator_tIlEES8_S8_S8_S8_S8_S8_S8_S8_EEEEPS9_S9_NSD_9__find_if7functorIS9_EEEE10hipError_tPvRmT1_T2_T3_mT4_P12ihipStream_tbEUlT_E1_NS1_11comp_targetILNS1_3genE9ELNS1_11target_archE1100ELNS1_3gpuE3ELNS1_3repE0EEENS1_30default_config_static_selectorELNS0_4arch9wavefront6targetE0EEEvS14_
                                        ; -- End function
	.set _ZN7rocprim17ROCPRIM_400000_NS6detail17trampoline_kernelINS0_14default_configENS1_22reduce_config_selectorIN6thrust23THRUST_200600_302600_NS5tupleIblNS6_9null_typeES8_S8_S8_S8_S8_S8_S8_EEEEZNS1_11reduce_implILb1ES3_NS6_12zip_iteratorINS7_INS6_11hip_rocprim26transform_input_iterator_tIbNSD_35transform_pair_of_input_iterators_tIbNS6_6detail15normal_iteratorINS6_10device_ptrIKjEEEESL_NS6_8equal_toIjEEEENSG_9not_fun_tINSD_8identityEEEEENSD_19counting_iterator_tIlEES8_S8_S8_S8_S8_S8_S8_S8_EEEEPS9_S9_NSD_9__find_if7functorIS9_EEEE10hipError_tPvRmT1_T2_T3_mT4_P12ihipStream_tbEUlT_E1_NS1_11comp_targetILNS1_3genE9ELNS1_11target_archE1100ELNS1_3gpuE3ELNS1_3repE0EEENS1_30default_config_static_selectorELNS0_4arch9wavefront6targetE0EEEvS14_.num_vgpr, 0
	.set _ZN7rocprim17ROCPRIM_400000_NS6detail17trampoline_kernelINS0_14default_configENS1_22reduce_config_selectorIN6thrust23THRUST_200600_302600_NS5tupleIblNS6_9null_typeES8_S8_S8_S8_S8_S8_S8_EEEEZNS1_11reduce_implILb1ES3_NS6_12zip_iteratorINS7_INS6_11hip_rocprim26transform_input_iterator_tIbNSD_35transform_pair_of_input_iterators_tIbNS6_6detail15normal_iteratorINS6_10device_ptrIKjEEEESL_NS6_8equal_toIjEEEENSG_9not_fun_tINSD_8identityEEEEENSD_19counting_iterator_tIlEES8_S8_S8_S8_S8_S8_S8_S8_EEEEPS9_S9_NSD_9__find_if7functorIS9_EEEE10hipError_tPvRmT1_T2_T3_mT4_P12ihipStream_tbEUlT_E1_NS1_11comp_targetILNS1_3genE9ELNS1_11target_archE1100ELNS1_3gpuE3ELNS1_3repE0EEENS1_30default_config_static_selectorELNS0_4arch9wavefront6targetE0EEEvS14_.num_agpr, 0
	.set _ZN7rocprim17ROCPRIM_400000_NS6detail17trampoline_kernelINS0_14default_configENS1_22reduce_config_selectorIN6thrust23THRUST_200600_302600_NS5tupleIblNS6_9null_typeES8_S8_S8_S8_S8_S8_S8_EEEEZNS1_11reduce_implILb1ES3_NS6_12zip_iteratorINS7_INS6_11hip_rocprim26transform_input_iterator_tIbNSD_35transform_pair_of_input_iterators_tIbNS6_6detail15normal_iteratorINS6_10device_ptrIKjEEEESL_NS6_8equal_toIjEEEENSG_9not_fun_tINSD_8identityEEEEENSD_19counting_iterator_tIlEES8_S8_S8_S8_S8_S8_S8_S8_EEEEPS9_S9_NSD_9__find_if7functorIS9_EEEE10hipError_tPvRmT1_T2_T3_mT4_P12ihipStream_tbEUlT_E1_NS1_11comp_targetILNS1_3genE9ELNS1_11target_archE1100ELNS1_3gpuE3ELNS1_3repE0EEENS1_30default_config_static_selectorELNS0_4arch9wavefront6targetE0EEEvS14_.numbered_sgpr, 0
	.set _ZN7rocprim17ROCPRIM_400000_NS6detail17trampoline_kernelINS0_14default_configENS1_22reduce_config_selectorIN6thrust23THRUST_200600_302600_NS5tupleIblNS6_9null_typeES8_S8_S8_S8_S8_S8_S8_EEEEZNS1_11reduce_implILb1ES3_NS6_12zip_iteratorINS7_INS6_11hip_rocprim26transform_input_iterator_tIbNSD_35transform_pair_of_input_iterators_tIbNS6_6detail15normal_iteratorINS6_10device_ptrIKjEEEESL_NS6_8equal_toIjEEEENSG_9not_fun_tINSD_8identityEEEEENSD_19counting_iterator_tIlEES8_S8_S8_S8_S8_S8_S8_S8_EEEEPS9_S9_NSD_9__find_if7functorIS9_EEEE10hipError_tPvRmT1_T2_T3_mT4_P12ihipStream_tbEUlT_E1_NS1_11comp_targetILNS1_3genE9ELNS1_11target_archE1100ELNS1_3gpuE3ELNS1_3repE0EEENS1_30default_config_static_selectorELNS0_4arch9wavefront6targetE0EEEvS14_.num_named_barrier, 0
	.set _ZN7rocprim17ROCPRIM_400000_NS6detail17trampoline_kernelINS0_14default_configENS1_22reduce_config_selectorIN6thrust23THRUST_200600_302600_NS5tupleIblNS6_9null_typeES8_S8_S8_S8_S8_S8_S8_EEEEZNS1_11reduce_implILb1ES3_NS6_12zip_iteratorINS7_INS6_11hip_rocprim26transform_input_iterator_tIbNSD_35transform_pair_of_input_iterators_tIbNS6_6detail15normal_iteratorINS6_10device_ptrIKjEEEESL_NS6_8equal_toIjEEEENSG_9not_fun_tINSD_8identityEEEEENSD_19counting_iterator_tIlEES8_S8_S8_S8_S8_S8_S8_S8_EEEEPS9_S9_NSD_9__find_if7functorIS9_EEEE10hipError_tPvRmT1_T2_T3_mT4_P12ihipStream_tbEUlT_E1_NS1_11comp_targetILNS1_3genE9ELNS1_11target_archE1100ELNS1_3gpuE3ELNS1_3repE0EEENS1_30default_config_static_selectorELNS0_4arch9wavefront6targetE0EEEvS14_.private_seg_size, 0
	.set _ZN7rocprim17ROCPRIM_400000_NS6detail17trampoline_kernelINS0_14default_configENS1_22reduce_config_selectorIN6thrust23THRUST_200600_302600_NS5tupleIblNS6_9null_typeES8_S8_S8_S8_S8_S8_S8_EEEEZNS1_11reduce_implILb1ES3_NS6_12zip_iteratorINS7_INS6_11hip_rocprim26transform_input_iterator_tIbNSD_35transform_pair_of_input_iterators_tIbNS6_6detail15normal_iteratorINS6_10device_ptrIKjEEEESL_NS6_8equal_toIjEEEENSG_9not_fun_tINSD_8identityEEEEENSD_19counting_iterator_tIlEES8_S8_S8_S8_S8_S8_S8_S8_EEEEPS9_S9_NSD_9__find_if7functorIS9_EEEE10hipError_tPvRmT1_T2_T3_mT4_P12ihipStream_tbEUlT_E1_NS1_11comp_targetILNS1_3genE9ELNS1_11target_archE1100ELNS1_3gpuE3ELNS1_3repE0EEENS1_30default_config_static_selectorELNS0_4arch9wavefront6targetE0EEEvS14_.uses_vcc, 0
	.set _ZN7rocprim17ROCPRIM_400000_NS6detail17trampoline_kernelINS0_14default_configENS1_22reduce_config_selectorIN6thrust23THRUST_200600_302600_NS5tupleIblNS6_9null_typeES8_S8_S8_S8_S8_S8_S8_EEEEZNS1_11reduce_implILb1ES3_NS6_12zip_iteratorINS7_INS6_11hip_rocprim26transform_input_iterator_tIbNSD_35transform_pair_of_input_iterators_tIbNS6_6detail15normal_iteratorINS6_10device_ptrIKjEEEESL_NS6_8equal_toIjEEEENSG_9not_fun_tINSD_8identityEEEEENSD_19counting_iterator_tIlEES8_S8_S8_S8_S8_S8_S8_S8_EEEEPS9_S9_NSD_9__find_if7functorIS9_EEEE10hipError_tPvRmT1_T2_T3_mT4_P12ihipStream_tbEUlT_E1_NS1_11comp_targetILNS1_3genE9ELNS1_11target_archE1100ELNS1_3gpuE3ELNS1_3repE0EEENS1_30default_config_static_selectorELNS0_4arch9wavefront6targetE0EEEvS14_.uses_flat_scratch, 0
	.set _ZN7rocprim17ROCPRIM_400000_NS6detail17trampoline_kernelINS0_14default_configENS1_22reduce_config_selectorIN6thrust23THRUST_200600_302600_NS5tupleIblNS6_9null_typeES8_S8_S8_S8_S8_S8_S8_EEEEZNS1_11reduce_implILb1ES3_NS6_12zip_iteratorINS7_INS6_11hip_rocprim26transform_input_iterator_tIbNSD_35transform_pair_of_input_iterators_tIbNS6_6detail15normal_iteratorINS6_10device_ptrIKjEEEESL_NS6_8equal_toIjEEEENSG_9not_fun_tINSD_8identityEEEEENSD_19counting_iterator_tIlEES8_S8_S8_S8_S8_S8_S8_S8_EEEEPS9_S9_NSD_9__find_if7functorIS9_EEEE10hipError_tPvRmT1_T2_T3_mT4_P12ihipStream_tbEUlT_E1_NS1_11comp_targetILNS1_3genE9ELNS1_11target_archE1100ELNS1_3gpuE3ELNS1_3repE0EEENS1_30default_config_static_selectorELNS0_4arch9wavefront6targetE0EEEvS14_.has_dyn_sized_stack, 0
	.set _ZN7rocprim17ROCPRIM_400000_NS6detail17trampoline_kernelINS0_14default_configENS1_22reduce_config_selectorIN6thrust23THRUST_200600_302600_NS5tupleIblNS6_9null_typeES8_S8_S8_S8_S8_S8_S8_EEEEZNS1_11reduce_implILb1ES3_NS6_12zip_iteratorINS7_INS6_11hip_rocprim26transform_input_iterator_tIbNSD_35transform_pair_of_input_iterators_tIbNS6_6detail15normal_iteratorINS6_10device_ptrIKjEEEESL_NS6_8equal_toIjEEEENSG_9not_fun_tINSD_8identityEEEEENSD_19counting_iterator_tIlEES8_S8_S8_S8_S8_S8_S8_S8_EEEEPS9_S9_NSD_9__find_if7functorIS9_EEEE10hipError_tPvRmT1_T2_T3_mT4_P12ihipStream_tbEUlT_E1_NS1_11comp_targetILNS1_3genE9ELNS1_11target_archE1100ELNS1_3gpuE3ELNS1_3repE0EEENS1_30default_config_static_selectorELNS0_4arch9wavefront6targetE0EEEvS14_.has_recursion, 0
	.set _ZN7rocprim17ROCPRIM_400000_NS6detail17trampoline_kernelINS0_14default_configENS1_22reduce_config_selectorIN6thrust23THRUST_200600_302600_NS5tupleIblNS6_9null_typeES8_S8_S8_S8_S8_S8_S8_EEEEZNS1_11reduce_implILb1ES3_NS6_12zip_iteratorINS7_INS6_11hip_rocprim26transform_input_iterator_tIbNSD_35transform_pair_of_input_iterators_tIbNS6_6detail15normal_iteratorINS6_10device_ptrIKjEEEESL_NS6_8equal_toIjEEEENSG_9not_fun_tINSD_8identityEEEEENSD_19counting_iterator_tIlEES8_S8_S8_S8_S8_S8_S8_S8_EEEEPS9_S9_NSD_9__find_if7functorIS9_EEEE10hipError_tPvRmT1_T2_T3_mT4_P12ihipStream_tbEUlT_E1_NS1_11comp_targetILNS1_3genE9ELNS1_11target_archE1100ELNS1_3gpuE3ELNS1_3repE0EEENS1_30default_config_static_selectorELNS0_4arch9wavefront6targetE0EEEvS14_.has_indirect_call, 0
	.section	.AMDGPU.csdata,"",@progbits
; Kernel info:
; codeLenInByte = 0
; TotalNumSgprs: 0
; NumVgprs: 0
; ScratchSize: 0
; MemoryBound: 0
; FloatMode: 240
; IeeeMode: 1
; LDSByteSize: 0 bytes/workgroup (compile time only)
; SGPRBlocks: 0
; VGPRBlocks: 0
; NumSGPRsForWavesPerEU: 1
; NumVGPRsForWavesPerEU: 1
; Occupancy: 16
; WaveLimiterHint : 0
; COMPUTE_PGM_RSRC2:SCRATCH_EN: 0
; COMPUTE_PGM_RSRC2:USER_SGPR: 6
; COMPUTE_PGM_RSRC2:TRAP_HANDLER: 0
; COMPUTE_PGM_RSRC2:TGID_X_EN: 1
; COMPUTE_PGM_RSRC2:TGID_Y_EN: 0
; COMPUTE_PGM_RSRC2:TGID_Z_EN: 0
; COMPUTE_PGM_RSRC2:TIDIG_COMP_CNT: 0
	.section	.text._ZN7rocprim17ROCPRIM_400000_NS6detail17trampoline_kernelINS0_14default_configENS1_22reduce_config_selectorIN6thrust23THRUST_200600_302600_NS5tupleIblNS6_9null_typeES8_S8_S8_S8_S8_S8_S8_EEEEZNS1_11reduce_implILb1ES3_NS6_12zip_iteratorINS7_INS6_11hip_rocprim26transform_input_iterator_tIbNSD_35transform_pair_of_input_iterators_tIbNS6_6detail15normal_iteratorINS6_10device_ptrIKjEEEESL_NS6_8equal_toIjEEEENSG_9not_fun_tINSD_8identityEEEEENSD_19counting_iterator_tIlEES8_S8_S8_S8_S8_S8_S8_S8_EEEEPS9_S9_NSD_9__find_if7functorIS9_EEEE10hipError_tPvRmT1_T2_T3_mT4_P12ihipStream_tbEUlT_E1_NS1_11comp_targetILNS1_3genE8ELNS1_11target_archE1030ELNS1_3gpuE2ELNS1_3repE0EEENS1_30default_config_static_selectorELNS0_4arch9wavefront6targetE0EEEvS14_,"axG",@progbits,_ZN7rocprim17ROCPRIM_400000_NS6detail17trampoline_kernelINS0_14default_configENS1_22reduce_config_selectorIN6thrust23THRUST_200600_302600_NS5tupleIblNS6_9null_typeES8_S8_S8_S8_S8_S8_S8_EEEEZNS1_11reduce_implILb1ES3_NS6_12zip_iteratorINS7_INS6_11hip_rocprim26transform_input_iterator_tIbNSD_35transform_pair_of_input_iterators_tIbNS6_6detail15normal_iteratorINS6_10device_ptrIKjEEEESL_NS6_8equal_toIjEEEENSG_9not_fun_tINSD_8identityEEEEENSD_19counting_iterator_tIlEES8_S8_S8_S8_S8_S8_S8_S8_EEEEPS9_S9_NSD_9__find_if7functorIS9_EEEE10hipError_tPvRmT1_T2_T3_mT4_P12ihipStream_tbEUlT_E1_NS1_11comp_targetILNS1_3genE8ELNS1_11target_archE1030ELNS1_3gpuE2ELNS1_3repE0EEENS1_30default_config_static_selectorELNS0_4arch9wavefront6targetE0EEEvS14_,comdat
	.protected	_ZN7rocprim17ROCPRIM_400000_NS6detail17trampoline_kernelINS0_14default_configENS1_22reduce_config_selectorIN6thrust23THRUST_200600_302600_NS5tupleIblNS6_9null_typeES8_S8_S8_S8_S8_S8_S8_EEEEZNS1_11reduce_implILb1ES3_NS6_12zip_iteratorINS7_INS6_11hip_rocprim26transform_input_iterator_tIbNSD_35transform_pair_of_input_iterators_tIbNS6_6detail15normal_iteratorINS6_10device_ptrIKjEEEESL_NS6_8equal_toIjEEEENSG_9not_fun_tINSD_8identityEEEEENSD_19counting_iterator_tIlEES8_S8_S8_S8_S8_S8_S8_S8_EEEEPS9_S9_NSD_9__find_if7functorIS9_EEEE10hipError_tPvRmT1_T2_T3_mT4_P12ihipStream_tbEUlT_E1_NS1_11comp_targetILNS1_3genE8ELNS1_11target_archE1030ELNS1_3gpuE2ELNS1_3repE0EEENS1_30default_config_static_selectorELNS0_4arch9wavefront6targetE0EEEvS14_ ; -- Begin function _ZN7rocprim17ROCPRIM_400000_NS6detail17trampoline_kernelINS0_14default_configENS1_22reduce_config_selectorIN6thrust23THRUST_200600_302600_NS5tupleIblNS6_9null_typeES8_S8_S8_S8_S8_S8_S8_EEEEZNS1_11reduce_implILb1ES3_NS6_12zip_iteratorINS7_INS6_11hip_rocprim26transform_input_iterator_tIbNSD_35transform_pair_of_input_iterators_tIbNS6_6detail15normal_iteratorINS6_10device_ptrIKjEEEESL_NS6_8equal_toIjEEEENSG_9not_fun_tINSD_8identityEEEEENSD_19counting_iterator_tIlEES8_S8_S8_S8_S8_S8_S8_S8_EEEEPS9_S9_NSD_9__find_if7functorIS9_EEEE10hipError_tPvRmT1_T2_T3_mT4_P12ihipStream_tbEUlT_E1_NS1_11comp_targetILNS1_3genE8ELNS1_11target_archE1030ELNS1_3gpuE2ELNS1_3repE0EEENS1_30default_config_static_selectorELNS0_4arch9wavefront6targetE0EEEvS14_
	.globl	_ZN7rocprim17ROCPRIM_400000_NS6detail17trampoline_kernelINS0_14default_configENS1_22reduce_config_selectorIN6thrust23THRUST_200600_302600_NS5tupleIblNS6_9null_typeES8_S8_S8_S8_S8_S8_S8_EEEEZNS1_11reduce_implILb1ES3_NS6_12zip_iteratorINS7_INS6_11hip_rocprim26transform_input_iterator_tIbNSD_35transform_pair_of_input_iterators_tIbNS6_6detail15normal_iteratorINS6_10device_ptrIKjEEEESL_NS6_8equal_toIjEEEENSG_9not_fun_tINSD_8identityEEEEENSD_19counting_iterator_tIlEES8_S8_S8_S8_S8_S8_S8_S8_EEEEPS9_S9_NSD_9__find_if7functorIS9_EEEE10hipError_tPvRmT1_T2_T3_mT4_P12ihipStream_tbEUlT_E1_NS1_11comp_targetILNS1_3genE8ELNS1_11target_archE1030ELNS1_3gpuE2ELNS1_3repE0EEENS1_30default_config_static_selectorELNS0_4arch9wavefront6targetE0EEEvS14_
	.p2align	8
	.type	_ZN7rocprim17ROCPRIM_400000_NS6detail17trampoline_kernelINS0_14default_configENS1_22reduce_config_selectorIN6thrust23THRUST_200600_302600_NS5tupleIblNS6_9null_typeES8_S8_S8_S8_S8_S8_S8_EEEEZNS1_11reduce_implILb1ES3_NS6_12zip_iteratorINS7_INS6_11hip_rocprim26transform_input_iterator_tIbNSD_35transform_pair_of_input_iterators_tIbNS6_6detail15normal_iteratorINS6_10device_ptrIKjEEEESL_NS6_8equal_toIjEEEENSG_9not_fun_tINSD_8identityEEEEENSD_19counting_iterator_tIlEES8_S8_S8_S8_S8_S8_S8_S8_EEEEPS9_S9_NSD_9__find_if7functorIS9_EEEE10hipError_tPvRmT1_T2_T3_mT4_P12ihipStream_tbEUlT_E1_NS1_11comp_targetILNS1_3genE8ELNS1_11target_archE1030ELNS1_3gpuE2ELNS1_3repE0EEENS1_30default_config_static_selectorELNS0_4arch9wavefront6targetE0EEEvS14_,@function
_ZN7rocprim17ROCPRIM_400000_NS6detail17trampoline_kernelINS0_14default_configENS1_22reduce_config_selectorIN6thrust23THRUST_200600_302600_NS5tupleIblNS6_9null_typeES8_S8_S8_S8_S8_S8_S8_EEEEZNS1_11reduce_implILb1ES3_NS6_12zip_iteratorINS7_INS6_11hip_rocprim26transform_input_iterator_tIbNSD_35transform_pair_of_input_iterators_tIbNS6_6detail15normal_iteratorINS6_10device_ptrIKjEEEESL_NS6_8equal_toIjEEEENSG_9not_fun_tINSD_8identityEEEEENSD_19counting_iterator_tIlEES8_S8_S8_S8_S8_S8_S8_S8_EEEEPS9_S9_NSD_9__find_if7functorIS9_EEEE10hipError_tPvRmT1_T2_T3_mT4_P12ihipStream_tbEUlT_E1_NS1_11comp_targetILNS1_3genE8ELNS1_11target_archE1030ELNS1_3gpuE2ELNS1_3repE0EEENS1_30default_config_static_selectorELNS0_4arch9wavefront6targetE0EEEvS14_: ; @_ZN7rocprim17ROCPRIM_400000_NS6detail17trampoline_kernelINS0_14default_configENS1_22reduce_config_selectorIN6thrust23THRUST_200600_302600_NS5tupleIblNS6_9null_typeES8_S8_S8_S8_S8_S8_S8_EEEEZNS1_11reduce_implILb1ES3_NS6_12zip_iteratorINS7_INS6_11hip_rocprim26transform_input_iterator_tIbNSD_35transform_pair_of_input_iterators_tIbNS6_6detail15normal_iteratorINS6_10device_ptrIKjEEEESL_NS6_8equal_toIjEEEENSG_9not_fun_tINSD_8identityEEEEENSD_19counting_iterator_tIlEES8_S8_S8_S8_S8_S8_S8_S8_EEEEPS9_S9_NSD_9__find_if7functorIS9_EEEE10hipError_tPvRmT1_T2_T3_mT4_P12ihipStream_tbEUlT_E1_NS1_11comp_targetILNS1_3genE8ELNS1_11target_archE1030ELNS1_3gpuE2ELNS1_3repE0EEENS1_30default_config_static_selectorELNS0_4arch9wavefront6targetE0EEEvS14_
; %bb.0:
	s_clause 0x4
	s_load_dword s25, s[4:5], 0x4
	s_load_dwordx4 s[16:19], s[4:5], 0x8
	s_load_dwordx4 s[12:15], s[4:5], 0x28
	s_load_dword s24, s[4:5], 0x40
	s_load_dwordx2 s[20:21], s[4:5], 0x48
	s_waitcnt lgkmcnt(0)
	s_cmp_lt_i32 s25, 4
	s_cbranch_scc1 .LBB168_21
; %bb.1:
	s_cmp_gt_i32 s25, 7
	s_cbranch_scc0 .LBB168_22
; %bb.2:
	s_cmp_eq_u32 s25, 8
	s_mov_b32 s26, 0
	s_cbranch_scc0 .LBB168_23
; %bb.3:
	s_mov_b32 s7, 0
	s_lshl_b32 s8, s6, 11
	s_mov_b32 s9, s7
	s_lshr_b64 s[2:3], s[14:15], 11
	s_lshl_b64 s[0:1], s[8:9], 2
	s_add_u32 s10, s16, s0
	s_addc_u32 s11, s17, s1
	s_add_u32 s22, s18, s0
	s_addc_u32 s23, s19, s1
	;; [unrolled: 2-line block ×3, first 2 shown]
	s_cmp_lg_u64 s[2:3], s[6:7]
	s_cbranch_scc0 .LBB168_44
; %bb.4:
	v_lshlrev_b32_e32 v1, 2, v0
	s_clause 0x3
	global_load_dword v13, v1, s[10:11]
	global_load_dword v14, v1, s[22:23]
	global_load_dword v15, v1, s[22:23] offset:1024
	global_load_dword v16, v1, s[10:11] offset:1024
	v_add_co_u32 v9, s0, s10, v1
	v_add_co_ci_u32_e64 v10, null, s11, 0, s0
	v_add_co_u32 v11, s0, s22, v1
	v_add_co_u32 v1, vcc_lo, 0x800, v9
	v_add_co_ci_u32_e64 v12, null, s23, 0, s0
	v_add_co_ci_u32_e64 v2, null, 0, v10, vcc_lo
	v_add_co_u32 v3, vcc_lo, v9, 0x1000
	v_add_co_ci_u32_e64 v4, null, 0, v10, vcc_lo
	v_add_co_u32 v5, vcc_lo, 0x800, v11
	;; [unrolled: 2-line block ×3, first 2 shown]
	global_load_dword v17, v[1:2], off offset:1024
	global_load_dword v18, v[5:6], off offset:1024
	v_add_co_ci_u32_e64 v8, null, 0, v12, vcc_lo
	v_add_co_u32 v1, vcc_lo, 0x1000, v9
	v_add_co_ci_u32_e64 v2, null, 0, v10, vcc_lo
	v_add_co_u32 v5, vcc_lo, 0x1000, v11
	v_add_co_ci_u32_e64 v6, null, 0, v12, vcc_lo
	s_clause 0x1
	global_load_dword v19, v[3:4], off offset:-2048
	global_load_dword v20, v[3:4], off
	s_clause 0x1
	global_load_dword v21, v[7:8], off offset:-2048
	global_load_dword v7, v[7:8], off
	global_load_dword v8, v[1:2], off offset:1024
	global_load_dword v5, v[5:6], off offset:1024
	v_add_co_u32 v1, vcc_lo, 0x1800, v11
	v_add_co_ci_u32_e64 v2, null, 0, v12, vcc_lo
	v_add_co_u32 v3, vcc_lo, 0x1800, v9
	v_add_co_ci_u32_e64 v4, null, 0, v10, vcc_lo
	global_load_dword v6, v[1:2], off
	s_clause 0x1
	global_load_dword v9, v[3:4], off
	global_load_dword v3, v[3:4], off offset:1024
	global_load_dword v1, v[1:2], off offset:1024
	v_mov_b32_e32 v2, 0x100
	v_mov_b32_e32 v4, 0x300
	;; [unrolled: 1-line block ×3, first 2 shown]
	s_waitcnt vmcnt(14)
	v_cmp_ne_u32_e64 s0, v13, v14
	s_waitcnt vmcnt(12)
	v_cmp_ne_u32_e32 vcc_lo, v16, v15
	v_cndmask_b32_e32 v2, 0x200, v2, vcc_lo
	s_or_b32 s3, s0, vcc_lo
	v_cndmask_b32_e64 v2, v2, 0, s0
	s_waitcnt vmcnt(10)
	v_cmp_ne_u32_e64 s0, v17, v18
	v_cndmask_b32_e64 v4, 0x400, v4, s0
	s_waitcnt vmcnt(7)
	v_cmp_ne_u32_e32 vcc_lo, v19, v21
	s_waitcnt vmcnt(6)
	v_cmp_ne_u32_e64 s1, v20, v7
	s_waitcnt vmcnt(4)
	v_cmp_ne_u32_e64 s2, v8, v5
	s_or_b32 vcc_lo, s3, vcc_lo
	v_cndmask_b32_e32 v2, v4, v2, vcc_lo
	v_cndmask_b32_e64 v5, 0x600, v10, s2
	s_or_b32 s0, vcc_lo, s0
	s_or_b32 s0, s0, s1
	s_waitcnt vmcnt(2)
	v_cmp_ne_u32_e32 vcc_lo, v9, v6
	v_cndmask_b32_e64 v2, v5, v2, s0
	s_or_b32 s0, s0, s2
	s_or_b32 vcc_lo, s0, vcc_lo
	v_add_co_u32 v4, s0, s28, v0
	v_cndmask_b32_e32 v2, 0x700, v2, vcc_lo
	v_add_co_ci_u32_e64 v5, null, s29, 0, s0
	s_waitcnt vmcnt(0)
	v_cmp_ne_u32_e64 s0, v3, v1
	v_add_co_u32 v1, s1, v4, v2
	v_add_co_ci_u32_e64 v2, null, 0, v5, s1
	s_or_b32 s0, vcc_lo, s0
	v_mov_b32_dpp v3, v1 quad_perm:[1,0,3,2] row_mask:0xf bank_mask:0xf
	v_cndmask_b32_e64 v5, 0, 1, s0
	v_mov_b32_dpp v4, v2 quad_perm:[1,0,3,2] row_mask:0xf bank_mask:0xf
	v_mov_b32_dpp v6, v5 quad_perm:[1,0,3,2] row_mask:0xf bank_mask:0xf
	v_cmp_lt_i64_e32 vcc_lo, v[1:2], v[3:4]
	v_and_b32_e32 v6, 1, v6
	s_and_b32 vcc_lo, s0, vcc_lo
	v_cndmask_b32_e32 v3, v3, v1, vcc_lo
	v_cndmask_b32_e32 v4, v4, v2, vcc_lo
	v_cmp_eq_u32_e32 vcc_lo, 1, v6
	v_cndmask_b32_e32 v2, v2, v4, vcc_lo
	v_cndmask_b32_e32 v1, v1, v3, vcc_lo
	v_cndmask_b32_e64 v5, v5, 1, vcc_lo
	v_mov_b32_dpp v4, v2 quad_perm:[2,3,0,1] row_mask:0xf bank_mask:0xf
	v_mov_b32_dpp v3, v1 quad_perm:[2,3,0,1] row_mask:0xf bank_mask:0xf
	v_and_b32_e32 v7, 1, v5
	v_mov_b32_dpp v6, v5 quad_perm:[2,3,0,1] row_mask:0xf bank_mask:0xf
	v_cmp_lt_i64_e32 vcc_lo, v[1:2], v[3:4]
	v_cmp_eq_u32_e64 s0, 1, v7
	v_and_b32_e32 v6, 1, v6
	s_and_b32 vcc_lo, s0, vcc_lo
	v_cmp_eq_u32_e64 s1, 1, v6
	v_cndmask_b32_e32 v3, v3, v1, vcc_lo
	v_cndmask_b32_e32 v4, v4, v2, vcc_lo
	v_cndmask_b32_e64 v5, v5, 1, s1
	v_cndmask_b32_e64 v1, v1, v3, s1
	;; [unrolled: 1-line block ×3, first 2 shown]
	v_and_b32_e32 v7, 1, v5
	v_mov_b32_dpp v3, v1 row_ror:4 row_mask:0xf bank_mask:0xf
	v_mov_b32_dpp v4, v2 row_ror:4 row_mask:0xf bank_mask:0xf
	;; [unrolled: 1-line block ×3, first 2 shown]
	v_cmp_eq_u32_e64 s0, 1, v7
	v_cmp_lt_i64_e32 vcc_lo, v[1:2], v[3:4]
	v_and_b32_e32 v6, 1, v6
	s_and_b32 vcc_lo, s0, vcc_lo
	v_cmp_eq_u32_e64 s1, 1, v6
	v_cndmask_b32_e32 v3, v3, v1, vcc_lo
	v_cndmask_b32_e32 v4, v4, v2, vcc_lo
	v_cndmask_b32_e64 v5, v5, 1, s1
	v_cndmask_b32_e64 v1, v1, v3, s1
	;; [unrolled: 1-line block ×3, first 2 shown]
	v_and_b32_e32 v7, 1, v5
	v_mov_b32_dpp v3, v1 row_ror:8 row_mask:0xf bank_mask:0xf
	v_mov_b32_dpp v4, v2 row_ror:8 row_mask:0xf bank_mask:0xf
	;; [unrolled: 1-line block ×3, first 2 shown]
	v_cmp_eq_u32_e64 s0, 1, v7
	v_cmp_lt_i64_e32 vcc_lo, v[1:2], v[3:4]
	v_and_b32_e32 v6, 1, v6
	s_and_b32 vcc_lo, s0, vcc_lo
	v_cmp_eq_u32_e64 s1, 1, v6
	v_cndmask_b32_e32 v3, v3, v1, vcc_lo
	v_cndmask_b32_e32 v4, v4, v2, vcc_lo
	v_cndmask_b32_e64 v5, v5, 1, s1
	v_cndmask_b32_e64 v1, v1, v3, s1
	;; [unrolled: 1-line block ×3, first 2 shown]
	ds_swizzle_b32 v6, v5 offset:swizzle(BROADCAST,32,15)
	ds_swizzle_b32 v3, v1 offset:swizzle(BROADCAST,32,15)
	ds_swizzle_b32 v4, v2 offset:swizzle(BROADCAST,32,15)
	v_and_b32_e32 v7, 1, v5
	v_cmp_eq_u32_e64 s0, 1, v7
	v_mbcnt_lo_u32_b32 v7, -1, 0
	s_waitcnt lgkmcnt(2)
	v_and_b32_e32 v6, 1, v6
	s_waitcnt lgkmcnt(0)
	v_cmp_lt_i64_e32 vcc_lo, v[1:2], v[3:4]
	v_cmp_eq_u32_e64 s1, 1, v6
	v_mov_b32_e32 v6, 0
	s_and_b32 vcc_lo, s0, vcc_lo
	s_mov_b32 s0, exec_lo
	v_cndmask_b32_e32 v3, v3, v1, vcc_lo
	v_cndmask_b32_e32 v4, v4, v2, vcc_lo
	v_cndmask_b32_e64 v5, v5, 1, s1
	v_cndmask_b32_e64 v1, v1, v3, s1
	v_cndmask_b32_e64 v2, v2, v4, s1
	ds_bpermute_b32 v17, v6, v5 offset:124
	ds_bpermute_b32 v1, v6, v1 offset:124
	;; [unrolled: 1-line block ×3, first 2 shown]
	v_cmpx_eq_u32_e32 0, v7
	s_cbranch_execz .LBB168_6
; %bb.5:
	v_lshrrev_b32_e32 v3, 1, v0
	v_and_b32_e32 v3, 0x70, v3
	s_waitcnt lgkmcnt(2)
	ds_write_b8 v3, v17 offset:384
	s_waitcnt lgkmcnt(1)
	ds_write_b64 v3, v[1:2] offset:392
.LBB168_6:
	s_or_b32 exec_lo, exec_lo, s0
	s_mov_b32 s0, exec_lo
	s_waitcnt lgkmcnt(0)
	s_barrier
	buffer_gl0_inv
	v_cmpx_gt_u32_e32 32, v0
	s_cbranch_execz .LBB168_20
; %bb.7:
	v_and_b32_e32 v8, 7, v7
	v_lshlrev_b32_e32 v1, 4, v8
	v_cmp_ne_u32_e32 vcc_lo, 7, v8
	ds_read_u8 v10, v1 offset:384
	ds_read_b64 v[3:4], v1 offset:392
	v_add_co_ci_u32_e64 v2, null, 0, v7, vcc_lo
	v_lshlrev_b32_e32 v2, 2, v2
	s_waitcnt lgkmcnt(1)
	v_and_b32_e32 v1, 0xff, v10
	s_waitcnt lgkmcnt(0)
	ds_bpermute_b32 v5, v2, v3
	ds_bpermute_b32 v6, v2, v4
	ds_bpermute_b32 v11, v2, v1
	s_waitcnt lgkmcnt(0)
	v_and_b32_e32 v1, v10, v11
	v_and_b32_e32 v1, 1, v1
	v_cmp_eq_u32_e32 vcc_lo, 1, v1
                                        ; implicit-def: $vgpr1_vgpr2
	s_and_saveexec_b32 s1, vcc_lo
	s_xor_b32 s1, exec_lo, s1
; %bb.8:
	v_cmp_lt_i64_e32 vcc_lo, v[5:6], v[3:4]
                                        ; implicit-def: $vgpr10
                                        ; implicit-def: $vgpr11
	v_cndmask_b32_e32 v2, v4, v6, vcc_lo
	v_cndmask_b32_e32 v1, v3, v5, vcc_lo
                                        ; implicit-def: $vgpr5_vgpr6
                                        ; implicit-def: $vgpr3_vgpr4
; %bb.9:
	s_or_saveexec_b32 s1, s1
	v_mov_b32_e32 v9, 1
	s_xor_b32 exec_lo, exec_lo, s1
; %bb.10:
	v_and_b32_e32 v1, 1, v10
	v_and_b32_e32 v9, 0xff, v11
	v_cmp_eq_u32_e32 vcc_lo, 1, v1
	v_cndmask_b32_e32 v2, v6, v4, vcc_lo
	v_cndmask_b32_e32 v1, v5, v3, vcc_lo
	v_cndmask_b32_e64 v9, v9, 1, vcc_lo
; %bb.11:
	s_or_b32 exec_lo, exec_lo, s1
	v_cmp_gt_u32_e32 vcc_lo, 6, v8
	v_cndmask_b32_e64 v3, 0, 2, vcc_lo
	v_add_lshl_u32 v3, v3, v7, 2
	ds_bpermute_b32 v8, v3, v9
	ds_bpermute_b32 v5, v3, v1
	;; [unrolled: 1-line block ×3, first 2 shown]
	s_waitcnt lgkmcnt(2)
	v_and_b32_e32 v3, v9, v8
	v_and_b32_e32 v3, 1, v3
	v_cmp_eq_u32_e32 vcc_lo, 1, v3
                                        ; implicit-def: $vgpr3_vgpr4
	s_and_saveexec_b32 s1, vcc_lo
	s_xor_b32 s1, exec_lo, s1
	s_cbranch_execz .LBB168_13
; %bb.12:
	s_waitcnt lgkmcnt(0)
	v_cmp_lt_i64_e32 vcc_lo, v[5:6], v[1:2]
                                        ; implicit-def: $vgpr9
                                        ; implicit-def: $vgpr8
	v_cndmask_b32_e32 v4, v2, v6, vcc_lo
	v_cndmask_b32_e32 v3, v1, v5, vcc_lo
                                        ; implicit-def: $vgpr5_vgpr6
                                        ; implicit-def: $vgpr1_vgpr2
.LBB168_13:
	s_or_saveexec_b32 s1, s1
	v_lshlrev_b32_e32 v10, 2, v7
	v_mov_b32_e32 v7, 1
	s_xor_b32 exec_lo, exec_lo, s1
	s_cbranch_execz .LBB168_15
; %bb.14:
	v_and_b32_e32 v3, 1, v9
	v_and_b32_e32 v7, 0xff, v8
	v_cmp_eq_u32_e32 vcc_lo, 1, v3
	s_waitcnt lgkmcnt(0)
	v_cndmask_b32_e32 v4, v6, v2, vcc_lo
	v_cndmask_b32_e32 v3, v5, v1, vcc_lo
	v_cndmask_b32_e64 v7, v7, 1, vcc_lo
.LBB168_15:
	s_or_b32 exec_lo, exec_lo, s1
	v_or_b32_e32 v1, 16, v10
	ds_bpermute_b32 v8, v1, v7
	s_waitcnt lgkmcnt(2)
	ds_bpermute_b32 v5, v1, v3
	s_waitcnt lgkmcnt(2)
	;; [unrolled: 2-line block ×3, first 2 shown]
	v_and_b32_e32 v1, v7, v8
	v_and_b32_e32 v1, 1, v1
	v_cmp_eq_u32_e32 vcc_lo, 1, v1
                                        ; implicit-def: $vgpr1_vgpr2
	s_and_saveexec_b32 s1, vcc_lo
	s_xor_b32 s1, exec_lo, s1
	s_cbranch_execz .LBB168_17
; %bb.16:
	s_waitcnt lgkmcnt(0)
	v_cmp_lt_i64_e32 vcc_lo, v[5:6], v[3:4]
                                        ; implicit-def: $vgpr7
                                        ; implicit-def: $vgpr8
	v_cndmask_b32_e32 v2, v4, v6, vcc_lo
	v_cndmask_b32_e32 v1, v3, v5, vcc_lo
                                        ; implicit-def: $vgpr5_vgpr6
                                        ; implicit-def: $vgpr3_vgpr4
.LBB168_17:
	s_or_saveexec_b32 s1, s1
	v_mov_b32_e32 v17, 1
	s_xor_b32 exec_lo, exec_lo, s1
	s_cbranch_execz .LBB168_19
; %bb.18:
	v_and_b32_e32 v1, 1, v7
	v_cmp_eq_u32_e32 vcc_lo, 1, v1
	s_waitcnt lgkmcnt(0)
	v_cndmask_b32_e32 v2, v6, v4, vcc_lo
	v_cndmask_b32_e32 v1, v5, v3, vcc_lo
	v_cndmask_b32_e64 v17, v8, 1, vcc_lo
.LBB168_19:
	s_or_b32 exec_lo, exec_lo, s1
.LBB168_20:
	s_or_b32 exec_lo, exec_lo, s0
	s_branch .LBB168_167
.LBB168_21:
	s_mov_b32 s22, 0
                                        ; implicit-def: $vgpr3_vgpr4
                                        ; implicit-def: $vgpr5
                                        ; implicit-def: $vgpr1_vgpr2
	s_cbranch_execnz .LBB168_247
	s_branch .LBB168_356
.LBB168_22:
	s_mov_b32 s26, -1
.LBB168_23:
	s_mov_b32 s22, 0
                                        ; implicit-def: $vgpr3_vgpr4
                                        ; implicit-def: $vgpr5
                                        ; implicit-def: $vgpr1_vgpr2
	s_and_b32 vcc_lo, exec_lo, s26
	s_cbranch_vccz .LBB168_172
.LBB168_24:
	s_cmp_eq_u32 s25, 4
	s_cbranch_scc0 .LBB168_43
; %bb.25:
	s_mov_b32 s7, 0
	s_lshl_b32 s10, s6, 10
	s_mov_b32 s11, s7
	s_lshr_b64 s[26:27], s[14:15], 10
	s_lshl_b64 s[0:1], s[10:11], 2
	s_add_u32 s2, s16, s0
	s_addc_u32 s3, s17, s1
	s_add_u32 s8, s18, s0
	s_addc_u32 s9, s19, s1
	;; [unrolled: 2-line block ×3, first 2 shown]
	s_cmp_lg_u64 s[26:27], s[6:7]
	s_cbranch_scc0 .LBB168_67
; %bb.26:
	s_waitcnt lgkmcnt(1)
	v_lshlrev_b32_e32 v5, 2, v0
	v_add_co_u32 v1, s0, s2, v5
	v_add_co_ci_u32_e64 v2, null, s3, 0, s0
	v_add_co_u32 v3, s0, s8, v5
	s_waitcnt lgkmcnt(0)
	v_add_co_ci_u32_e64 v4, null, s9, 0, s0
	v_add_co_u32 v1, vcc_lo, 0x800, v1
	v_add_co_ci_u32_e64 v2, null, 0, v2, vcc_lo
	v_add_co_u32 v3, vcc_lo, 0x800, v3
	v_add_co_ci_u32_e64 v4, null, 0, v4, vcc_lo
	s_clause 0x3
	global_load_dword v6, v5, s[8:9] offset:1024
	global_load_dword v7, v5, s[2:3] offset:1024
	global_load_dword v8, v5, s[8:9]
	global_load_dword v5, v5, s[2:3]
	global_load_dword v9, v[3:4], off
	s_clause 0x1
	global_load_dword v10, v[1:2], off
	global_load_dword v1, v[1:2], off offset:1024
	global_load_dword v2, v[3:4], off offset:1024
	v_mov_b32_e32 v3, 0x100
	s_waitcnt vmcnt(6)
	v_cmp_ne_u32_e32 vcc_lo, v7, v6
	s_waitcnt vmcnt(4)
	v_cmp_ne_u32_e64 s0, v5, v8
	s_waitcnt vmcnt(2)
	v_cmp_ne_u32_e64 s1, v10, v9
	v_cndmask_b32_e32 v3, 0x200, v3, vcc_lo
	v_cndmask_b32_e64 v3, v3, 0, s0
	s_or_b32 s0, s0, vcc_lo
	s_or_b32 vcc_lo, s0, s1
	v_add_co_u32 v4, s0, s11, v0
	v_cndmask_b32_e32 v3, 0x300, v3, vcc_lo
	v_add_co_ci_u32_e64 v5, null, s23, 0, s0
	s_waitcnt vmcnt(0)
	v_cmp_ne_u32_e64 s0, v1, v2
	v_add_co_u32 v1, s1, v4, v3
	v_add_co_ci_u32_e64 v2, null, 0, v5, s1
	s_or_b32 s0, vcc_lo, s0
	v_mov_b32_dpp v3, v1 quad_perm:[1,0,3,2] row_mask:0xf bank_mask:0xf
	v_cndmask_b32_e64 v5, 0, 1, s0
	v_mov_b32_dpp v4, v2 quad_perm:[1,0,3,2] row_mask:0xf bank_mask:0xf
	v_mov_b32_dpp v6, v5 quad_perm:[1,0,3,2] row_mask:0xf bank_mask:0xf
	v_cmp_lt_i64_e32 vcc_lo, v[1:2], v[3:4]
	v_and_b32_e32 v6, 1, v6
	s_and_b32 vcc_lo, s0, vcc_lo
	v_cndmask_b32_e32 v3, v3, v1, vcc_lo
	v_cndmask_b32_e32 v4, v4, v2, vcc_lo
	v_cmp_eq_u32_e32 vcc_lo, 1, v6
	v_cndmask_b32_e32 v2, v2, v4, vcc_lo
	v_cndmask_b32_e32 v1, v1, v3, vcc_lo
	v_cndmask_b32_e64 v5, v5, 1, vcc_lo
	v_mov_b32_dpp v4, v2 quad_perm:[2,3,0,1] row_mask:0xf bank_mask:0xf
	v_mov_b32_dpp v3, v1 quad_perm:[2,3,0,1] row_mask:0xf bank_mask:0xf
	v_and_b32_e32 v7, 1, v5
	v_mov_b32_dpp v6, v5 quad_perm:[2,3,0,1] row_mask:0xf bank_mask:0xf
	v_cmp_lt_i64_e32 vcc_lo, v[1:2], v[3:4]
	v_cmp_eq_u32_e64 s0, 1, v7
	v_and_b32_e32 v6, 1, v6
	s_and_b32 vcc_lo, s0, vcc_lo
	v_cmp_eq_u32_e64 s1, 1, v6
	v_cndmask_b32_e32 v3, v3, v1, vcc_lo
	v_cndmask_b32_e32 v4, v4, v2, vcc_lo
	v_cndmask_b32_e64 v5, v5, 1, s1
	v_cndmask_b32_e64 v1, v1, v3, s1
	;; [unrolled: 1-line block ×3, first 2 shown]
	v_and_b32_e32 v7, 1, v5
	v_mov_b32_dpp v3, v1 row_ror:4 row_mask:0xf bank_mask:0xf
	v_mov_b32_dpp v4, v2 row_ror:4 row_mask:0xf bank_mask:0xf
	;; [unrolled: 1-line block ×3, first 2 shown]
	v_cmp_eq_u32_e64 s0, 1, v7
	v_cmp_lt_i64_e32 vcc_lo, v[1:2], v[3:4]
	v_and_b32_e32 v6, 1, v6
	s_and_b32 vcc_lo, s0, vcc_lo
	v_cmp_eq_u32_e64 s1, 1, v6
	v_cndmask_b32_e32 v3, v3, v1, vcc_lo
	v_cndmask_b32_e32 v4, v4, v2, vcc_lo
	v_cndmask_b32_e64 v5, v5, 1, s1
	v_cndmask_b32_e64 v1, v1, v3, s1
	;; [unrolled: 1-line block ×3, first 2 shown]
	v_and_b32_e32 v7, 1, v5
	v_mov_b32_dpp v3, v1 row_ror:8 row_mask:0xf bank_mask:0xf
	v_mov_b32_dpp v4, v2 row_ror:8 row_mask:0xf bank_mask:0xf
	;; [unrolled: 1-line block ×3, first 2 shown]
	v_cmp_eq_u32_e64 s0, 1, v7
	v_cmp_lt_i64_e32 vcc_lo, v[1:2], v[3:4]
	v_and_b32_e32 v6, 1, v6
	s_and_b32 vcc_lo, s0, vcc_lo
	v_cmp_eq_u32_e64 s1, 1, v6
	v_cndmask_b32_e32 v3, v3, v1, vcc_lo
	v_cndmask_b32_e32 v4, v4, v2, vcc_lo
	v_cndmask_b32_e64 v5, v5, 1, s1
	v_cndmask_b32_e64 v1, v1, v3, s1
	;; [unrolled: 1-line block ×3, first 2 shown]
	ds_swizzle_b32 v6, v5 offset:swizzle(BROADCAST,32,15)
	ds_swizzle_b32 v3, v1 offset:swizzle(BROADCAST,32,15)
	;; [unrolled: 1-line block ×3, first 2 shown]
	v_and_b32_e32 v7, 1, v5
	v_cmp_eq_u32_e64 s0, 1, v7
	v_mbcnt_lo_u32_b32 v7, -1, 0
	s_waitcnt lgkmcnt(2)
	v_and_b32_e32 v6, 1, v6
	s_waitcnt lgkmcnt(0)
	v_cmp_lt_i64_e32 vcc_lo, v[1:2], v[3:4]
	v_cmp_eq_u32_e64 s1, 1, v6
	v_mov_b32_e32 v6, 0
	s_and_b32 vcc_lo, s0, vcc_lo
	s_mov_b32 s0, exec_lo
	v_cndmask_b32_e32 v3, v3, v1, vcc_lo
	v_cndmask_b32_e32 v4, v4, v2, vcc_lo
	v_cndmask_b32_e64 v5, v5, 1, s1
	v_cndmask_b32_e64 v1, v1, v3, s1
	;; [unrolled: 1-line block ×3, first 2 shown]
	ds_bpermute_b32 v9, v6, v5 offset:124
	ds_bpermute_b32 v1, v6, v1 offset:124
	;; [unrolled: 1-line block ×3, first 2 shown]
	v_cmpx_eq_u32_e32 0, v7
	s_cbranch_execz .LBB168_28
; %bb.27:
	v_lshrrev_b32_e32 v3, 1, v0
	v_and_b32_e32 v3, 0x70, v3
	s_waitcnt lgkmcnt(2)
	ds_write_b8 v3, v9 offset:256
	s_waitcnt lgkmcnt(1)
	ds_write_b64 v3, v[1:2] offset:264
.LBB168_28:
	s_or_b32 exec_lo, exec_lo, s0
	s_mov_b32 s0, exec_lo
	s_waitcnt lgkmcnt(0)
	s_barrier
	buffer_gl0_inv
	v_cmpx_gt_u32_e32 32, v0
	s_cbranch_execz .LBB168_42
; %bb.29:
	v_and_b32_e32 v8, 7, v7
	v_lshlrev_b32_e32 v1, 4, v8
	v_cmp_ne_u32_e32 vcc_lo, 7, v8
	ds_read_u8 v10, v1 offset:256
	ds_read_b64 v[3:4], v1 offset:264
	v_add_co_ci_u32_e64 v2, null, 0, v7, vcc_lo
	v_lshlrev_b32_e32 v2, 2, v2
	s_waitcnt lgkmcnt(1)
	v_and_b32_e32 v1, 0xff, v10
	s_waitcnt lgkmcnt(0)
	ds_bpermute_b32 v5, v2, v3
	ds_bpermute_b32 v6, v2, v4
	;; [unrolled: 1-line block ×3, first 2 shown]
	s_waitcnt lgkmcnt(0)
	v_and_b32_e32 v1, v10, v11
	v_and_b32_e32 v1, 1, v1
	v_cmp_eq_u32_e32 vcc_lo, 1, v1
                                        ; implicit-def: $vgpr1_vgpr2
	s_and_saveexec_b32 s1, vcc_lo
	s_xor_b32 s1, exec_lo, s1
; %bb.30:
	v_cmp_lt_i64_e32 vcc_lo, v[5:6], v[3:4]
                                        ; implicit-def: $vgpr10
                                        ; implicit-def: $vgpr11
	v_cndmask_b32_e32 v2, v4, v6, vcc_lo
	v_cndmask_b32_e32 v1, v3, v5, vcc_lo
                                        ; implicit-def: $vgpr5_vgpr6
                                        ; implicit-def: $vgpr3_vgpr4
; %bb.31:
	s_or_saveexec_b32 s1, s1
	v_mov_b32_e32 v9, 1
	s_xor_b32 exec_lo, exec_lo, s1
; %bb.32:
	v_and_b32_e32 v1, 1, v10
	v_and_b32_e32 v9, 0xff, v11
	v_cmp_eq_u32_e32 vcc_lo, 1, v1
	v_cndmask_b32_e32 v2, v6, v4, vcc_lo
	v_cndmask_b32_e32 v1, v5, v3, vcc_lo
	v_cndmask_b32_e64 v9, v9, 1, vcc_lo
; %bb.33:
	s_or_b32 exec_lo, exec_lo, s1
	v_cmp_gt_u32_e32 vcc_lo, 6, v8
	v_cndmask_b32_e64 v3, 0, 2, vcc_lo
	v_add_lshl_u32 v3, v3, v7, 2
	ds_bpermute_b32 v8, v3, v9
	ds_bpermute_b32 v5, v3, v1
	;; [unrolled: 1-line block ×3, first 2 shown]
	s_waitcnt lgkmcnt(2)
	v_and_b32_e32 v3, v9, v8
	v_and_b32_e32 v3, 1, v3
	v_cmp_eq_u32_e32 vcc_lo, 1, v3
                                        ; implicit-def: $vgpr3_vgpr4
	s_and_saveexec_b32 s1, vcc_lo
	s_xor_b32 s1, exec_lo, s1
	s_cbranch_execz .LBB168_35
; %bb.34:
	s_waitcnt lgkmcnt(0)
	v_cmp_lt_i64_e32 vcc_lo, v[5:6], v[1:2]
                                        ; implicit-def: $vgpr9
                                        ; implicit-def: $vgpr8
	v_cndmask_b32_e32 v4, v2, v6, vcc_lo
	v_cndmask_b32_e32 v3, v1, v5, vcc_lo
                                        ; implicit-def: $vgpr5_vgpr6
                                        ; implicit-def: $vgpr1_vgpr2
.LBB168_35:
	s_or_saveexec_b32 s1, s1
	v_lshlrev_b32_e32 v10, 2, v7
	v_mov_b32_e32 v7, 1
	s_xor_b32 exec_lo, exec_lo, s1
	s_cbranch_execz .LBB168_37
; %bb.36:
	v_and_b32_e32 v3, 1, v9
	v_and_b32_e32 v7, 0xff, v8
	v_cmp_eq_u32_e32 vcc_lo, 1, v3
	s_waitcnt lgkmcnt(0)
	v_cndmask_b32_e32 v4, v6, v2, vcc_lo
	v_cndmask_b32_e32 v3, v5, v1, vcc_lo
	v_cndmask_b32_e64 v7, v7, 1, vcc_lo
.LBB168_37:
	s_or_b32 exec_lo, exec_lo, s1
	v_or_b32_e32 v1, 16, v10
	ds_bpermute_b32 v8, v1, v7
	s_waitcnt lgkmcnt(2)
	ds_bpermute_b32 v5, v1, v3
	s_waitcnt lgkmcnt(2)
	;; [unrolled: 2-line block ×3, first 2 shown]
	v_and_b32_e32 v1, v7, v8
	v_and_b32_e32 v1, 1, v1
	v_cmp_eq_u32_e32 vcc_lo, 1, v1
                                        ; implicit-def: $vgpr1_vgpr2
	s_and_saveexec_b32 s1, vcc_lo
	s_xor_b32 s1, exec_lo, s1
	s_cbranch_execz .LBB168_39
; %bb.38:
	s_waitcnt lgkmcnt(0)
	v_cmp_lt_i64_e32 vcc_lo, v[5:6], v[3:4]
                                        ; implicit-def: $vgpr7
                                        ; implicit-def: $vgpr8
	v_cndmask_b32_e32 v2, v4, v6, vcc_lo
	v_cndmask_b32_e32 v1, v3, v5, vcc_lo
                                        ; implicit-def: $vgpr5_vgpr6
                                        ; implicit-def: $vgpr3_vgpr4
.LBB168_39:
	s_or_saveexec_b32 s1, s1
	v_mov_b32_e32 v9, 1
	s_xor_b32 exec_lo, exec_lo, s1
	s_cbranch_execz .LBB168_41
; %bb.40:
	v_and_b32_e32 v1, 1, v7
	v_cmp_eq_u32_e32 vcc_lo, 1, v1
	s_waitcnt lgkmcnt(0)
	v_cndmask_b32_e32 v2, v6, v4, vcc_lo
	v_cndmask_b32_e32 v1, v5, v3, vcc_lo
	v_cndmask_b32_e64 v9, v8, 1, vcc_lo
.LBB168_41:
	s_or_b32 exec_lo, exec_lo, s1
.LBB168_42:
	s_or_b32 exec_lo, exec_lo, s0
	s_branch .LBB168_242
.LBB168_43:
                                        ; implicit-def: $vgpr3_vgpr4
                                        ; implicit-def: $vgpr5
                                        ; implicit-def: $vgpr1_vgpr2
	s_branch .LBB168_356
.LBB168_44:
                                        ; implicit-def: $vgpr1_vgpr2
                                        ; implicit-def: $vgpr17
	s_cbranch_execz .LBB168_167
; %bb.45:
	v_mov_b32_e32 v15, 0
	v_mov_b32_e32 v1, 0
	;; [unrolled: 1-line block ×6, first 2 shown]
	s_sub_i32 s27, s14, s8
	s_mov_b32 s0, exec_lo
	v_cmpx_gt_u32_e64 s27, v0
	s_cbranch_execz .LBB168_47
; %bb.46:
	v_lshlrev_b32_e32 v1, 2, v0
	s_clause 0x1
	global_load_dword v3, v1, s[10:11]
	global_load_dword v4, v1, s[22:23]
	v_add_co_u32 v1, s1, s28, v0
	v_add_co_ci_u32_e64 v2, null, s29, 0, s1
	s_waitcnt vmcnt(0)
	v_cmp_ne_u32_e32 vcc_lo, v3, v4
	v_cndmask_b32_e64 v17, 0, 1, vcc_lo
.LBB168_47:
	s_or_b32 exec_lo, exec_lo, s0
	v_or_b32_e32 v3, 0x100, v0
	v_cmp_gt_u32_e64 s9, s27, v3
	s_and_saveexec_b32 s0, s9
	s_cbranch_execz .LBB168_49
; %bb.48:
	v_lshlrev_b32_e32 v4, 2, v0
	v_add_co_u32 v15, s1, s28, v3
	v_add_co_ci_u32_e64 v16, null, s29, 0, s1
	s_waitcnt lgkmcnt(1)
	s_clause 0x1
	global_load_dword v5, v4, s[10:11] offset:1024
	global_load_dword v4, v4, s[22:23] offset:1024
	s_waitcnt vmcnt(0)
	v_cmp_ne_u32_e32 vcc_lo, v5, v4
	v_cndmask_b32_e64 v24, 0, 1, vcc_lo
.LBB168_49:
	s_or_b32 exec_lo, exec_lo, s0
	v_or_b32_e32 v3, 0x200, v0
	v_mov_b32_e32 v11, 0
	v_mov_b32_e32 v13, 0
	;; [unrolled: 1-line block ×5, first 2 shown]
	v_cmp_gt_u32_e64 s8, s27, v3
	v_mov_b32_e32 v23, 0
	s_and_saveexec_b32 s0, s8
	s_cbranch_execz .LBB168_51
; %bb.50:
	v_lshlrev_b32_e32 v4, 2, v3
	v_add_co_u32 v13, s1, s28, v3
	v_add_co_ci_u32_e64 v14, null, s29, 0, s1
	s_waitcnt lgkmcnt(1)
	s_clause 0x1
	global_load_dword v5, v4, s[10:11]
	global_load_dword v4, v4, s[22:23]
	s_waitcnt vmcnt(0)
	v_cmp_ne_u32_e32 vcc_lo, v5, v4
	v_cndmask_b32_e64 v23, 0, 1, vcc_lo
.LBB168_51:
	s_or_b32 exec_lo, exec_lo, s0
	v_or_b32_e32 v3, 0x300, v0
	v_cmp_gt_u32_e64 s3, s27, v3
	s_and_saveexec_b32 s0, s3
	s_cbranch_execz .LBB168_53
; %bb.52:
	v_lshlrev_b32_e32 v4, 2, v3
	v_add_co_u32 v11, s1, s28, v3
	v_add_co_ci_u32_e64 v12, null, s29, 0, s1
	s_waitcnt lgkmcnt(1)
	s_clause 0x1
	global_load_dword v5, v4, s[10:11]
	global_load_dword v4, v4, s[22:23]
	s_waitcnt vmcnt(0)
	v_cmp_ne_u32_e32 vcc_lo, v5, v4
	v_cndmask_b32_e64 v22, 0, 1, vcc_lo
.LBB168_53:
	s_or_b32 exec_lo, exec_lo, s0
	v_or_b32_e32 v3, 0x400, v0
	v_mov_b32_e32 v7, 0
	v_mov_b32_e32 v9, 0
	;; [unrolled: 1-line block ×5, first 2 shown]
	v_cmp_gt_u32_e64 s2, s27, v3
	v_mov_b32_e32 v21, 0
	s_and_saveexec_b32 s0, s2
	s_cbranch_execz .LBB168_55
; %bb.54:
	v_lshlrev_b32_e32 v4, 2, v3
	v_add_co_u32 v9, s1, s28, v3
	v_add_co_ci_u32_e64 v10, null, s29, 0, s1
	s_waitcnt lgkmcnt(1)
	s_clause 0x1
	global_load_dword v5, v4, s[10:11]
	global_load_dword v4, v4, s[22:23]
	s_waitcnt vmcnt(0)
	v_cmp_ne_u32_e32 vcc_lo, v5, v4
	v_cndmask_b32_e64 v21, 0, 1, vcc_lo
.LBB168_55:
	s_or_b32 exec_lo, exec_lo, s0
	v_or_b32_e32 v3, 0x500, v0
	v_cmp_gt_u32_e64 s1, s27, v3
	s_and_saveexec_b32 s0, s1
	s_cbranch_execz .LBB168_57
; %bb.56:
	v_lshlrev_b32_e32 v4, 2, v3
	v_add_co_u32 v7, s30, s28, v3
	v_add_co_ci_u32_e64 v8, null, s29, 0, s30
	s_waitcnt lgkmcnt(1)
	s_clause 0x1
	global_load_dword v5, v4, s[10:11]
	global_load_dword v4, v4, s[22:23]
	s_waitcnt vmcnt(0)
	v_cmp_ne_u32_e32 vcc_lo, v5, v4
	v_cndmask_b32_e64 v20, 0, 1, vcc_lo
.LBB168_57:
	s_or_b32 exec_lo, exec_lo, s0
	v_or_b32_e32 v25, 0x600, v0
	v_mov_b32_e32 v3, 0
	s_waitcnt lgkmcnt(0)
	v_mov_b32_e32 v5, 0
	v_mov_b32_e32 v4, 0
	;; [unrolled: 1-line block ×4, first 2 shown]
	v_cmp_gt_u32_e64 s0, s27, v25
	v_mov_b32_e32 v19, 0
	s_and_saveexec_b32 s30, s0
	s_cbranch_execz .LBB168_59
; %bb.58:
	v_lshlrev_b32_e32 v5, 2, v25
	s_clause 0x1
	global_load_dword v19, v5, s[10:11]
	global_load_dword v26, v5, s[22:23]
	v_add_co_u32 v5, s31, s28, v25
	v_add_co_ci_u32_e64 v6, null, s29, 0, s31
	s_waitcnt vmcnt(0)
	v_cmp_ne_u32_e32 vcc_lo, v19, v26
	v_cndmask_b32_e64 v19, 0, 1, vcc_lo
.LBB168_59:
	s_or_b32 exec_lo, exec_lo, s30
	v_or_b32_e32 v25, 0x700, v0
	v_cmp_gt_u32_e32 vcc_lo, s27, v25
	s_and_saveexec_b32 s30, vcc_lo
	s_cbranch_execnz .LBB168_78
; %bb.60:
	s_or_b32 exec_lo, exec_lo, s30
	s_and_saveexec_b32 s11, s9
	s_cbranch_execnz .LBB168_79
.LBB168_61:
	s_or_b32 exec_lo, exec_lo, s11
	s_and_saveexec_b32 s10, s8
	s_cbranch_execnz .LBB168_84
.LBB168_62:
	s_or_b32 exec_lo, exec_lo, s10
	s_and_saveexec_b32 s9, s3
	s_cbranch_execnz .LBB168_89
.LBB168_63:
	s_or_b32 exec_lo, exec_lo, s9
	s_and_saveexec_b32 s8, s2
	s_cbranch_execnz .LBB168_94
.LBB168_64:
	s_or_b32 exec_lo, exec_lo, s8
	s_and_saveexec_b32 s3, s1
	s_cbranch_execnz .LBB168_99
.LBB168_65:
	s_or_b32 exec_lo, exec_lo, s3
	s_and_saveexec_b32 s2, s0
	s_cbranch_execnz .LBB168_104
.LBB168_66:
	s_or_b32 exec_lo, exec_lo, s2
	s_and_saveexec_b32 s1, vcc_lo
	s_cbranch_execnz .LBB168_109
	s_branch .LBB168_114
.LBB168_67:
                                        ; implicit-def: $vgpr1_vgpr2
                                        ; implicit-def: $vgpr9
	s_cbranch_execz .LBB168_242
; %bb.68:
	v_mov_b32_e32 v7, 0
	v_mov_b32_e32 v1, 0
	;; [unrolled: 1-line block ×6, first 2 shown]
	s_sub_i32 s10, s14, s10
	s_mov_b32 s0, exec_lo
	v_cmpx_gt_u32_e64 s10, v0
	s_cbranch_execz .LBB168_70
; %bb.69:
	v_lshlrev_b32_e32 v1, 2, v0
	s_waitcnt lgkmcnt(1)
	global_load_dword v3, v1, s[2:3]
	s_waitcnt lgkmcnt(0)
	global_load_dword v4, v1, s[8:9]
	v_add_co_u32 v1, s1, s11, v0
	v_add_co_ci_u32_e64 v2, null, s23, 0, s1
	s_waitcnt vmcnt(0)
	v_cmp_ne_u32_e32 vcc_lo, v3, v4
	v_cndmask_b32_e64 v9, 0, 1, vcc_lo
.LBB168_70:
	s_or_b32 exec_lo, exec_lo, s0
	s_waitcnt lgkmcnt(1)
	v_or_b32_e32 v3, 0x100, v0
	v_cmp_gt_u32_e64 s1, s10, v3
	s_and_saveexec_b32 s0, s1
	s_cbranch_execz .LBB168_72
; %bb.71:
	s_waitcnt lgkmcnt(0)
	v_lshlrev_b32_e32 v4, 2, v0
	v_add_co_u32 v7, s26, s11, v3
	v_add_co_ci_u32_e64 v8, null, s23, 0, s26
	s_clause 0x1
	global_load_dword v5, v4, s[2:3] offset:1024
	global_load_dword v4, v4, s[8:9] offset:1024
	s_waitcnt vmcnt(0)
	v_cmp_ne_u32_e32 vcc_lo, v5, v4
	v_cndmask_b32_e64 v12, 0, 1, vcc_lo
.LBB168_72:
	s_or_b32 exec_lo, exec_lo, s0
	v_or_b32_e32 v13, 0x200, v0
	s_waitcnt lgkmcnt(0)
	v_mov_b32_e32 v3, 0
	v_mov_b32_e32 v5, 0
	;; [unrolled: 1-line block ×5, first 2 shown]
	v_cmp_gt_u32_e64 s0, s10, v13
	v_mov_b32_e32 v11, 0
	s_and_saveexec_b32 s26, s0
	s_cbranch_execz .LBB168_74
; %bb.73:
	v_lshlrev_b32_e32 v5, 2, v13
	s_clause 0x1
	global_load_dword v11, v5, s[2:3]
	global_load_dword v14, v5, s[8:9]
	v_add_co_u32 v5, s27, s11, v13
	v_add_co_ci_u32_e64 v6, null, s23, 0, s27
	s_waitcnt vmcnt(0)
	v_cmp_ne_u32_e32 vcc_lo, v11, v14
	v_cndmask_b32_e64 v11, 0, 1, vcc_lo
.LBB168_74:
	s_or_b32 exec_lo, exec_lo, s26
	v_or_b32_e32 v13, 0x300, v0
	v_cmp_gt_u32_e32 vcc_lo, s10, v13
	s_and_saveexec_b32 s26, vcc_lo
	s_cbranch_execnz .LBB168_173
; %bb.75:
	s_or_b32 exec_lo, exec_lo, s26
	s_and_saveexec_b32 s3, s1
	s_cbranch_execnz .LBB168_174
.LBB168_76:
	s_or_b32 exec_lo, exec_lo, s3
	s_and_saveexec_b32 s2, s0
	s_cbranch_execnz .LBB168_179
.LBB168_77:
	s_or_b32 exec_lo, exec_lo, s2
	s_and_saveexec_b32 s1, vcc_lo
	s_cbranch_execnz .LBB168_184
	s_branch .LBB168_189
.LBB168_78:
	v_lshlrev_b32_e32 v3, 2, v25
	s_clause 0x1
	global_load_dword v18, v3, s[10:11]
	global_load_dword v26, v3, s[22:23]
	v_add_co_u32 v3, s10, s28, v25
	v_add_co_ci_u32_e64 v4, null, s29, 0, s10
	s_waitcnt vmcnt(0)
	v_cmp_ne_u32_e64 s10, v18, v26
	v_cndmask_b32_e64 v18, 0, 1, s10
	s_or_b32 exec_lo, exec_lo, s30
	s_and_saveexec_b32 s11, s9
	s_cbranch_execz .LBB168_61
.LBB168_79:
	v_and_b32_e32 v17, 1, v17
	v_and_b32_e32 v25, 1, v24
	v_cmp_eq_u32_e64 s9, 1, v17
	v_cmp_eq_u32_e64 s10, 1, v25
                                        ; implicit-def: $vgpr17
	s_and_b32 s10, s9, s10
	s_xor_b32 s10, s10, -1
	s_and_saveexec_b32 s22, s10
	s_xor_b32 s10, exec_lo, s22
; %bb.80:
	v_and_b32_e32 v17, 0xffff, v24
	v_cndmask_b32_e64 v2, v16, v2, s9
	v_cndmask_b32_e64 v1, v15, v1, s9
                                        ; implicit-def: $vgpr15_vgpr16
	v_cndmask_b32_e64 v17, v17, 1, s9
; %bb.81:
	s_andn2_saveexec_b32 s10, s10
; %bb.82:
	v_cmp_lt_i64_e64 s9, v[15:16], v[1:2]
	v_mov_b32_e32 v17, 1
	v_cndmask_b32_e64 v2, v2, v16, s9
	v_cndmask_b32_e64 v1, v1, v15, s9
; %bb.83:
	s_or_b32 exec_lo, exec_lo, s10
	s_or_b32 exec_lo, exec_lo, s11
	s_and_saveexec_b32 s10, s8
	s_cbranch_execz .LBB168_62
.LBB168_84:
	v_and_b32_e32 v15, 1, v17
	v_and_b32_e32 v16, 1, v23
                                        ; implicit-def: $vgpr17
	v_cmp_eq_u32_e64 s8, 1, v15
	v_cmp_eq_u32_e64 s9, 1, v16
	s_and_b32 s9, s8, s9
	s_xor_b32 s9, s9, -1
	s_and_saveexec_b32 s11, s9
	s_xor_b32 s9, exec_lo, s11
; %bb.85:
	v_and_b32_e32 v15, 0xffff, v23
	v_cndmask_b32_e64 v2, v14, v2, s8
	v_cndmask_b32_e64 v1, v13, v1, s8
                                        ; implicit-def: $vgpr13_vgpr14
	v_cndmask_b32_e64 v17, v15, 1, s8
; %bb.86:
	s_andn2_saveexec_b32 s9, s9
; %bb.87:
	v_cmp_lt_i64_e64 s8, v[13:14], v[1:2]
	v_mov_b32_e32 v17, 1
	v_cndmask_b32_e64 v2, v2, v14, s8
	v_cndmask_b32_e64 v1, v1, v13, s8
; %bb.88:
	s_or_b32 exec_lo, exec_lo, s9
	s_or_b32 exec_lo, exec_lo, s10
	s_and_saveexec_b32 s9, s3
	s_cbranch_execz .LBB168_63
.LBB168_89:
	v_and_b32_e32 v13, 1, v17
	v_and_b32_e32 v14, 1, v22
                                        ; implicit-def: $vgpr17
	v_cmp_eq_u32_e64 s3, 1, v13
	v_cmp_eq_u32_e64 s8, 1, v14
	s_and_b32 s8, s3, s8
	s_xor_b32 s8, s8, -1
	s_and_saveexec_b32 s10, s8
	s_xor_b32 s8, exec_lo, s10
; %bb.90:
	v_and_b32_e32 v13, 0xffff, v22
	v_cndmask_b32_e64 v2, v12, v2, s3
	v_cndmask_b32_e64 v1, v11, v1, s3
                                        ; implicit-def: $vgpr11_vgpr12
	v_cndmask_b32_e64 v17, v13, 1, s3
; %bb.91:
	s_andn2_saveexec_b32 s8, s8
; %bb.92:
	v_cmp_lt_i64_e64 s3, v[11:12], v[1:2]
	v_mov_b32_e32 v17, 1
	v_cndmask_b32_e64 v2, v2, v12, s3
	v_cndmask_b32_e64 v1, v1, v11, s3
; %bb.93:
	s_or_b32 exec_lo, exec_lo, s8
	s_or_b32 exec_lo, exec_lo, s9
	s_and_saveexec_b32 s8, s2
	s_cbranch_execz .LBB168_64
.LBB168_94:
	v_and_b32_e32 v11, 1, v17
	v_and_b32_e32 v12, 1, v21
                                        ; implicit-def: $vgpr17
	v_cmp_eq_u32_e64 s2, 1, v11
	v_cmp_eq_u32_e64 s3, 1, v12
	s_and_b32 s3, s2, s3
	s_xor_b32 s3, s3, -1
	s_and_saveexec_b32 s9, s3
	s_xor_b32 s3, exec_lo, s9
; %bb.95:
	v_and_b32_e32 v11, 0xffff, v21
	v_cndmask_b32_e64 v2, v10, v2, s2
	v_cndmask_b32_e64 v1, v9, v1, s2
                                        ; implicit-def: $vgpr9_vgpr10
	v_cndmask_b32_e64 v17, v11, 1, s2
; %bb.96:
	s_andn2_saveexec_b32 s3, s3
; %bb.97:
	v_cmp_lt_i64_e64 s2, v[9:10], v[1:2]
	v_mov_b32_e32 v17, 1
	v_cndmask_b32_e64 v2, v2, v10, s2
	v_cndmask_b32_e64 v1, v1, v9, s2
; %bb.98:
	s_or_b32 exec_lo, exec_lo, s3
	s_or_b32 exec_lo, exec_lo, s8
	s_and_saveexec_b32 s3, s1
	s_cbranch_execz .LBB168_65
.LBB168_99:
	v_and_b32_e32 v9, 1, v17
	v_and_b32_e32 v10, 1, v20
                                        ; implicit-def: $vgpr17
	v_cmp_eq_u32_e64 s1, 1, v9
	v_cmp_eq_u32_e64 s2, 1, v10
	s_and_b32 s2, s1, s2
	s_xor_b32 s2, s2, -1
	s_and_saveexec_b32 s8, s2
	s_xor_b32 s2, exec_lo, s8
; %bb.100:
	v_and_b32_e32 v9, 0xffff, v20
	v_cndmask_b32_e64 v2, v8, v2, s1
	v_cndmask_b32_e64 v1, v7, v1, s1
                                        ; implicit-def: $vgpr7_vgpr8
	v_cndmask_b32_e64 v17, v9, 1, s1
; %bb.101:
	s_andn2_saveexec_b32 s2, s2
; %bb.102:
	v_cmp_lt_i64_e64 s1, v[7:8], v[1:2]
	v_mov_b32_e32 v17, 1
	v_cndmask_b32_e64 v2, v2, v8, s1
	v_cndmask_b32_e64 v1, v1, v7, s1
; %bb.103:
	s_or_b32 exec_lo, exec_lo, s2
	s_or_b32 exec_lo, exec_lo, s3
	s_and_saveexec_b32 s2, s0
	s_cbranch_execz .LBB168_66
.LBB168_104:
	v_and_b32_e32 v7, 1, v17
	v_and_b32_e32 v8, 1, v19
                                        ; implicit-def: $vgpr17
	v_cmp_eq_u32_e64 s0, 1, v7
	v_cmp_eq_u32_e64 s1, 1, v8
	s_and_b32 s1, s0, s1
	s_xor_b32 s1, s1, -1
	s_and_saveexec_b32 s3, s1
	s_xor_b32 s1, exec_lo, s3
; %bb.105:
	v_and_b32_e32 v7, 0xffff, v19
	v_cndmask_b32_e64 v2, v6, v2, s0
	v_cndmask_b32_e64 v1, v5, v1, s0
                                        ; implicit-def: $vgpr5_vgpr6
	v_cndmask_b32_e64 v17, v7, 1, s0
; %bb.106:
	s_andn2_saveexec_b32 s1, s1
; %bb.107:
	v_cmp_lt_i64_e64 s0, v[5:6], v[1:2]
	v_mov_b32_e32 v17, 1
	v_cndmask_b32_e64 v2, v2, v6, s0
	v_cndmask_b32_e64 v1, v1, v5, s0
; %bb.108:
	s_or_b32 exec_lo, exec_lo, s1
	s_or_b32 exec_lo, exec_lo, s2
	s_and_saveexec_b32 s1, vcc_lo
	s_cbranch_execz .LBB168_114
.LBB168_109:
	v_and_b32_e32 v5, 1, v17
	v_and_b32_e32 v6, 1, v18
                                        ; implicit-def: $vgpr17
	v_cmp_eq_u32_e32 vcc_lo, 1, v5
	v_cmp_eq_u32_e64 s0, 1, v6
	s_and_b32 s0, vcc_lo, s0
	s_xor_b32 s0, s0, -1
	s_and_saveexec_b32 s2, s0
	s_xor_b32 s0, exec_lo, s2
; %bb.110:
	v_and_b32_e32 v5, 0xffff, v18
	v_cndmask_b32_e32 v2, v4, v2, vcc_lo
	v_cndmask_b32_e32 v1, v3, v1, vcc_lo
                                        ; implicit-def: $vgpr3_vgpr4
	v_cndmask_b32_e64 v17, v5, 1, vcc_lo
; %bb.111:
	s_andn2_saveexec_b32 s0, s0
; %bb.112:
	v_cmp_lt_i64_e32 vcc_lo, v[3:4], v[1:2]
	v_mov_b32_e32 v17, 1
	v_cndmask_b32_e32 v2, v2, v4, vcc_lo
	v_cndmask_b32_e32 v1, v1, v3, vcc_lo
; %bb.113:
	s_or_b32 exec_lo, exec_lo, s0
.LBB168_114:
	s_or_b32 exec_lo, exec_lo, s1
	v_mbcnt_lo_u32_b32 v5, -1, 0
	v_and_b32_e32 v6, 0xe0, v0
	s_min_u32 s0, s27, 0x100
	s_mov_b32 s1, exec_lo
	v_cmp_ne_u32_e32 vcc_lo, 31, v5
	v_sub_nc_u32_e64 v6, s0, v6 clamp
	v_add_nc_u32_e32 v8, 1, v5
	v_add_co_ci_u32_e64 v3, null, 0, v5, vcc_lo
	v_lshlrev_b32_e32 v4, 2, v3
	ds_bpermute_b32 v7, v4, v17
	ds_bpermute_b32 v3, v4, v1
	;; [unrolled: 1-line block ×3, first 2 shown]
	v_cmpx_lt_u32_e64 v8, v6
	s_xor_b32 s1, exec_lo, s1
	s_cbranch_execz .LBB168_120
; %bb.115:
	s_waitcnt lgkmcnt(2)
	v_and_b32_e32 v8, v7, v17
	s_mov_b32 s2, exec_lo
	v_cmpx_ne_u32_e32 0, v8
	s_xor_b32 s2, exec_lo, s2
	s_cbranch_execz .LBB168_117
; %bb.116:
	s_waitcnt lgkmcnt(0)
	v_cmp_lt_i64_e32 vcc_lo, v[3:4], v[1:2]
                                        ; implicit-def: $vgpr17
                                        ; implicit-def: $vgpr7
	v_cndmask_b32_e32 v2, v2, v4, vcc_lo
	v_cndmask_b32_e32 v1, v1, v3, vcc_lo
                                        ; implicit-def: $vgpr3_vgpr4
.LBB168_117:
	s_or_saveexec_b32 s2, s2
	v_mov_b32_e32 v8, 1
	s_xor_b32 exec_lo, exec_lo, s2
	s_cbranch_execz .LBB168_119
; %bb.118:
	v_and_b32_e32 v8, 1, v17
	v_and_b32_e32 v7, 0xff, v7
	v_cmp_eq_u32_e32 vcc_lo, 1, v8
	s_waitcnt lgkmcnt(0)
	v_cndmask_b32_e32 v2, v4, v2, vcc_lo
	v_cndmask_b32_e32 v1, v3, v1, vcc_lo
	v_cndmask_b32_e64 v8, v7, 1, vcc_lo
.LBB168_119:
	s_or_b32 exec_lo, exec_lo, s2
	v_mov_b32_e32 v17, v8
.LBB168_120:
	s_or_b32 exec_lo, exec_lo, s1
	v_cmp_gt_u32_e32 vcc_lo, 30, v5
	v_add_nc_u32_e32 v8, 2, v5
	s_mov_b32 s1, exec_lo
	s_waitcnt lgkmcnt(1)
	v_cndmask_b32_e64 v3, 0, 2, vcc_lo
	s_waitcnt lgkmcnt(0)
	v_add_lshl_u32 v4, v3, v5, 2
	ds_bpermute_b32 v7, v4, v17
	ds_bpermute_b32 v3, v4, v1
	ds_bpermute_b32 v4, v4, v2
	v_cmpx_lt_u32_e64 v8, v6
	s_cbranch_execz .LBB168_126
; %bb.121:
	s_waitcnt lgkmcnt(2)
	v_and_b32_e32 v8, v17, v7
	s_mov_b32 s2, exec_lo
	v_and_b32_e32 v8, 1, v8
	v_cmpx_eq_u32_e32 1, v8
	s_xor_b32 s2, exec_lo, s2
	s_cbranch_execz .LBB168_123
; %bb.122:
	s_waitcnt lgkmcnt(0)
	v_cmp_lt_i64_e32 vcc_lo, v[3:4], v[1:2]
                                        ; implicit-def: $vgpr17
                                        ; implicit-def: $vgpr7
	v_cndmask_b32_e32 v2, v2, v4, vcc_lo
	v_cndmask_b32_e32 v1, v1, v3, vcc_lo
                                        ; implicit-def: $vgpr3_vgpr4
.LBB168_123:
	s_or_saveexec_b32 s2, s2
	v_mov_b32_e32 v8, 1
	s_xor_b32 exec_lo, exec_lo, s2
	s_cbranch_execz .LBB168_125
; %bb.124:
	v_and_b32_e32 v8, 1, v17
	v_and_b32_e32 v7, 0xff, v7
	v_cmp_eq_u32_e32 vcc_lo, 1, v8
	s_waitcnt lgkmcnt(0)
	v_cndmask_b32_e32 v2, v4, v2, vcc_lo
	v_cndmask_b32_e32 v1, v3, v1, vcc_lo
	v_cndmask_b32_e64 v8, v7, 1, vcc_lo
.LBB168_125:
	s_or_b32 exec_lo, exec_lo, s2
	v_mov_b32_e32 v17, v8
.LBB168_126:
	s_or_b32 exec_lo, exec_lo, s1
	v_cmp_gt_u32_e32 vcc_lo, 28, v5
	v_add_nc_u32_e32 v8, 4, v5
	s_mov_b32 s1, exec_lo
	s_waitcnt lgkmcnt(1)
	v_cndmask_b32_e64 v3, 0, 4, vcc_lo
	s_waitcnt lgkmcnt(0)
	v_add_lshl_u32 v4, v3, v5, 2
	ds_bpermute_b32 v7, v4, v17
	ds_bpermute_b32 v3, v4, v1
	ds_bpermute_b32 v4, v4, v2
	v_cmpx_lt_u32_e64 v8, v6
	s_cbranch_execz .LBB168_132
; %bb.127:
	s_waitcnt lgkmcnt(2)
	v_and_b32_e32 v8, v17, v7
	s_mov_b32 s2, exec_lo
	v_and_b32_e32 v8, 1, v8
	v_cmpx_eq_u32_e32 1, v8
	s_xor_b32 s2, exec_lo, s2
	s_cbranch_execz .LBB168_129
; %bb.128:
	s_waitcnt lgkmcnt(0)
	v_cmp_lt_i64_e32 vcc_lo, v[3:4], v[1:2]
                                        ; implicit-def: $vgpr17
                                        ; implicit-def: $vgpr7
	v_cndmask_b32_e32 v2, v2, v4, vcc_lo
	v_cndmask_b32_e32 v1, v1, v3, vcc_lo
                                        ; implicit-def: $vgpr3_vgpr4
.LBB168_129:
	s_or_saveexec_b32 s2, s2
	v_mov_b32_e32 v8, 1
	s_xor_b32 exec_lo, exec_lo, s2
	s_cbranch_execz .LBB168_131
; %bb.130:
	v_and_b32_e32 v8, 1, v17
	v_and_b32_e32 v7, 0xff, v7
	v_cmp_eq_u32_e32 vcc_lo, 1, v8
	s_waitcnt lgkmcnt(0)
	v_cndmask_b32_e32 v2, v4, v2, vcc_lo
	v_cndmask_b32_e32 v1, v3, v1, vcc_lo
	v_cndmask_b32_e64 v8, v7, 1, vcc_lo
.LBB168_131:
	s_or_b32 exec_lo, exec_lo, s2
	v_mov_b32_e32 v17, v8
.LBB168_132:
	;; [unrolled: 46-line block ×3, first 2 shown]
	s_or_b32 exec_lo, exec_lo, s1
	s_waitcnt lgkmcnt(2)
	v_lshlrev_b32_e32 v7, 2, v5
	v_add_nc_u32_e32 v9, 16, v5
	s_waitcnt lgkmcnt(0)
	v_or_b32_e32 v4, 64, v7
	v_cmp_lt_u32_e32 vcc_lo, v9, v6
	v_mov_b32_e32 v6, v17
	ds_bpermute_b32 v8, v4, v17
	ds_bpermute_b32 v3, v4, v1
	;; [unrolled: 1-line block ×3, first 2 shown]
	s_and_saveexec_b32 s1, vcc_lo
	s_cbranch_execz .LBB168_144
; %bb.139:
	s_waitcnt lgkmcnt(2)
	v_and_b32_e32 v6, v17, v8
	s_mov_b32 s2, exec_lo
	v_and_b32_e32 v6, 1, v6
	v_cmpx_eq_u32_e32 1, v6
	s_xor_b32 s2, exec_lo, s2
	s_cbranch_execz .LBB168_141
; %bb.140:
	s_waitcnt lgkmcnt(0)
	v_cmp_lt_i64_e32 vcc_lo, v[3:4], v[1:2]
                                        ; implicit-def: $vgpr17
                                        ; implicit-def: $vgpr8
	v_cndmask_b32_e32 v2, v2, v4, vcc_lo
	v_cndmask_b32_e32 v1, v1, v3, vcc_lo
                                        ; implicit-def: $vgpr3_vgpr4
.LBB168_141:
	s_or_saveexec_b32 s2, s2
	v_mov_b32_e32 v6, 1
	s_xor_b32 exec_lo, exec_lo, s2
	s_cbranch_execz .LBB168_143
; %bb.142:
	v_and_b32_e32 v6, 1, v17
	v_cmp_eq_u32_e32 vcc_lo, 1, v6
	v_cndmask_b32_e64 v6, v8, 1, vcc_lo
	s_waitcnt lgkmcnt(0)
	v_cndmask_b32_e32 v2, v4, v2, vcc_lo
	v_cndmask_b32_e32 v1, v3, v1, vcc_lo
.LBB168_143:
	s_or_b32 exec_lo, exec_lo, s2
	v_and_b32_e32 v17, 0xff, v6
.LBB168_144:
	s_or_b32 exec_lo, exec_lo, s1
	s_mov_b32 s1, exec_lo
	v_cmpx_eq_u32_e32 0, v5
	s_cbranch_execz .LBB168_146
; %bb.145:
	s_waitcnt lgkmcnt(1)
	v_lshrrev_b32_e32 v3, 1, v0
	v_and_b32_e32 v3, 0x70, v3
	ds_write_b8 v3, v6 offset:512
	ds_write_b64 v3, v[1:2] offset:520
.LBB168_146:
	s_or_b32 exec_lo, exec_lo, s1
	s_mov_b32 s1, exec_lo
	s_waitcnt lgkmcnt(0)
	s_barrier
	buffer_gl0_inv
	v_cmpx_gt_u32_e32 8, v0
	s_cbranch_execz .LBB168_166
; %bb.147:
	v_lshlrev_b32_e32 v1, 4, v5
	v_and_b32_e32 v6, 7, v5
	s_add_i32 s0, s0, 31
	s_mov_b32 s2, exec_lo
	s_lshr_b32 s0, s0, 5
	ds_read_u8 v8, v1 offset:512
	ds_read_b64 v[1:2], v1 offset:520
	v_cmp_ne_u32_e32 vcc_lo, 7, v6
	v_add_nc_u32_e32 v10, 1, v6
	v_add_co_ci_u32_e64 v3, null, 0, v5, vcc_lo
	v_lshlrev_b32_e32 v4, 2, v3
	s_waitcnt lgkmcnt(1)
	v_and_b32_e32 v17, 0xff, v8
	s_waitcnt lgkmcnt(0)
	ds_bpermute_b32 v3, v4, v1
	ds_bpermute_b32 v9, v4, v17
	;; [unrolled: 1-line block ×3, first 2 shown]
	v_cmpx_gt_u32_e64 s0, v10
	s_cbranch_execz .LBB168_153
; %bb.148:
	s_waitcnt lgkmcnt(1)
	v_and_b32_e32 v10, v17, v9
	s_mov_b32 s3, exec_lo
	v_and_b32_e32 v10, 1, v10
	v_cmpx_eq_u32_e32 1, v10
	s_xor_b32 s3, exec_lo, s3
	s_cbranch_execz .LBB168_150
; %bb.149:
	s_waitcnt lgkmcnt(0)
	v_cmp_lt_i64_e32 vcc_lo, v[3:4], v[1:2]
                                        ; implicit-def: $vgpr8
                                        ; implicit-def: $vgpr9
	v_cndmask_b32_e32 v2, v2, v4, vcc_lo
	v_cndmask_b32_e32 v1, v1, v3, vcc_lo
                                        ; implicit-def: $vgpr3_vgpr4
.LBB168_150:
	s_or_saveexec_b32 s3, s3
	v_mov_b32_e32 v17, 1
	s_xor_b32 exec_lo, exec_lo, s3
	s_cbranch_execz .LBB168_152
; %bb.151:
	v_and_b32_e32 v8, 1, v8
	v_cmp_eq_u32_e32 vcc_lo, 1, v8
	v_and_b32_e32 v8, 0xff, v9
	s_waitcnt lgkmcnt(0)
	v_cndmask_b32_e32 v2, v4, v2, vcc_lo
	v_cndmask_b32_e32 v1, v3, v1, vcc_lo
	v_cndmask_b32_e64 v17, v8, 1, vcc_lo
.LBB168_152:
	s_or_b32 exec_lo, exec_lo, s3
.LBB168_153:
	s_or_b32 exec_lo, exec_lo, s2
	v_cmp_gt_u32_e32 vcc_lo, 6, v6
	v_add_nc_u32_e32 v8, 2, v6
	s_mov_b32 s2, exec_lo
	s_waitcnt lgkmcnt(2)
	v_cndmask_b32_e64 v3, 0, 2, vcc_lo
	s_waitcnt lgkmcnt(0)
	v_add_lshl_u32 v4, v3, v5, 2
	ds_bpermute_b32 v5, v4, v17
	ds_bpermute_b32 v3, v4, v1
	;; [unrolled: 1-line block ×3, first 2 shown]
	v_cmpx_gt_u32_e64 s0, v8
	s_cbranch_execz .LBB168_159
; %bb.154:
	s_waitcnt lgkmcnt(2)
	v_and_b32_e32 v8, v17, v5
	s_mov_b32 s3, exec_lo
	v_and_b32_e32 v8, 1, v8
	v_cmpx_eq_u32_e32 1, v8
	s_xor_b32 s3, exec_lo, s3
	s_cbranch_execz .LBB168_156
; %bb.155:
	s_waitcnt lgkmcnt(0)
	v_cmp_lt_i64_e32 vcc_lo, v[3:4], v[1:2]
                                        ; implicit-def: $vgpr17
                                        ; implicit-def: $vgpr5
	v_cndmask_b32_e32 v2, v2, v4, vcc_lo
	v_cndmask_b32_e32 v1, v1, v3, vcc_lo
                                        ; implicit-def: $vgpr3_vgpr4
.LBB168_156:
	s_or_saveexec_b32 s3, s3
	v_mov_b32_e32 v8, 1
	s_xor_b32 exec_lo, exec_lo, s3
	s_cbranch_execz .LBB168_158
; %bb.157:
	v_and_b32_e32 v8, 1, v17
	v_and_b32_e32 v5, 0xff, v5
	v_cmp_eq_u32_e32 vcc_lo, 1, v8
	s_waitcnt lgkmcnt(0)
	v_cndmask_b32_e32 v2, v4, v2, vcc_lo
	v_cndmask_b32_e32 v1, v3, v1, vcc_lo
	v_cndmask_b32_e64 v8, v5, 1, vcc_lo
.LBB168_158:
	s_or_b32 exec_lo, exec_lo, s3
	v_mov_b32_e32 v17, v8
.LBB168_159:
	s_or_b32 exec_lo, exec_lo, s2
	s_waitcnt lgkmcnt(0)
	v_or_b32_e32 v4, 16, v7
	v_add_nc_u32_e32 v6, 4, v6
	ds_bpermute_b32 v5, v4, v17
	ds_bpermute_b32 v3, v4, v1
	;; [unrolled: 1-line block ×3, first 2 shown]
	v_cmp_gt_u32_e32 vcc_lo, s0, v6
	s_and_saveexec_b32 s0, vcc_lo
	s_cbranch_execz .LBB168_165
; %bb.160:
	s_waitcnt lgkmcnt(2)
	v_and_b32_e32 v6, v17, v5
	s_mov_b32 s2, exec_lo
	v_and_b32_e32 v6, 1, v6
	v_cmpx_eq_u32_e32 1, v6
	s_xor_b32 s2, exec_lo, s2
	s_cbranch_execz .LBB168_162
; %bb.161:
	s_waitcnt lgkmcnt(0)
	v_cmp_lt_i64_e32 vcc_lo, v[3:4], v[1:2]
                                        ; implicit-def: $vgpr17
                                        ; implicit-def: $vgpr5
	v_cndmask_b32_e32 v2, v2, v4, vcc_lo
	v_cndmask_b32_e32 v1, v1, v3, vcc_lo
                                        ; implicit-def: $vgpr3_vgpr4
.LBB168_162:
	s_or_saveexec_b32 s2, s2
	v_mov_b32_e32 v6, 1
	s_xor_b32 exec_lo, exec_lo, s2
	s_cbranch_execz .LBB168_164
; %bb.163:
	v_and_b32_e32 v6, 1, v17
	v_cmp_eq_u32_e32 vcc_lo, 1, v6
	s_waitcnt lgkmcnt(0)
	v_cndmask_b32_e32 v2, v4, v2, vcc_lo
	v_cndmask_b32_e32 v1, v3, v1, vcc_lo
	v_cndmask_b32_e64 v6, v5, 1, vcc_lo
.LBB168_164:
	s_or_b32 exec_lo, exec_lo, s2
	v_mov_b32_e32 v17, v6
.LBB168_165:
	s_or_b32 exec_lo, exec_lo, s0
.LBB168_166:
	s_or_b32 exec_lo, exec_lo, s1
.LBB168_167:
	s_mov_b32 s22, 0
                                        ; implicit-def: $vgpr3_vgpr4
                                        ; implicit-def: $vgpr5
	s_mov_b32 s0, exec_lo
	v_cmpx_eq_u32_e32 0, v0
	s_xor_b32 s2, exec_lo, s0
	s_cbranch_execz .LBB168_171
; %bb.168:
	s_waitcnt lgkmcnt(0)
	v_mov_b32_e32 v3, s20
	v_mov_b32_e32 v4, s21
	;; [unrolled: 1-line block ×3, first 2 shown]
	s_cmp_eq_u64 s[14:15], 0
	s_cbranch_scc1 .LBB168_170
; %bb.169:
	v_and_b32_e32 v3, 1, v17
	v_cmp_gt_i64_e32 vcc_lo, s[20:21], v[1:2]
	s_bitcmp1_b32 s24, 0
	s_cselect_b32 s1, -1, 0
	v_cmp_eq_u32_e64 s0, 1, v3
	v_cndmask_b32_e64 v5, v17, 1, s1
	s_and_b32 vcc_lo, s0, vcc_lo
	v_cndmask_b32_e32 v3, s20, v1, vcc_lo
	v_cndmask_b32_e32 v4, s21, v2, vcc_lo
	v_cndmask_b32_e64 v3, v1, v3, s1
	v_cndmask_b32_e64 v4, v2, v4, s1
.LBB168_170:
	s_mov_b32 s22, exec_lo
.LBB168_171:
	s_or_b32 exec_lo, exec_lo, s2
	v_mov_b32_e32 v1, s6
	v_mov_b32_e32 v2, s7
	s_and_b32 vcc_lo, exec_lo, s26
	s_cbranch_vccnz .LBB168_24
.LBB168_172:
	s_branch .LBB168_356
.LBB168_173:
	v_lshlrev_b32_e32 v3, 2, v13
	s_clause 0x1
	global_load_dword v10, v3, s[2:3]
	global_load_dword v14, v3, s[8:9]
	v_add_co_u32 v3, s2, s11, v13
	v_add_co_ci_u32_e64 v4, null, s23, 0, s2
	s_waitcnt vmcnt(0)
	v_cmp_ne_u32_e64 s2, v10, v14
	v_cndmask_b32_e64 v10, 0, 1, s2
	s_or_b32 exec_lo, exec_lo, s26
	s_and_saveexec_b32 s3, s1
	s_cbranch_execz .LBB168_76
.LBB168_174:
	v_and_b32_e32 v9, 1, v9
	v_and_b32_e32 v13, 1, v12
	v_cmp_eq_u32_e64 s1, 1, v9
	v_cmp_eq_u32_e64 s2, 1, v13
                                        ; implicit-def: $vgpr9
	s_and_b32 s2, s1, s2
	s_xor_b32 s2, s2, -1
	s_and_saveexec_b32 s8, s2
	s_xor_b32 s2, exec_lo, s8
; %bb.175:
	v_and_b32_e32 v9, 0xffff, v12
	v_cndmask_b32_e64 v2, v8, v2, s1
	v_cndmask_b32_e64 v1, v7, v1, s1
                                        ; implicit-def: $vgpr7_vgpr8
	v_cndmask_b32_e64 v9, v9, 1, s1
; %bb.176:
	s_andn2_saveexec_b32 s2, s2
; %bb.177:
	v_cmp_lt_i64_e64 s1, v[7:8], v[1:2]
	v_mov_b32_e32 v9, 1
	v_cndmask_b32_e64 v2, v2, v8, s1
	v_cndmask_b32_e64 v1, v1, v7, s1
; %bb.178:
	s_or_b32 exec_lo, exec_lo, s2
	s_or_b32 exec_lo, exec_lo, s3
	s_and_saveexec_b32 s2, s0
	s_cbranch_execz .LBB168_77
.LBB168_179:
	v_and_b32_e32 v7, 1, v9
	v_and_b32_e32 v8, 1, v11
                                        ; implicit-def: $vgpr9
	v_cmp_eq_u32_e64 s0, 1, v7
	v_cmp_eq_u32_e64 s1, 1, v8
	s_and_b32 s1, s0, s1
	s_xor_b32 s1, s1, -1
	s_and_saveexec_b32 s3, s1
	s_xor_b32 s1, exec_lo, s3
; %bb.180:
	v_and_b32_e32 v7, 0xffff, v11
	v_cndmask_b32_e64 v2, v6, v2, s0
	v_cndmask_b32_e64 v1, v5, v1, s0
                                        ; implicit-def: $vgpr5_vgpr6
	v_cndmask_b32_e64 v9, v7, 1, s0
; %bb.181:
	s_andn2_saveexec_b32 s1, s1
; %bb.182:
	v_cmp_lt_i64_e64 s0, v[5:6], v[1:2]
	v_mov_b32_e32 v9, 1
	v_cndmask_b32_e64 v2, v2, v6, s0
	v_cndmask_b32_e64 v1, v1, v5, s0
; %bb.183:
	s_or_b32 exec_lo, exec_lo, s1
	s_or_b32 exec_lo, exec_lo, s2
	s_and_saveexec_b32 s1, vcc_lo
	s_cbranch_execz .LBB168_189
.LBB168_184:
	v_and_b32_e32 v5, 1, v9
	v_and_b32_e32 v6, 1, v10
                                        ; implicit-def: $vgpr9
	v_cmp_eq_u32_e32 vcc_lo, 1, v5
	v_cmp_eq_u32_e64 s0, 1, v6
	s_and_b32 s0, vcc_lo, s0
	s_xor_b32 s0, s0, -1
	s_and_saveexec_b32 s2, s0
	s_xor_b32 s0, exec_lo, s2
; %bb.185:
	v_and_b32_e32 v5, 0xffff, v10
	v_cndmask_b32_e32 v2, v4, v2, vcc_lo
	v_cndmask_b32_e32 v1, v3, v1, vcc_lo
                                        ; implicit-def: $vgpr3_vgpr4
	v_cndmask_b32_e64 v9, v5, 1, vcc_lo
; %bb.186:
	s_andn2_saveexec_b32 s0, s0
; %bb.187:
	v_cmp_lt_i64_e32 vcc_lo, v[3:4], v[1:2]
	v_mov_b32_e32 v9, 1
	v_cndmask_b32_e32 v2, v2, v4, vcc_lo
	v_cndmask_b32_e32 v1, v1, v3, vcc_lo
; %bb.188:
	s_or_b32 exec_lo, exec_lo, s0
.LBB168_189:
	s_or_b32 exec_lo, exec_lo, s1
	v_mbcnt_lo_u32_b32 v5, -1, 0
	v_and_b32_e32 v6, 0xe0, v0
	s_min_u32 s0, s10, 0x100
	s_mov_b32 s1, exec_lo
	v_cmp_ne_u32_e32 vcc_lo, 31, v5
	v_sub_nc_u32_e64 v6, s0, v6 clamp
	v_add_nc_u32_e32 v8, 1, v5
	v_add_co_ci_u32_e64 v3, null, 0, v5, vcc_lo
	v_lshlrev_b32_e32 v4, 2, v3
	ds_bpermute_b32 v7, v4, v9
	ds_bpermute_b32 v3, v4, v1
	;; [unrolled: 1-line block ×3, first 2 shown]
	v_cmpx_lt_u32_e64 v8, v6
	s_xor_b32 s1, exec_lo, s1
	s_cbranch_execz .LBB168_195
; %bb.190:
	s_waitcnt lgkmcnt(2)
	v_and_b32_e32 v8, v7, v9
	s_mov_b32 s2, exec_lo
	v_cmpx_ne_u32_e32 0, v8
	s_xor_b32 s2, exec_lo, s2
	s_cbranch_execz .LBB168_192
; %bb.191:
	s_waitcnt lgkmcnt(0)
	v_cmp_lt_i64_e32 vcc_lo, v[3:4], v[1:2]
                                        ; implicit-def: $vgpr9
                                        ; implicit-def: $vgpr7
	v_cndmask_b32_e32 v2, v2, v4, vcc_lo
	v_cndmask_b32_e32 v1, v1, v3, vcc_lo
                                        ; implicit-def: $vgpr3_vgpr4
.LBB168_192:
	s_or_saveexec_b32 s2, s2
	v_mov_b32_e32 v8, 1
	s_xor_b32 exec_lo, exec_lo, s2
	s_cbranch_execz .LBB168_194
; %bb.193:
	v_and_b32_e32 v8, 1, v9
	v_and_b32_e32 v7, 0xff, v7
	v_cmp_eq_u32_e32 vcc_lo, 1, v8
	s_waitcnt lgkmcnt(0)
	v_cndmask_b32_e32 v2, v4, v2, vcc_lo
	v_cndmask_b32_e32 v1, v3, v1, vcc_lo
	v_cndmask_b32_e64 v8, v7, 1, vcc_lo
.LBB168_194:
	s_or_b32 exec_lo, exec_lo, s2
	v_mov_b32_e32 v9, v8
.LBB168_195:
	s_or_b32 exec_lo, exec_lo, s1
	v_cmp_gt_u32_e32 vcc_lo, 30, v5
	v_add_nc_u32_e32 v8, 2, v5
	s_mov_b32 s1, exec_lo
	s_waitcnt lgkmcnt(1)
	v_cndmask_b32_e64 v3, 0, 2, vcc_lo
	s_waitcnt lgkmcnt(0)
	v_add_lshl_u32 v4, v3, v5, 2
	ds_bpermute_b32 v7, v4, v9
	ds_bpermute_b32 v3, v4, v1
	ds_bpermute_b32 v4, v4, v2
	v_cmpx_lt_u32_e64 v8, v6
	s_cbranch_execz .LBB168_201
; %bb.196:
	s_waitcnt lgkmcnt(2)
	v_and_b32_e32 v8, v9, v7
	s_mov_b32 s2, exec_lo
	v_and_b32_e32 v8, 1, v8
	v_cmpx_eq_u32_e32 1, v8
	s_xor_b32 s2, exec_lo, s2
	s_cbranch_execz .LBB168_198
; %bb.197:
	s_waitcnt lgkmcnt(0)
	v_cmp_lt_i64_e32 vcc_lo, v[3:4], v[1:2]
                                        ; implicit-def: $vgpr9
                                        ; implicit-def: $vgpr7
	v_cndmask_b32_e32 v2, v2, v4, vcc_lo
	v_cndmask_b32_e32 v1, v1, v3, vcc_lo
                                        ; implicit-def: $vgpr3_vgpr4
.LBB168_198:
	s_or_saveexec_b32 s2, s2
	v_mov_b32_e32 v8, 1
	s_xor_b32 exec_lo, exec_lo, s2
	s_cbranch_execz .LBB168_200
; %bb.199:
	v_and_b32_e32 v8, 1, v9
	v_and_b32_e32 v7, 0xff, v7
	v_cmp_eq_u32_e32 vcc_lo, 1, v8
	s_waitcnt lgkmcnt(0)
	v_cndmask_b32_e32 v2, v4, v2, vcc_lo
	v_cndmask_b32_e32 v1, v3, v1, vcc_lo
	v_cndmask_b32_e64 v8, v7, 1, vcc_lo
.LBB168_200:
	s_or_b32 exec_lo, exec_lo, s2
	v_mov_b32_e32 v9, v8
.LBB168_201:
	s_or_b32 exec_lo, exec_lo, s1
	v_cmp_gt_u32_e32 vcc_lo, 28, v5
	v_add_nc_u32_e32 v8, 4, v5
	s_mov_b32 s1, exec_lo
	s_waitcnt lgkmcnt(1)
	v_cndmask_b32_e64 v3, 0, 4, vcc_lo
	s_waitcnt lgkmcnt(0)
	v_add_lshl_u32 v4, v3, v5, 2
	ds_bpermute_b32 v7, v4, v9
	ds_bpermute_b32 v3, v4, v1
	ds_bpermute_b32 v4, v4, v2
	v_cmpx_lt_u32_e64 v8, v6
	s_cbranch_execz .LBB168_207
; %bb.202:
	s_waitcnt lgkmcnt(2)
	v_and_b32_e32 v8, v9, v7
	s_mov_b32 s2, exec_lo
	v_and_b32_e32 v8, 1, v8
	v_cmpx_eq_u32_e32 1, v8
	s_xor_b32 s2, exec_lo, s2
	s_cbranch_execz .LBB168_204
; %bb.203:
	s_waitcnt lgkmcnt(0)
	v_cmp_lt_i64_e32 vcc_lo, v[3:4], v[1:2]
                                        ; implicit-def: $vgpr9
                                        ; implicit-def: $vgpr7
	v_cndmask_b32_e32 v2, v2, v4, vcc_lo
	v_cndmask_b32_e32 v1, v1, v3, vcc_lo
                                        ; implicit-def: $vgpr3_vgpr4
.LBB168_204:
	s_or_saveexec_b32 s2, s2
	v_mov_b32_e32 v8, 1
	s_xor_b32 exec_lo, exec_lo, s2
	s_cbranch_execz .LBB168_206
; %bb.205:
	v_and_b32_e32 v8, 1, v9
	v_and_b32_e32 v7, 0xff, v7
	v_cmp_eq_u32_e32 vcc_lo, 1, v8
	s_waitcnt lgkmcnt(0)
	v_cndmask_b32_e32 v2, v4, v2, vcc_lo
	v_cndmask_b32_e32 v1, v3, v1, vcc_lo
	v_cndmask_b32_e64 v8, v7, 1, vcc_lo
.LBB168_206:
	s_or_b32 exec_lo, exec_lo, s2
	v_mov_b32_e32 v9, v8
.LBB168_207:
	;; [unrolled: 46-line block ×3, first 2 shown]
	s_or_b32 exec_lo, exec_lo, s1
	s_waitcnt lgkmcnt(2)
	v_lshlrev_b32_e32 v7, 2, v5
	v_add_nc_u32_e32 v10, 16, v5
	s_waitcnt lgkmcnt(0)
	v_or_b32_e32 v4, 64, v7
	v_cmp_lt_u32_e32 vcc_lo, v10, v6
	v_mov_b32_e32 v6, v9
	ds_bpermute_b32 v8, v4, v9
	ds_bpermute_b32 v3, v4, v1
	;; [unrolled: 1-line block ×3, first 2 shown]
	s_and_saveexec_b32 s1, vcc_lo
	s_cbranch_execz .LBB168_219
; %bb.214:
	s_waitcnt lgkmcnt(2)
	v_and_b32_e32 v6, v9, v8
	s_mov_b32 s2, exec_lo
	v_and_b32_e32 v6, 1, v6
	v_cmpx_eq_u32_e32 1, v6
	s_xor_b32 s2, exec_lo, s2
	s_cbranch_execz .LBB168_216
; %bb.215:
	s_waitcnt lgkmcnt(0)
	v_cmp_lt_i64_e32 vcc_lo, v[3:4], v[1:2]
                                        ; implicit-def: $vgpr9
                                        ; implicit-def: $vgpr8
	v_cndmask_b32_e32 v2, v2, v4, vcc_lo
	v_cndmask_b32_e32 v1, v1, v3, vcc_lo
                                        ; implicit-def: $vgpr3_vgpr4
.LBB168_216:
	s_or_saveexec_b32 s2, s2
	v_mov_b32_e32 v6, 1
	s_xor_b32 exec_lo, exec_lo, s2
	s_cbranch_execz .LBB168_218
; %bb.217:
	v_and_b32_e32 v6, 1, v9
	v_cmp_eq_u32_e32 vcc_lo, 1, v6
	v_cndmask_b32_e64 v6, v8, 1, vcc_lo
	s_waitcnt lgkmcnt(0)
	v_cndmask_b32_e32 v2, v4, v2, vcc_lo
	v_cndmask_b32_e32 v1, v3, v1, vcc_lo
.LBB168_218:
	s_or_b32 exec_lo, exec_lo, s2
	v_and_b32_e32 v9, 0xff, v6
.LBB168_219:
	s_or_b32 exec_lo, exec_lo, s1
	s_mov_b32 s1, exec_lo
	v_cmpx_eq_u32_e32 0, v5
	s_cbranch_execz .LBB168_221
; %bb.220:
	s_waitcnt lgkmcnt(1)
	v_lshrrev_b32_e32 v3, 1, v0
	v_and_b32_e32 v3, 0x70, v3
	ds_write_b8 v3, v6 offset:512
	ds_write_b64 v3, v[1:2] offset:520
.LBB168_221:
	s_or_b32 exec_lo, exec_lo, s1
	s_mov_b32 s1, exec_lo
	s_waitcnt lgkmcnt(0)
	s_barrier
	buffer_gl0_inv
	v_cmpx_gt_u32_e32 8, v0
	s_cbranch_execz .LBB168_241
; %bb.222:
	v_lshlrev_b32_e32 v1, 4, v5
	v_and_b32_e32 v6, 7, v5
	s_add_i32 s0, s0, 31
	s_mov_b32 s2, exec_lo
	s_lshr_b32 s0, s0, 5
	ds_read_u8 v8, v1 offset:512
	ds_read_b64 v[1:2], v1 offset:520
	v_cmp_ne_u32_e32 vcc_lo, 7, v6
	v_add_nc_u32_e32 v11, 1, v6
	v_add_co_ci_u32_e64 v3, null, 0, v5, vcc_lo
	v_lshlrev_b32_e32 v4, 2, v3
	s_waitcnt lgkmcnt(1)
	v_and_b32_e32 v9, 0xff, v8
	s_waitcnt lgkmcnt(0)
	ds_bpermute_b32 v3, v4, v1
	ds_bpermute_b32 v10, v4, v9
	;; [unrolled: 1-line block ×3, first 2 shown]
	v_cmpx_gt_u32_e64 s0, v11
	s_cbranch_execz .LBB168_228
; %bb.223:
	s_waitcnt lgkmcnt(1)
	v_and_b32_e32 v9, v9, v10
	s_mov_b32 s3, exec_lo
	v_and_b32_e32 v9, 1, v9
	v_cmpx_eq_u32_e32 1, v9
	s_xor_b32 s3, exec_lo, s3
	s_cbranch_execz .LBB168_225
; %bb.224:
	s_waitcnt lgkmcnt(0)
	v_cmp_lt_i64_e32 vcc_lo, v[3:4], v[1:2]
                                        ; implicit-def: $vgpr8
                                        ; implicit-def: $vgpr10
	v_cndmask_b32_e32 v2, v2, v4, vcc_lo
	v_cndmask_b32_e32 v1, v1, v3, vcc_lo
                                        ; implicit-def: $vgpr3_vgpr4
.LBB168_225:
	s_or_saveexec_b32 s3, s3
	v_mov_b32_e32 v9, 1
	s_xor_b32 exec_lo, exec_lo, s3
	s_cbranch_execz .LBB168_227
; %bb.226:
	v_and_b32_e32 v8, 1, v8
	v_cmp_eq_u32_e32 vcc_lo, 1, v8
	v_and_b32_e32 v8, 0xff, v10
	s_waitcnt lgkmcnt(0)
	v_cndmask_b32_e32 v2, v4, v2, vcc_lo
	v_cndmask_b32_e32 v1, v3, v1, vcc_lo
	v_cndmask_b32_e64 v9, v8, 1, vcc_lo
.LBB168_227:
	s_or_b32 exec_lo, exec_lo, s3
.LBB168_228:
	s_or_b32 exec_lo, exec_lo, s2
	v_cmp_gt_u32_e32 vcc_lo, 6, v6
	v_add_nc_u32_e32 v8, 2, v6
	s_mov_b32 s2, exec_lo
	s_waitcnt lgkmcnt(2)
	v_cndmask_b32_e64 v3, 0, 2, vcc_lo
	s_waitcnt lgkmcnt(0)
	v_add_lshl_u32 v4, v3, v5, 2
	ds_bpermute_b32 v5, v4, v9
	ds_bpermute_b32 v3, v4, v1
	;; [unrolled: 1-line block ×3, first 2 shown]
	v_cmpx_gt_u32_e64 s0, v8
	s_cbranch_execz .LBB168_234
; %bb.229:
	s_waitcnt lgkmcnt(2)
	v_and_b32_e32 v8, v9, v5
	s_mov_b32 s3, exec_lo
	v_and_b32_e32 v8, 1, v8
	v_cmpx_eq_u32_e32 1, v8
	s_xor_b32 s3, exec_lo, s3
	s_cbranch_execz .LBB168_231
; %bb.230:
	s_waitcnt lgkmcnt(0)
	v_cmp_lt_i64_e32 vcc_lo, v[3:4], v[1:2]
                                        ; implicit-def: $vgpr9
                                        ; implicit-def: $vgpr5
	v_cndmask_b32_e32 v2, v2, v4, vcc_lo
	v_cndmask_b32_e32 v1, v1, v3, vcc_lo
                                        ; implicit-def: $vgpr3_vgpr4
.LBB168_231:
	s_or_saveexec_b32 s3, s3
	v_mov_b32_e32 v8, 1
	s_xor_b32 exec_lo, exec_lo, s3
	s_cbranch_execz .LBB168_233
; %bb.232:
	v_and_b32_e32 v8, 1, v9
	v_and_b32_e32 v5, 0xff, v5
	v_cmp_eq_u32_e32 vcc_lo, 1, v8
	s_waitcnt lgkmcnt(0)
	v_cndmask_b32_e32 v2, v4, v2, vcc_lo
	v_cndmask_b32_e32 v1, v3, v1, vcc_lo
	v_cndmask_b32_e64 v8, v5, 1, vcc_lo
.LBB168_233:
	s_or_b32 exec_lo, exec_lo, s3
	v_mov_b32_e32 v9, v8
.LBB168_234:
	s_or_b32 exec_lo, exec_lo, s2
	s_waitcnt lgkmcnt(0)
	v_or_b32_e32 v4, 16, v7
	v_add_nc_u32_e32 v6, 4, v6
	ds_bpermute_b32 v5, v4, v9
	ds_bpermute_b32 v3, v4, v1
	;; [unrolled: 1-line block ×3, first 2 shown]
	v_cmp_gt_u32_e32 vcc_lo, s0, v6
	s_and_saveexec_b32 s0, vcc_lo
	s_cbranch_execz .LBB168_240
; %bb.235:
	s_waitcnt lgkmcnt(2)
	v_and_b32_e32 v6, v9, v5
	s_mov_b32 s2, exec_lo
	v_and_b32_e32 v6, 1, v6
	v_cmpx_eq_u32_e32 1, v6
	s_xor_b32 s2, exec_lo, s2
	s_cbranch_execz .LBB168_237
; %bb.236:
	s_waitcnt lgkmcnt(0)
	v_cmp_lt_i64_e32 vcc_lo, v[3:4], v[1:2]
                                        ; implicit-def: $vgpr9
                                        ; implicit-def: $vgpr5
	v_cndmask_b32_e32 v2, v2, v4, vcc_lo
	v_cndmask_b32_e32 v1, v1, v3, vcc_lo
                                        ; implicit-def: $vgpr3_vgpr4
.LBB168_237:
	s_or_saveexec_b32 s2, s2
	v_mov_b32_e32 v6, 1
	s_xor_b32 exec_lo, exec_lo, s2
	s_cbranch_execz .LBB168_239
; %bb.238:
	v_and_b32_e32 v6, 1, v9
	v_cmp_eq_u32_e32 vcc_lo, 1, v6
	s_waitcnt lgkmcnt(0)
	v_cndmask_b32_e32 v2, v4, v2, vcc_lo
	v_cndmask_b32_e32 v1, v3, v1, vcc_lo
	v_cndmask_b32_e64 v6, v5, 1, vcc_lo
.LBB168_239:
	s_or_b32 exec_lo, exec_lo, s2
	v_mov_b32_e32 v9, v6
.LBB168_240:
	s_or_b32 exec_lo, exec_lo, s0
.LBB168_241:
	s_or_b32 exec_lo, exec_lo, s1
.LBB168_242:
                                        ; implicit-def: $vgpr3_vgpr4
                                        ; implicit-def: $vgpr5
	s_mov_b32 s0, exec_lo
	v_cmpx_eq_u32_e32 0, v0
	s_xor_b32 s2, exec_lo, s0
	s_cbranch_execz .LBB168_246
; %bb.243:
	s_waitcnt lgkmcnt(0)
	v_mov_b32_e32 v3, s20
	v_mov_b32_e32 v4, s21
	v_mov_b32_e32 v5, s24
	s_cmp_eq_u64 s[14:15], 0
	s_cbranch_scc1 .LBB168_245
; %bb.244:
	v_and_b32_e32 v3, 1, v9
	v_cmp_gt_i64_e32 vcc_lo, s[20:21], v[1:2]
	s_bitcmp1_b32 s24, 0
	s_cselect_b32 s1, -1, 0
	v_cmp_eq_u32_e64 s0, 1, v3
	v_cndmask_b32_e64 v5, v9, 1, s1
	s_and_b32 vcc_lo, s0, vcc_lo
	v_cndmask_b32_e32 v3, s20, v1, vcc_lo
	v_cndmask_b32_e32 v4, s21, v2, vcc_lo
	v_cndmask_b32_e64 v3, v1, v3, s1
	v_cndmask_b32_e64 v4, v2, v4, s1
.LBB168_245:
	s_or_b32 s22, s22, exec_lo
.LBB168_246:
	s_or_b32 exec_lo, exec_lo, s2
	v_mov_b32_e32 v1, s6
	v_mov_b32_e32 v2, s7
	s_branch .LBB168_356
.LBB168_247:
	s_cmp_gt_i32 s25, 1
	s_cbranch_scc0 .LBB168_267
; %bb.248:
	s_cmp_eq_u32 s25, 2
	s_cbranch_scc0 .LBB168_268
; %bb.249:
	s_mov_b32 s7, 0
	s_lshl_b32 s10, s6, 9
	s_mov_b32 s11, s7
	s_lshr_b64 s[26:27], s[14:15], 9
	s_lshl_b64 s[0:1], s[10:11], 2
	s_add_u32 s2, s16, s0
	s_addc_u32 s3, s17, s1
	s_add_u32 s8, s18, s0
	s_addc_u32 s9, s19, s1
	;; [unrolled: 2-line block ×3, first 2 shown]
	s_cmp_lg_u64 s[26:27], s[6:7]
	s_cbranch_scc0 .LBB168_269
; %bb.250:
	v_lshlrev_b32_e32 v1, 2, v0
	s_waitcnt lgkmcnt(1)
	v_add_co_u32 v5, s0, s11, v0
	s_waitcnt lgkmcnt(0)
	v_add_co_ci_u32_e64 v6, null, s23, 0, s0
	s_clause 0x3
	global_load_dword v2, v1, s[2:3]
	global_load_dword v3, v1, s[8:9]
	global_load_dword v4, v1, s[8:9] offset:1024
	global_load_dword v1, v1, s[2:3] offset:1024
	v_add_co_u32 v7, vcc_lo, 0x100, v5
	v_add_co_ci_u32_e64 v8, null, 0, v6, vcc_lo
	s_waitcnt vmcnt(2)
	v_cmp_ne_u32_e32 vcc_lo, v2, v3
	s_waitcnt vmcnt(0)
	v_cmp_ne_u32_e64 s0, v1, v4
	v_cndmask_b32_e32 v2, v8, v6, vcc_lo
	v_cndmask_b32_e32 v1, v7, v5, vcc_lo
	s_or_b32 s0, vcc_lo, s0
	v_mbcnt_lo_u32_b32 v8, -1, 0
	v_cndmask_b32_e64 v5, 0, 1, s0
	v_mov_b32_dpp v4, v2 quad_perm:[1,0,3,2] row_mask:0xf bank_mask:0xf
	v_mov_b32_dpp v3, v1 quad_perm:[1,0,3,2] row_mask:0xf bank_mask:0xf
	;; [unrolled: 1-line block ×3, first 2 shown]
	v_cmp_lt_i64_e32 vcc_lo, v[1:2], v[3:4]
	v_and_b32_e32 v6, 1, v6
	s_and_b32 vcc_lo, s0, vcc_lo
	v_cndmask_b32_e32 v3, v3, v1, vcc_lo
	v_cndmask_b32_e32 v4, v4, v2, vcc_lo
	v_cmp_eq_u32_e32 vcc_lo, 1, v6
	v_cndmask_b32_e32 v2, v2, v4, vcc_lo
	v_cndmask_b32_e32 v1, v1, v3, vcc_lo
	v_cndmask_b32_e64 v5, v5, 1, vcc_lo
	v_mov_b32_dpp v4, v2 quad_perm:[2,3,0,1] row_mask:0xf bank_mask:0xf
	v_mov_b32_dpp v3, v1 quad_perm:[2,3,0,1] row_mask:0xf bank_mask:0xf
	v_and_b32_e32 v7, 1, v5
	v_mov_b32_dpp v6, v5 quad_perm:[2,3,0,1] row_mask:0xf bank_mask:0xf
	v_cmp_lt_i64_e32 vcc_lo, v[1:2], v[3:4]
	v_cmp_eq_u32_e64 s0, 1, v7
	v_and_b32_e32 v6, 1, v6
	s_and_b32 vcc_lo, s0, vcc_lo
	v_cmp_eq_u32_e64 s1, 1, v6
	v_cndmask_b32_e32 v3, v3, v1, vcc_lo
	v_cndmask_b32_e32 v4, v4, v2, vcc_lo
	v_cndmask_b32_e64 v5, v5, 1, s1
	v_cndmask_b32_e64 v1, v1, v3, s1
	;; [unrolled: 1-line block ×3, first 2 shown]
	v_and_b32_e32 v7, 1, v5
	v_mov_b32_dpp v3, v1 row_ror:4 row_mask:0xf bank_mask:0xf
	v_mov_b32_dpp v4, v2 row_ror:4 row_mask:0xf bank_mask:0xf
	;; [unrolled: 1-line block ×3, first 2 shown]
	v_cmp_eq_u32_e64 s0, 1, v7
	v_cmp_lt_i64_e32 vcc_lo, v[1:2], v[3:4]
	v_and_b32_e32 v6, 1, v6
	s_and_b32 vcc_lo, s0, vcc_lo
	v_cmp_eq_u32_e64 s1, 1, v6
	v_cndmask_b32_e32 v3, v3, v1, vcc_lo
	v_cndmask_b32_e32 v4, v4, v2, vcc_lo
	v_cndmask_b32_e64 v5, v5, 1, s1
	v_cndmask_b32_e64 v1, v1, v3, s1
	;; [unrolled: 1-line block ×3, first 2 shown]
	v_and_b32_e32 v7, 1, v5
	v_mov_b32_dpp v3, v1 row_ror:8 row_mask:0xf bank_mask:0xf
	v_mov_b32_dpp v4, v2 row_ror:8 row_mask:0xf bank_mask:0xf
	;; [unrolled: 1-line block ×3, first 2 shown]
	v_cmp_eq_u32_e64 s0, 1, v7
	v_cmp_lt_i64_e32 vcc_lo, v[1:2], v[3:4]
	v_and_b32_e32 v6, 1, v6
	s_and_b32 vcc_lo, s0, vcc_lo
	v_cmp_eq_u32_e64 s1, 1, v6
	v_cndmask_b32_e32 v3, v3, v1, vcc_lo
	v_cndmask_b32_e32 v4, v4, v2, vcc_lo
	v_cndmask_b32_e64 v5, v5, 1, s1
	v_cndmask_b32_e64 v1, v1, v3, s1
	;; [unrolled: 1-line block ×3, first 2 shown]
	ds_swizzle_b32 v6, v5 offset:swizzle(BROADCAST,32,15)
	ds_swizzle_b32 v3, v1 offset:swizzle(BROADCAST,32,15)
	ds_swizzle_b32 v4, v2 offset:swizzle(BROADCAST,32,15)
	v_and_b32_e32 v7, 1, v5
	v_cmp_eq_u32_e64 s0, 1, v7
	s_waitcnt lgkmcnt(2)
	v_and_b32_e32 v6, 1, v6
	s_waitcnt lgkmcnt(0)
	v_cmp_lt_i64_e32 vcc_lo, v[1:2], v[3:4]
	v_cmp_eq_u32_e64 s1, 1, v6
	v_mov_b32_e32 v6, 0
	s_and_b32 vcc_lo, s0, vcc_lo
	s_mov_b32 s0, exec_lo
	v_cndmask_b32_e32 v3, v3, v1, vcc_lo
	v_cndmask_b32_e32 v4, v4, v2, vcc_lo
	v_cndmask_b32_e64 v5, v5, 1, s1
	v_cndmask_b32_e64 v1, v1, v3, s1
	;; [unrolled: 1-line block ×3, first 2 shown]
	ds_bpermute_b32 v7, v6, v5 offset:124
	ds_bpermute_b32 v1, v6, v1 offset:124
	;; [unrolled: 1-line block ×3, first 2 shown]
	v_cmpx_eq_u32_e32 0, v8
	s_cbranch_execz .LBB168_252
; %bb.251:
	v_lshrrev_b32_e32 v3, 1, v0
	v_and_b32_e32 v3, 0x70, v3
	s_waitcnt lgkmcnt(2)
	ds_write_b8 v3, v7 offset:128
	s_waitcnt lgkmcnt(1)
	ds_write_b64 v3, v[1:2] offset:136
.LBB168_252:
	s_or_b32 exec_lo, exec_lo, s0
	s_mov_b32 s0, exec_lo
	s_waitcnt lgkmcnt(0)
	s_barrier
	buffer_gl0_inv
	v_cmpx_gt_u32_e32 32, v0
	s_cbranch_execz .LBB168_266
; %bb.253:
	v_and_b32_e32 v7, 7, v8
	v_lshlrev_b32_e32 v1, 4, v7
	v_cmp_ne_u32_e32 vcc_lo, 7, v7
	ds_read_u8 v10, v1 offset:128
	ds_read_b64 v[3:4], v1 offset:136
	v_add_co_ci_u32_e64 v2, null, 0, v8, vcc_lo
	v_lshlrev_b32_e32 v2, 2, v2
	s_waitcnt lgkmcnt(1)
	v_and_b32_e32 v1, 0xff, v10
	s_waitcnt lgkmcnt(0)
	ds_bpermute_b32 v5, v2, v3
	ds_bpermute_b32 v6, v2, v4
	;; [unrolled: 1-line block ×3, first 2 shown]
	s_waitcnt lgkmcnt(0)
	v_and_b32_e32 v1, v10, v11
	v_and_b32_e32 v1, 1, v1
	v_cmp_eq_u32_e32 vcc_lo, 1, v1
                                        ; implicit-def: $vgpr1_vgpr2
	s_and_saveexec_b32 s1, vcc_lo
	s_xor_b32 s1, exec_lo, s1
; %bb.254:
	v_cmp_lt_i64_e32 vcc_lo, v[5:6], v[3:4]
                                        ; implicit-def: $vgpr10
                                        ; implicit-def: $vgpr11
	v_cndmask_b32_e32 v2, v4, v6, vcc_lo
	v_cndmask_b32_e32 v1, v3, v5, vcc_lo
                                        ; implicit-def: $vgpr5_vgpr6
                                        ; implicit-def: $vgpr3_vgpr4
; %bb.255:
	s_or_saveexec_b32 s1, s1
	v_mov_b32_e32 v9, 1
	s_xor_b32 exec_lo, exec_lo, s1
; %bb.256:
	v_and_b32_e32 v1, 1, v10
	v_and_b32_e32 v9, 0xff, v11
	v_cmp_eq_u32_e32 vcc_lo, 1, v1
	v_cndmask_b32_e32 v2, v6, v4, vcc_lo
	v_cndmask_b32_e32 v1, v5, v3, vcc_lo
	v_cndmask_b32_e64 v9, v9, 1, vcc_lo
; %bb.257:
	s_or_b32 exec_lo, exec_lo, s1
	v_cmp_gt_u32_e32 vcc_lo, 6, v7
	v_cndmask_b32_e64 v3, 0, 2, vcc_lo
	v_add_lshl_u32 v3, v3, v8, 2
	ds_bpermute_b32 v7, v3, v9
	ds_bpermute_b32 v5, v3, v1
	;; [unrolled: 1-line block ×3, first 2 shown]
	s_waitcnt lgkmcnt(2)
	v_and_b32_e32 v3, v9, v7
	v_and_b32_e32 v3, 1, v3
	v_cmp_eq_u32_e32 vcc_lo, 1, v3
                                        ; implicit-def: $vgpr3_vgpr4
	s_and_saveexec_b32 s1, vcc_lo
	s_xor_b32 s1, exec_lo, s1
	s_cbranch_execz .LBB168_259
; %bb.258:
	s_waitcnt lgkmcnt(0)
	v_cmp_lt_i64_e32 vcc_lo, v[5:6], v[1:2]
                                        ; implicit-def: $vgpr9
                                        ; implicit-def: $vgpr7
	v_cndmask_b32_e32 v4, v2, v6, vcc_lo
	v_cndmask_b32_e32 v3, v1, v5, vcc_lo
                                        ; implicit-def: $vgpr5_vgpr6
                                        ; implicit-def: $vgpr1_vgpr2
.LBB168_259:
	s_or_saveexec_b32 s1, s1
	v_lshlrev_b32_e32 v10, 2, v8
	v_mov_b32_e32 v8, 1
	s_xor_b32 exec_lo, exec_lo, s1
	s_cbranch_execz .LBB168_261
; %bb.260:
	v_and_b32_e32 v3, 1, v9
	v_and_b32_e32 v7, 0xff, v7
	v_cmp_eq_u32_e32 vcc_lo, 1, v3
	s_waitcnt lgkmcnt(0)
	v_cndmask_b32_e32 v4, v6, v2, vcc_lo
	v_cndmask_b32_e32 v3, v5, v1, vcc_lo
	v_cndmask_b32_e64 v8, v7, 1, vcc_lo
.LBB168_261:
	s_or_b32 exec_lo, exec_lo, s1
	v_or_b32_e32 v1, 16, v10
	ds_bpermute_b32 v9, v1, v8
	s_waitcnt lgkmcnt(2)
	ds_bpermute_b32 v5, v1, v3
	s_waitcnt lgkmcnt(2)
	;; [unrolled: 2-line block ×3, first 2 shown]
	v_and_b32_e32 v1, v8, v9
	v_and_b32_e32 v1, 1, v1
	v_cmp_eq_u32_e32 vcc_lo, 1, v1
                                        ; implicit-def: $vgpr1_vgpr2
	s_and_saveexec_b32 s1, vcc_lo
	s_xor_b32 s1, exec_lo, s1
	s_cbranch_execz .LBB168_263
; %bb.262:
	s_waitcnt lgkmcnt(0)
	v_cmp_lt_i64_e32 vcc_lo, v[5:6], v[3:4]
                                        ; implicit-def: $vgpr8
                                        ; implicit-def: $vgpr9
	v_cndmask_b32_e32 v2, v4, v6, vcc_lo
	v_cndmask_b32_e32 v1, v3, v5, vcc_lo
                                        ; implicit-def: $vgpr5_vgpr6
                                        ; implicit-def: $vgpr3_vgpr4
.LBB168_263:
	s_or_saveexec_b32 s1, s1
	v_mov_b32_e32 v7, 1
	s_xor_b32 exec_lo, exec_lo, s1
	s_cbranch_execz .LBB168_265
; %bb.264:
	v_and_b32_e32 v1, 1, v8
	v_cmp_eq_u32_e32 vcc_lo, 1, v1
	s_waitcnt lgkmcnt(0)
	v_cndmask_b32_e32 v2, v6, v4, vcc_lo
	v_cndmask_b32_e32 v1, v5, v3, vcc_lo
	v_cndmask_b32_e64 v7, v9, 1, vcc_lo
.LBB168_265:
	s_or_b32 exec_lo, exec_lo, s1
.LBB168_266:
	s_or_b32 exec_lo, exec_lo, s0
	s_branch .LBB168_327
.LBB168_267:
                                        ; implicit-def: $vgpr3_vgpr4
                                        ; implicit-def: $vgpr5
                                        ; implicit-def: $vgpr1_vgpr2
	s_cbranch_execnz .LBB168_332
	s_branch .LBB168_356
.LBB168_268:
                                        ; implicit-def: $vgpr3_vgpr4
                                        ; implicit-def: $vgpr5
                                        ; implicit-def: $vgpr1_vgpr2
	s_branch .LBB168_356
.LBB168_269:
                                        ; implicit-def: $vgpr1_vgpr2
                                        ; implicit-def: $vgpr7
	s_cbranch_execz .LBB168_327
; %bb.270:
	s_waitcnt lgkmcnt(0)
	v_mov_b32_e32 v3, 0
	v_mov_b32_e32 v1, 0
	;; [unrolled: 1-line block ×6, first 2 shown]
	s_sub_i32 s10, s14, s10
	s_mov_b32 s0, exec_lo
	v_cmpx_gt_u32_e64 s10, v0
	s_cbranch_execz .LBB168_272
; %bb.271:
	v_lshlrev_b32_e32 v1, 2, v0
	s_clause 0x1
	global_load_dword v6, v1, s[2:3]
	global_load_dword v7, v1, s[8:9]
	v_add_co_u32 v1, s1, s11, v0
	v_add_co_ci_u32_e64 v2, null, s23, 0, s1
	s_waitcnt vmcnt(0)
	v_cmp_ne_u32_e32 vcc_lo, v6, v7
	v_cndmask_b32_e64 v6, 0, 1, vcc_lo
.LBB168_272:
	s_or_b32 exec_lo, exec_lo, s0
	v_or_b32_e32 v7, 0x100, v0
	v_cmp_gt_u32_e32 vcc_lo, s10, v7
	s_and_saveexec_b32 s1, vcc_lo
	s_cbranch_execz .LBB168_274
; %bb.273:
	v_lshlrev_b32_e32 v3, 2, v0
	s_clause 0x1
	global_load_dword v5, v3, s[2:3] offset:1024
	global_load_dword v8, v3, s[8:9] offset:1024
	v_add_co_u32 v3, s0, s11, v7
	v_add_co_ci_u32_e64 v4, null, s23, 0, s0
	s_waitcnt vmcnt(0)
	v_cmp_ne_u32_e64 s0, v5, v8
	v_cndmask_b32_e64 v5, 0, 1, s0
.LBB168_274:
	s_or_b32 exec_lo, exec_lo, s1
	v_and_b32_e32 v7, 1, v5
	v_cmp_lt_i64_e64 s0, v[3:4], v[1:2]
	v_and_b32_e32 v8, 0xffff, v5
	v_mbcnt_lo_u32_b32 v5, -1, 0
	v_cmp_eq_u32_e64 s1, 1, v7
	v_and_b32_e32 v7, 0xffff, v6
	v_and_b32_e32 v6, 1, v6
	s_and_b32 s0, s1, s0
	v_cmp_ne_u32_e64 s1, 31, v5
	v_cndmask_b32_e64 v9, v2, v4, s0
	v_cndmask_b32_e64 v10, v1, v3, s0
	v_cmp_eq_u32_e64 s0, 1, v6
	v_cndmask_b32_e64 v6, v8, 1, s0
	v_add_co_ci_u32_e64 v8, null, 0, v5, s1
	v_cndmask_b32_e64 v3, v3, v10, s0
	v_cndmask_b32_e64 v4, v4, v9, s0
	v_cndmask_b32_e32 v7, v7, v6, vcc_lo
	v_lshlrev_b32_e32 v6, 2, v8
	s_min_u32 s0, s10, 0x100
	v_cndmask_b32_e32 v1, v1, v3, vcc_lo
	v_cndmask_b32_e32 v2, v2, v4, vcc_lo
	v_add_nc_u32_e32 v9, 1, v5
	ds_bpermute_b32 v8, v6, v7
	s_mov_b32 s1, exec_lo
	ds_bpermute_b32 v3, v6, v1
	ds_bpermute_b32 v4, v6, v2
	v_and_b32_e32 v6, 0xe0, v0
	v_sub_nc_u32_e64 v6, s0, v6 clamp
	v_cmpx_lt_u32_e64 v9, v6
	s_cbranch_execz .LBB168_280
; %bb.275:
	s_waitcnt lgkmcnt(2)
	v_and_b32_e32 v9, v7, v8
	s_mov_b32 s2, exec_lo
	v_cmpx_ne_u32_e32 0, v9
	s_xor_b32 s2, exec_lo, s2
	s_cbranch_execz .LBB168_277
; %bb.276:
	s_waitcnt lgkmcnt(0)
	v_cmp_lt_i64_e32 vcc_lo, v[3:4], v[1:2]
                                        ; implicit-def: $vgpr7
                                        ; implicit-def: $vgpr8
	v_cndmask_b32_e32 v2, v2, v4, vcc_lo
	v_cndmask_b32_e32 v1, v1, v3, vcc_lo
                                        ; implicit-def: $vgpr3_vgpr4
.LBB168_277:
	s_or_saveexec_b32 s2, s2
	v_mov_b32_e32 v9, 1
	s_xor_b32 exec_lo, exec_lo, s2
	s_cbranch_execz .LBB168_279
; %bb.278:
	v_and_b32_e32 v7, 1, v7
	v_cmp_eq_u32_e32 vcc_lo, 1, v7
	v_and_b32_e32 v7, 0xff, v8
	s_waitcnt lgkmcnt(0)
	v_cndmask_b32_e32 v2, v4, v2, vcc_lo
	v_cndmask_b32_e32 v1, v3, v1, vcc_lo
	v_cndmask_b32_e64 v9, v7, 1, vcc_lo
.LBB168_279:
	s_or_b32 exec_lo, exec_lo, s2
	v_mov_b32_e32 v7, v9
.LBB168_280:
	s_or_b32 exec_lo, exec_lo, s1
	v_cmp_gt_u32_e32 vcc_lo, 30, v5
	v_add_nc_u32_e32 v9, 2, v5
	s_mov_b32 s1, exec_lo
	s_waitcnt lgkmcnt(1)
	v_cndmask_b32_e64 v3, 0, 2, vcc_lo
	s_waitcnt lgkmcnt(0)
	v_add_lshl_u32 v4, v3, v5, 2
	ds_bpermute_b32 v8, v4, v7
	ds_bpermute_b32 v3, v4, v1
	ds_bpermute_b32 v4, v4, v2
	v_cmpx_lt_u32_e64 v9, v6
	s_cbranch_execz .LBB168_286
; %bb.281:
	s_waitcnt lgkmcnt(2)
	v_and_b32_e32 v9, v7, v8
	s_mov_b32 s2, exec_lo
	v_and_b32_e32 v9, 1, v9
	v_cmpx_eq_u32_e32 1, v9
	s_xor_b32 s2, exec_lo, s2
	s_cbranch_execz .LBB168_283
; %bb.282:
	s_waitcnt lgkmcnt(0)
	v_cmp_lt_i64_e32 vcc_lo, v[3:4], v[1:2]
                                        ; implicit-def: $vgpr7
                                        ; implicit-def: $vgpr8
	v_cndmask_b32_e32 v2, v2, v4, vcc_lo
	v_cndmask_b32_e32 v1, v1, v3, vcc_lo
                                        ; implicit-def: $vgpr3_vgpr4
.LBB168_283:
	s_or_saveexec_b32 s2, s2
	v_mov_b32_e32 v9, 1
	s_xor_b32 exec_lo, exec_lo, s2
	s_cbranch_execz .LBB168_285
; %bb.284:
	v_and_b32_e32 v7, 1, v7
	v_cmp_eq_u32_e32 vcc_lo, 1, v7
	v_and_b32_e32 v7, 0xff, v8
	s_waitcnt lgkmcnt(0)
	v_cndmask_b32_e32 v2, v4, v2, vcc_lo
	v_cndmask_b32_e32 v1, v3, v1, vcc_lo
	v_cndmask_b32_e64 v9, v7, 1, vcc_lo
.LBB168_285:
	s_or_b32 exec_lo, exec_lo, s2
	v_mov_b32_e32 v7, v9
.LBB168_286:
	s_or_b32 exec_lo, exec_lo, s1
	v_cmp_gt_u32_e32 vcc_lo, 28, v5
	v_add_nc_u32_e32 v9, 4, v5
	s_mov_b32 s1, exec_lo
	s_waitcnt lgkmcnt(1)
	v_cndmask_b32_e64 v3, 0, 4, vcc_lo
	s_waitcnt lgkmcnt(0)
	v_add_lshl_u32 v4, v3, v5, 2
	ds_bpermute_b32 v8, v4, v7
	ds_bpermute_b32 v3, v4, v1
	ds_bpermute_b32 v4, v4, v2
	v_cmpx_lt_u32_e64 v9, v6
	s_cbranch_execz .LBB168_292
; %bb.287:
	s_waitcnt lgkmcnt(2)
	v_and_b32_e32 v9, v7, v8
	s_mov_b32 s2, exec_lo
	v_and_b32_e32 v9, 1, v9
	v_cmpx_eq_u32_e32 1, v9
	s_xor_b32 s2, exec_lo, s2
	s_cbranch_execz .LBB168_289
; %bb.288:
	s_waitcnt lgkmcnt(0)
	v_cmp_lt_i64_e32 vcc_lo, v[3:4], v[1:2]
                                        ; implicit-def: $vgpr7
                                        ; implicit-def: $vgpr8
	v_cndmask_b32_e32 v2, v2, v4, vcc_lo
	v_cndmask_b32_e32 v1, v1, v3, vcc_lo
                                        ; implicit-def: $vgpr3_vgpr4
.LBB168_289:
	s_or_saveexec_b32 s2, s2
	v_mov_b32_e32 v9, 1
	s_xor_b32 exec_lo, exec_lo, s2
	s_cbranch_execz .LBB168_291
; %bb.290:
	v_and_b32_e32 v7, 1, v7
	v_cmp_eq_u32_e32 vcc_lo, 1, v7
	v_and_b32_e32 v7, 0xff, v8
	s_waitcnt lgkmcnt(0)
	v_cndmask_b32_e32 v2, v4, v2, vcc_lo
	v_cndmask_b32_e32 v1, v3, v1, vcc_lo
	v_cndmask_b32_e64 v9, v7, 1, vcc_lo
.LBB168_291:
	s_or_b32 exec_lo, exec_lo, s2
	v_mov_b32_e32 v7, v9
.LBB168_292:
	;; [unrolled: 46-line block ×3, first 2 shown]
	s_or_b32 exec_lo, exec_lo, s1
	s_waitcnt lgkmcnt(2)
	v_lshlrev_b32_e32 v8, 2, v5
	v_add_nc_u32_e32 v10, 16, v5
	s_waitcnt lgkmcnt(0)
	v_or_b32_e32 v4, 64, v8
	v_cmp_lt_u32_e32 vcc_lo, v10, v6
	v_mov_b32_e32 v6, v7
	ds_bpermute_b32 v9, v4, v7
	ds_bpermute_b32 v3, v4, v1
	;; [unrolled: 1-line block ×3, first 2 shown]
	s_and_saveexec_b32 s1, vcc_lo
	s_cbranch_execz .LBB168_304
; %bb.299:
	s_waitcnt lgkmcnt(2)
	v_and_b32_e32 v6, v7, v9
	s_mov_b32 s2, exec_lo
	v_and_b32_e32 v6, 1, v6
	v_cmpx_eq_u32_e32 1, v6
	s_xor_b32 s2, exec_lo, s2
	s_cbranch_execz .LBB168_301
; %bb.300:
	s_waitcnt lgkmcnt(0)
	v_cmp_lt_i64_e32 vcc_lo, v[3:4], v[1:2]
                                        ; implicit-def: $vgpr7
                                        ; implicit-def: $vgpr9
	v_cndmask_b32_e32 v2, v2, v4, vcc_lo
	v_cndmask_b32_e32 v1, v1, v3, vcc_lo
                                        ; implicit-def: $vgpr3_vgpr4
.LBB168_301:
	s_or_saveexec_b32 s2, s2
	v_mov_b32_e32 v6, 1
	s_xor_b32 exec_lo, exec_lo, s2
	s_cbranch_execz .LBB168_303
; %bb.302:
	v_and_b32_e32 v6, 1, v7
	v_cmp_eq_u32_e32 vcc_lo, 1, v6
	v_cndmask_b32_e64 v6, v9, 1, vcc_lo
	s_waitcnt lgkmcnt(0)
	v_cndmask_b32_e32 v2, v4, v2, vcc_lo
	v_cndmask_b32_e32 v1, v3, v1, vcc_lo
.LBB168_303:
	s_or_b32 exec_lo, exec_lo, s2
	v_and_b32_e32 v7, 0xff, v6
.LBB168_304:
	s_or_b32 exec_lo, exec_lo, s1
	s_mov_b32 s1, exec_lo
	v_cmpx_eq_u32_e32 0, v5
	s_cbranch_execz .LBB168_306
; %bb.305:
	s_waitcnt lgkmcnt(1)
	v_lshrrev_b32_e32 v3, 1, v0
	v_and_b32_e32 v3, 0x70, v3
	ds_write_b8 v3, v6 offset:512
	ds_write_b64 v3, v[1:2] offset:520
.LBB168_306:
	s_or_b32 exec_lo, exec_lo, s1
	s_mov_b32 s1, exec_lo
	s_waitcnt lgkmcnt(0)
	s_barrier
	buffer_gl0_inv
	v_cmpx_gt_u32_e32 8, v0
	s_cbranch_execz .LBB168_326
; %bb.307:
	v_lshlrev_b32_e32 v1, 4, v5
	v_and_b32_e32 v6, 7, v5
	s_add_i32 s0, s0, 31
	s_mov_b32 s2, exec_lo
	s_lshr_b32 s0, s0, 5
	ds_read_u8 v9, v1 offset:512
	ds_read_b64 v[1:2], v1 offset:520
	v_cmp_ne_u32_e32 vcc_lo, 7, v6
	v_add_nc_u32_e32 v11, 1, v6
	v_add_co_ci_u32_e64 v3, null, 0, v5, vcc_lo
	v_lshlrev_b32_e32 v4, 2, v3
	s_waitcnt lgkmcnt(1)
	v_and_b32_e32 v7, 0xff, v9
	s_waitcnt lgkmcnt(0)
	ds_bpermute_b32 v3, v4, v1
	ds_bpermute_b32 v10, v4, v7
	;; [unrolled: 1-line block ×3, first 2 shown]
	v_cmpx_gt_u32_e64 s0, v11
	s_cbranch_execz .LBB168_313
; %bb.308:
	s_waitcnt lgkmcnt(1)
	v_and_b32_e32 v7, v7, v10
	s_mov_b32 s3, exec_lo
	v_and_b32_e32 v7, 1, v7
	v_cmpx_eq_u32_e32 1, v7
	s_xor_b32 s3, exec_lo, s3
	s_cbranch_execz .LBB168_310
; %bb.309:
	s_waitcnt lgkmcnt(0)
	v_cmp_lt_i64_e32 vcc_lo, v[3:4], v[1:2]
                                        ; implicit-def: $vgpr9
                                        ; implicit-def: $vgpr10
	v_cndmask_b32_e32 v2, v2, v4, vcc_lo
	v_cndmask_b32_e32 v1, v1, v3, vcc_lo
                                        ; implicit-def: $vgpr3_vgpr4
.LBB168_310:
	s_or_saveexec_b32 s3, s3
	v_mov_b32_e32 v7, 1
	s_xor_b32 exec_lo, exec_lo, s3
	s_cbranch_execz .LBB168_312
; %bb.311:
	v_and_b32_e32 v7, 1, v9
	v_cmp_eq_u32_e32 vcc_lo, 1, v7
	v_and_b32_e32 v7, 0xff, v10
	s_waitcnt lgkmcnt(0)
	v_cndmask_b32_e32 v2, v4, v2, vcc_lo
	v_cndmask_b32_e32 v1, v3, v1, vcc_lo
	v_cndmask_b32_e64 v7, v7, 1, vcc_lo
.LBB168_312:
	s_or_b32 exec_lo, exec_lo, s3
.LBB168_313:
	s_or_b32 exec_lo, exec_lo, s2
	v_cmp_gt_u32_e32 vcc_lo, 6, v6
	v_add_nc_u32_e32 v9, 2, v6
	s_mov_b32 s2, exec_lo
	s_waitcnt lgkmcnt(2)
	v_cndmask_b32_e64 v3, 0, 2, vcc_lo
	s_waitcnt lgkmcnt(0)
	v_add_lshl_u32 v4, v3, v5, 2
	ds_bpermute_b32 v5, v4, v7
	ds_bpermute_b32 v3, v4, v1
	ds_bpermute_b32 v4, v4, v2
	v_cmpx_gt_u32_e64 s0, v9
	s_cbranch_execz .LBB168_319
; %bb.314:
	s_waitcnt lgkmcnt(2)
	v_and_b32_e32 v9, v7, v5
	s_mov_b32 s3, exec_lo
	v_and_b32_e32 v9, 1, v9
	v_cmpx_eq_u32_e32 1, v9
	s_xor_b32 s3, exec_lo, s3
	s_cbranch_execz .LBB168_316
; %bb.315:
	s_waitcnt lgkmcnt(0)
	v_cmp_lt_i64_e32 vcc_lo, v[3:4], v[1:2]
                                        ; implicit-def: $vgpr7
                                        ; implicit-def: $vgpr5
	v_cndmask_b32_e32 v2, v2, v4, vcc_lo
	v_cndmask_b32_e32 v1, v1, v3, vcc_lo
                                        ; implicit-def: $vgpr3_vgpr4
.LBB168_316:
	s_or_saveexec_b32 s3, s3
	v_mov_b32_e32 v9, 1
	s_xor_b32 exec_lo, exec_lo, s3
	s_cbranch_execz .LBB168_318
; %bb.317:
	v_and_b32_e32 v7, 1, v7
	v_and_b32_e32 v5, 0xff, v5
	v_cmp_eq_u32_e32 vcc_lo, 1, v7
	s_waitcnt lgkmcnt(0)
	v_cndmask_b32_e32 v2, v4, v2, vcc_lo
	v_cndmask_b32_e32 v1, v3, v1, vcc_lo
	v_cndmask_b32_e64 v9, v5, 1, vcc_lo
.LBB168_318:
	s_or_b32 exec_lo, exec_lo, s3
	v_mov_b32_e32 v7, v9
.LBB168_319:
	s_or_b32 exec_lo, exec_lo, s2
	s_waitcnt lgkmcnt(0)
	v_or_b32_e32 v4, 16, v8
	v_add_nc_u32_e32 v6, 4, v6
	ds_bpermute_b32 v5, v4, v7
	ds_bpermute_b32 v3, v4, v1
	;; [unrolled: 1-line block ×3, first 2 shown]
	v_cmp_gt_u32_e32 vcc_lo, s0, v6
	s_and_saveexec_b32 s0, vcc_lo
	s_cbranch_execz .LBB168_325
; %bb.320:
	s_waitcnt lgkmcnt(2)
	v_and_b32_e32 v6, v7, v5
	s_mov_b32 s2, exec_lo
	v_and_b32_e32 v6, 1, v6
	v_cmpx_eq_u32_e32 1, v6
	s_xor_b32 s2, exec_lo, s2
	s_cbranch_execz .LBB168_322
; %bb.321:
	s_waitcnt lgkmcnt(0)
	v_cmp_lt_i64_e32 vcc_lo, v[3:4], v[1:2]
                                        ; implicit-def: $vgpr7
                                        ; implicit-def: $vgpr5
	v_cndmask_b32_e32 v2, v2, v4, vcc_lo
	v_cndmask_b32_e32 v1, v1, v3, vcc_lo
                                        ; implicit-def: $vgpr3_vgpr4
.LBB168_322:
	s_or_saveexec_b32 s2, s2
	v_mov_b32_e32 v6, 1
	s_xor_b32 exec_lo, exec_lo, s2
	s_cbranch_execz .LBB168_324
; %bb.323:
	v_and_b32_e32 v6, 1, v7
	v_cmp_eq_u32_e32 vcc_lo, 1, v6
	s_waitcnt lgkmcnt(0)
	v_cndmask_b32_e32 v2, v4, v2, vcc_lo
	v_cndmask_b32_e32 v1, v3, v1, vcc_lo
	v_cndmask_b32_e64 v6, v5, 1, vcc_lo
.LBB168_324:
	s_or_b32 exec_lo, exec_lo, s2
	v_mov_b32_e32 v7, v6
.LBB168_325:
	s_or_b32 exec_lo, exec_lo, s0
.LBB168_326:
	s_or_b32 exec_lo, exec_lo, s1
.LBB168_327:
                                        ; implicit-def: $vgpr3_vgpr4
                                        ; implicit-def: $vgpr5
	s_mov_b32 s0, exec_lo
	v_cmpx_eq_u32_e32 0, v0
	s_xor_b32 s2, exec_lo, s0
	s_cbranch_execz .LBB168_331
; %bb.328:
	s_waitcnt lgkmcnt(0)
	v_mov_b32_e32 v3, s20
	v_mov_b32_e32 v4, s21
	;; [unrolled: 1-line block ×3, first 2 shown]
	s_cmp_eq_u64 s[14:15], 0
	s_cbranch_scc1 .LBB168_330
; %bb.329:
	v_and_b32_e32 v3, 1, v7
	v_cmp_gt_i64_e32 vcc_lo, s[20:21], v[1:2]
	s_bitcmp1_b32 s24, 0
	s_cselect_b32 s1, -1, 0
	v_cmp_eq_u32_e64 s0, 1, v3
	v_cndmask_b32_e64 v5, v7, 1, s1
	s_and_b32 vcc_lo, s0, vcc_lo
	v_cndmask_b32_e32 v3, s20, v1, vcc_lo
	v_cndmask_b32_e32 v4, s21, v2, vcc_lo
	v_cndmask_b32_e64 v3, v1, v3, s1
	v_cndmask_b32_e64 v4, v2, v4, s1
.LBB168_330:
	s_or_b32 s22, s22, exec_lo
.LBB168_331:
	s_or_b32 exec_lo, exec_lo, s2
	v_mov_b32_e32 v1, s6
	v_mov_b32_e32 v2, s7
	s_branch .LBB168_356
.LBB168_332:
	s_cmp_eq_u32 s25, 1
	s_cbranch_scc0 .LBB168_355
; %bb.333:
	s_mov_b32 s3, 0
	s_lshr_b64 s[0:1], s[14:15], 8
	s_mov_b32 s7, s3
	s_lshl_b32 s2, s6, 8
	s_cmp_lg_u64 s[0:1], s[6:7]
	s_cbranch_scc0 .LBB168_359
; %bb.334:
	s_lshl_b64 s[0:1], s[2:3], 2
	v_lshlrev_b32_e32 v1, 2, v0
	s_add_u32 s8, s16, s0
	s_addc_u32 s9, s17, s1
	s_add_u32 s0, s18, s0
	s_addc_u32 s1, s19, s1
	s_waitcnt lgkmcnt(0)
	s_clause 0x1
	global_load_dword v4, v1, s[8:9]
	global_load_dword v5, v1, s[0:1]
	s_add_u32 s0, s12, s2
	s_addc_u32 s1, s13, 0
	v_add_co_u32 v1, s0, s0, v0
	v_add_co_ci_u32_e64 v2, null, s1, 0, s0
                                        ; implicit-def: $vgpr7
	v_mov_b32_dpp v3, v1 quad_perm:[1,0,3,2] row_mask:0xf bank_mask:0xf
	s_waitcnt vmcnt(0)
	v_cmp_ne_u32_e32 vcc_lo, v4, v5
	v_mov_b32_dpp v4, v2 quad_perm:[1,0,3,2] row_mask:0xf bank_mask:0xf
	v_cndmask_b32_e64 v5, 0, 1, vcc_lo
	v_cmp_lt_i64_e64 s0, v[1:2], v[3:4]
	v_mov_b32_dpp v5, v5 quad_perm:[1,0,3,2] row_mask:0xf bank_mask:0xf
	s_and_b32 s0, vcc_lo, s0
	v_cndmask_b32_e64 v3, v3, v1, s0
	v_and_b32_e32 v5, 1, v5
	v_cndmask_b32_e64 v4, v4, v2, s0
	v_cmp_eq_u32_e64 s0, 1, v5
	s_or_b32 s1, s0, vcc_lo
	v_cndmask_b32_e64 v4, v2, v4, s0
	v_cndmask_b32_e64 v2, 0, 1, s1
	;; [unrolled: 1-line block ×3, first 2 shown]
	v_mov_b32_dpp v6, v4 quad_perm:[2,3,0,1] row_mask:0xf bank_mask:0xf
	v_mov_b32_dpp v2, v2 quad_perm:[2,3,0,1] row_mask:0xf bank_mask:0xf
	;; [unrolled: 1-line block ×3, first 2 shown]
	v_and_b32_e32 v2, 1, v2
	v_cmp_eq_u32_e32 vcc_lo, 1, v2
                                        ; implicit-def: $vgpr1_vgpr2
	s_and_b32 s0, vcc_lo, s1
	s_xor_b32 s0, s0, -1
	s_and_saveexec_b32 s8, s0
	s_xor_b32 s0, exec_lo, s8
; %bb.335:
	s_or_b32 s1, vcc_lo, s1
	v_cndmask_b32_e32 v2, v4, v6, vcc_lo
	v_cndmask_b32_e32 v1, v3, v5, vcc_lo
	v_cndmask_b32_e64 v7, 0, 1, s1
                                        ; implicit-def: $vgpr3_vgpr4
                                        ; implicit-def: $vgpr5_vgpr6
; %bb.336:
	s_andn2_saveexec_b32 s0, s0
; %bb.337:
	v_cmp_lt_i64_e32 vcc_lo, v[3:4], v[5:6]
	v_mov_b32_e32 v7, 1
	v_cndmask_b32_e32 v2, v6, v4, vcc_lo
	v_cndmask_b32_e32 v1, v5, v3, vcc_lo
; %bb.338:
	s_or_b32 exec_lo, exec_lo, s0
	v_mov_b32_dpp v3, v1 row_ror:4 row_mask:0xf bank_mask:0xf
	v_mov_b32_dpp v4, v2 row_ror:4 row_mask:0xf bank_mask:0xf
	v_and_b32_e32 v6, 1, v7
	v_mov_b32_dpp v5, v7 row_ror:4 row_mask:0xf bank_mask:0xf
	v_mbcnt_lo_u32_b32 v8, -1, 0
	v_cmp_lt_i64_e32 vcc_lo, v[1:2], v[3:4]
	v_cmp_eq_u32_e64 s0, 1, v6
	v_and_b32_e32 v5, 1, v5
	s_and_b32 vcc_lo, s0, vcc_lo
	v_cmp_eq_u32_e64 s1, 1, v5
	v_cndmask_b32_e32 v3, v3, v1, vcc_lo
	v_cndmask_b32_e32 v4, v4, v2, vcc_lo
	v_cndmask_b32_e64 v5, v7, 1, s1
	v_cndmask_b32_e64 v1, v1, v3, s1
	;; [unrolled: 1-line block ×3, first 2 shown]
	v_and_b32_e32 v7, 1, v5
	v_mov_b32_dpp v3, v1 row_ror:8 row_mask:0xf bank_mask:0xf
	v_mov_b32_dpp v4, v2 row_ror:8 row_mask:0xf bank_mask:0xf
	;; [unrolled: 1-line block ×3, first 2 shown]
	v_cmp_eq_u32_e64 s0, 1, v7
	v_cmp_lt_i64_e32 vcc_lo, v[1:2], v[3:4]
	v_and_b32_e32 v6, 1, v6
	v_cmp_eq_u32_e64 s1, 1, v6
	s_and_b32 vcc_lo, s0, vcc_lo
	v_cndmask_b32_e32 v3, v3, v1, vcc_lo
	v_cndmask_b32_e32 v4, v4, v2, vcc_lo
	v_cndmask_b32_e64 v5, v5, 1, s1
	v_cndmask_b32_e64 v1, v1, v3, s1
	;; [unrolled: 1-line block ×3, first 2 shown]
	ds_swizzle_b32 v6, v5 offset:swizzle(BROADCAST,32,15)
	v_and_b32_e32 v7, 1, v5
	ds_swizzle_b32 v3, v1 offset:swizzle(BROADCAST,32,15)
	ds_swizzle_b32 v4, v2 offset:swizzle(BROADCAST,32,15)
	v_cmp_eq_u32_e64 s0, 1, v7
	s_waitcnt lgkmcnt(2)
	v_and_b32_e32 v6, 1, v6
	s_waitcnt lgkmcnt(0)
	v_cmp_lt_i64_e32 vcc_lo, v[1:2], v[3:4]
	v_cmp_eq_u32_e64 s1, 1, v6
	v_mov_b32_e32 v6, 0
	s_and_b32 vcc_lo, s0, vcc_lo
	v_cndmask_b32_e64 v5, v5, 1, s1
	v_cndmask_b32_e32 v3, v3, v1, vcc_lo
	v_cndmask_b32_e32 v4, v4, v2, vcc_lo
	s_mov_b32 s0, exec_lo
	ds_bpermute_b32 v7, v6, v5 offset:124
	v_cndmask_b32_e64 v1, v1, v3, s1
	v_cndmask_b32_e64 v2, v2, v4, s1
	ds_bpermute_b32 v1, v6, v1 offset:124
	ds_bpermute_b32 v2, v6, v2 offset:124
	v_cmpx_eq_u32_e32 0, v8
	s_cbranch_execz .LBB168_340
; %bb.339:
	v_lshrrev_b32_e32 v3, 1, v0
	v_and_b32_e32 v3, 0x70, v3
	s_waitcnt lgkmcnt(2)
	ds_write_b8 v3, v7
	s_waitcnt lgkmcnt(1)
	ds_write_b64 v3, v[1:2] offset:8
.LBB168_340:
	s_or_b32 exec_lo, exec_lo, s0
	s_mov_b32 s0, exec_lo
	s_waitcnt lgkmcnt(0)
	s_barrier
	buffer_gl0_inv
	v_cmpx_gt_u32_e32 32, v0
	s_cbranch_execz .LBB168_354
; %bb.341:
	v_and_b32_e32 v7, 7, v8
	v_lshlrev_b32_e32 v1, 4, v7
	v_cmp_ne_u32_e32 vcc_lo, 7, v7
	ds_read_u8 v10, v1
	ds_read_b64 v[3:4], v1 offset:8
	v_add_co_ci_u32_e64 v2, null, 0, v8, vcc_lo
	v_lshlrev_b32_e32 v2, 2, v2
	s_waitcnt lgkmcnt(1)
	v_and_b32_e32 v1, 0xff, v10
	s_waitcnt lgkmcnt(0)
	ds_bpermute_b32 v5, v2, v3
	ds_bpermute_b32 v6, v2, v4
	;; [unrolled: 1-line block ×3, first 2 shown]
	s_waitcnt lgkmcnt(0)
	v_and_b32_e32 v1, v10, v11
	v_and_b32_e32 v1, 1, v1
	v_cmp_eq_u32_e32 vcc_lo, 1, v1
                                        ; implicit-def: $vgpr1_vgpr2
	s_and_saveexec_b32 s1, vcc_lo
	s_xor_b32 s1, exec_lo, s1
; %bb.342:
	v_cmp_lt_i64_e32 vcc_lo, v[5:6], v[3:4]
                                        ; implicit-def: $vgpr10
                                        ; implicit-def: $vgpr11
	v_cndmask_b32_e32 v2, v4, v6, vcc_lo
	v_cndmask_b32_e32 v1, v3, v5, vcc_lo
                                        ; implicit-def: $vgpr5_vgpr6
                                        ; implicit-def: $vgpr3_vgpr4
; %bb.343:
	s_or_saveexec_b32 s1, s1
	v_mov_b32_e32 v9, 1
	s_xor_b32 exec_lo, exec_lo, s1
; %bb.344:
	v_and_b32_e32 v1, 1, v10
	v_and_b32_e32 v9, 0xff, v11
	v_cmp_eq_u32_e32 vcc_lo, 1, v1
	v_cndmask_b32_e32 v2, v6, v4, vcc_lo
	v_cndmask_b32_e32 v1, v5, v3, vcc_lo
	v_cndmask_b32_e64 v9, v9, 1, vcc_lo
; %bb.345:
	s_or_b32 exec_lo, exec_lo, s1
	v_cmp_gt_u32_e32 vcc_lo, 6, v7
	v_cndmask_b32_e64 v3, 0, 2, vcc_lo
	v_add_lshl_u32 v3, v3, v8, 2
	ds_bpermute_b32 v7, v3, v9
	ds_bpermute_b32 v5, v3, v1
	;; [unrolled: 1-line block ×3, first 2 shown]
	s_waitcnt lgkmcnt(2)
	v_and_b32_e32 v3, v9, v7
	v_and_b32_e32 v3, 1, v3
	v_cmp_eq_u32_e32 vcc_lo, 1, v3
                                        ; implicit-def: $vgpr3_vgpr4
	s_and_saveexec_b32 s1, vcc_lo
	s_xor_b32 s1, exec_lo, s1
	s_cbranch_execz .LBB168_347
; %bb.346:
	s_waitcnt lgkmcnt(0)
	v_cmp_lt_i64_e32 vcc_lo, v[5:6], v[1:2]
                                        ; implicit-def: $vgpr9
                                        ; implicit-def: $vgpr7
	v_cndmask_b32_e32 v4, v2, v6, vcc_lo
	v_cndmask_b32_e32 v3, v1, v5, vcc_lo
                                        ; implicit-def: $vgpr5_vgpr6
                                        ; implicit-def: $vgpr1_vgpr2
.LBB168_347:
	s_or_saveexec_b32 s1, s1
	v_lshlrev_b32_e32 v10, 2, v8
	v_mov_b32_e32 v8, 1
	s_xor_b32 exec_lo, exec_lo, s1
	s_cbranch_execz .LBB168_349
; %bb.348:
	v_and_b32_e32 v3, 1, v9
	v_and_b32_e32 v7, 0xff, v7
	v_cmp_eq_u32_e32 vcc_lo, 1, v3
	s_waitcnt lgkmcnt(0)
	v_cndmask_b32_e32 v4, v6, v2, vcc_lo
	v_cndmask_b32_e32 v3, v5, v1, vcc_lo
	v_cndmask_b32_e64 v8, v7, 1, vcc_lo
.LBB168_349:
	s_or_b32 exec_lo, exec_lo, s1
	v_or_b32_e32 v1, 16, v10
	ds_bpermute_b32 v9, v1, v8
	s_waitcnt lgkmcnt(2)
	ds_bpermute_b32 v5, v1, v3
	s_waitcnt lgkmcnt(2)
	;; [unrolled: 2-line block ×3, first 2 shown]
	v_and_b32_e32 v1, v8, v9
	v_and_b32_e32 v1, 1, v1
	v_cmp_eq_u32_e32 vcc_lo, 1, v1
                                        ; implicit-def: $vgpr1_vgpr2
	s_and_saveexec_b32 s1, vcc_lo
	s_xor_b32 s1, exec_lo, s1
	s_cbranch_execz .LBB168_351
; %bb.350:
	s_waitcnt lgkmcnt(0)
	v_cmp_lt_i64_e32 vcc_lo, v[5:6], v[3:4]
                                        ; implicit-def: $vgpr8
                                        ; implicit-def: $vgpr9
	v_cndmask_b32_e32 v2, v4, v6, vcc_lo
	v_cndmask_b32_e32 v1, v3, v5, vcc_lo
                                        ; implicit-def: $vgpr5_vgpr6
                                        ; implicit-def: $vgpr3_vgpr4
.LBB168_351:
	s_or_saveexec_b32 s1, s1
	v_mov_b32_e32 v7, 1
	s_xor_b32 exec_lo, exec_lo, s1
	s_cbranch_execz .LBB168_353
; %bb.352:
	v_and_b32_e32 v1, 1, v8
	v_cmp_eq_u32_e32 vcc_lo, 1, v1
	s_waitcnt lgkmcnt(0)
	v_cndmask_b32_e32 v2, v6, v4, vcc_lo
	v_cndmask_b32_e32 v1, v5, v3, vcc_lo
	v_cndmask_b32_e64 v7, v9, 1, vcc_lo
.LBB168_353:
	s_or_b32 exec_lo, exec_lo, s1
.LBB168_354:
	s_or_b32 exec_lo, exec_lo, s0
	s_branch .LBB168_415
.LBB168_355:
                                        ; implicit-def: $vgpr3_vgpr4
                                        ; implicit-def: $vgpr5
                                        ; implicit-def: $vgpr1_vgpr2
.LBB168_356:
	s_and_saveexec_b32 s0, s22
	s_cbranch_execz .LBB168_358
.LBB168_357:
	s_load_dwordx2 s[0:1], s[4:5], 0x38
	v_lshlrev_b64 v[0:1], 4, v[1:2]
	s_waitcnt lgkmcnt(0)
	v_add_co_u32 v0, vcc_lo, s0, v0
	v_add_co_ci_u32_e64 v1, null, s1, v1, vcc_lo
	global_store_byte v[0:1], v5, off
	global_store_dwordx2 v[0:1], v[3:4], off offset:8
.LBB168_358:
	s_endpgm
.LBB168_359:
                                        ; implicit-def: $vgpr1_vgpr2
                                        ; implicit-def: $vgpr7
	s_cbranch_execz .LBB168_415
; %bb.360:
	v_mov_b32_e32 v1, 0
	v_mov_b32_e32 v2, 0
	;; [unrolled: 1-line block ×3, first 2 shown]
	s_sub_i32 s0, s14, s2
	s_mov_b32 s1, exec_lo
	v_cmpx_gt_u32_e64 s0, v0
	s_cbranch_execz .LBB168_362
; %bb.361:
	s_lshl_b64 s[8:9], s[2:3], 2
	v_lshlrev_b32_e32 v1, 2, v0
	s_add_u32 s10, s18, s8
	s_addc_u32 s11, s19, s9
	s_add_u32 s8, s16, s8
	s_addc_u32 s9, s17, s9
	s_add_u32 s2, s12, s2
	s_waitcnt lgkmcnt(1)
	global_load_dword v3, v1, s[8:9]
	s_waitcnt lgkmcnt(0)
	global_load_dword v4, v1, s[10:11]
	s_addc_u32 s3, s13, 0
	v_add_co_u32 v1, s2, s2, v0
	v_add_co_ci_u32_e64 v2, null, s3, 0, s2
	s_waitcnt vmcnt(0)
	v_cmp_ne_u32_e32 vcc_lo, v3, v4
	v_cndmask_b32_e64 v8, 0, 1, vcc_lo
.LBB168_362:
	s_or_b32 exec_lo, exec_lo, s1
	s_waitcnt lgkmcnt(1)
	v_mbcnt_lo_u32_b32 v5, -1, 0
	v_and_b32_e32 v7, 0xffff, v8
	s_waitcnt lgkmcnt(0)
	v_and_b32_e32 v6, 0xe0, v0
	s_min_u32 s0, s0, 0x100
	s_mov_b32 s1, exec_lo
	v_cmp_ne_u32_e32 vcc_lo, 31, v5
	v_add_nc_u32_e32 v10, 1, v5
	v_sub_nc_u32_e64 v6, s0, v6 clamp
	v_add_co_ci_u32_e64 v3, null, 0, v5, vcc_lo
	v_lshlrev_b32_e32 v4, 2, v3
	ds_bpermute_b32 v9, v4, v7
	ds_bpermute_b32 v3, v4, v1
	;; [unrolled: 1-line block ×3, first 2 shown]
	v_cmpx_lt_u32_e64 v10, v6
	s_cbranch_execz .LBB168_368
; %bb.363:
	s_waitcnt lgkmcnt(2)
	v_and_b32_e32 v7, v9, v7
	s_mov_b32 s2, exec_lo
	v_and_b32_e32 v7, 1, v7
	v_cmpx_eq_u32_e32 1, v7
	s_xor_b32 s2, exec_lo, s2
	s_cbranch_execz .LBB168_365
; %bb.364:
	s_waitcnt lgkmcnt(0)
	v_cmp_lt_i64_e32 vcc_lo, v[3:4], v[1:2]
                                        ; implicit-def: $vgpr8
                                        ; implicit-def: $vgpr9
	v_cndmask_b32_e32 v2, v2, v4, vcc_lo
	v_cndmask_b32_e32 v1, v1, v3, vcc_lo
                                        ; implicit-def: $vgpr3_vgpr4
.LBB168_365:
	s_or_saveexec_b32 s2, s2
	v_mov_b32_e32 v7, 1
	s_xor_b32 exec_lo, exec_lo, s2
	s_cbranch_execz .LBB168_367
; %bb.366:
	v_and_b32_e32 v7, 1, v8
	v_cmp_eq_u32_e32 vcc_lo, 1, v7
	v_and_b32_e32 v7, 0xff, v9
	s_waitcnt lgkmcnt(0)
	v_cndmask_b32_e32 v2, v4, v2, vcc_lo
	v_cndmask_b32_e32 v1, v3, v1, vcc_lo
	v_cndmask_b32_e64 v7, v7, 1, vcc_lo
.LBB168_367:
	s_or_b32 exec_lo, exec_lo, s2
.LBB168_368:
	s_or_b32 exec_lo, exec_lo, s1
	v_cmp_gt_u32_e32 vcc_lo, 30, v5
	s_waitcnt lgkmcnt(2)
	v_add_nc_u32_e32 v9, 2, v5
	s_mov_b32 s1, exec_lo
	s_waitcnt lgkmcnt(1)
	v_cndmask_b32_e64 v3, 0, 2, vcc_lo
	s_waitcnt lgkmcnt(0)
	v_add_lshl_u32 v4, v3, v5, 2
	ds_bpermute_b32 v8, v4, v7
	ds_bpermute_b32 v3, v4, v1
	;; [unrolled: 1-line block ×3, first 2 shown]
	v_cmpx_lt_u32_e64 v9, v6
	s_cbranch_execz .LBB168_374
; %bb.369:
	s_waitcnt lgkmcnt(2)
	v_and_b32_e32 v9, v7, v8
	s_mov_b32 s2, exec_lo
	v_and_b32_e32 v9, 1, v9
	v_cmpx_eq_u32_e32 1, v9
	s_xor_b32 s2, exec_lo, s2
	s_cbranch_execz .LBB168_371
; %bb.370:
	s_waitcnt lgkmcnt(0)
	v_cmp_lt_i64_e32 vcc_lo, v[3:4], v[1:2]
                                        ; implicit-def: $vgpr7
                                        ; implicit-def: $vgpr8
	v_cndmask_b32_e32 v2, v2, v4, vcc_lo
	v_cndmask_b32_e32 v1, v1, v3, vcc_lo
                                        ; implicit-def: $vgpr3_vgpr4
.LBB168_371:
	s_or_saveexec_b32 s2, s2
	v_mov_b32_e32 v9, 1
	s_xor_b32 exec_lo, exec_lo, s2
	s_cbranch_execz .LBB168_373
; %bb.372:
	v_and_b32_e32 v7, 1, v7
	v_cmp_eq_u32_e32 vcc_lo, 1, v7
	v_and_b32_e32 v7, 0xff, v8
	s_waitcnt lgkmcnt(0)
	v_cndmask_b32_e32 v2, v4, v2, vcc_lo
	v_cndmask_b32_e32 v1, v3, v1, vcc_lo
	v_cndmask_b32_e64 v9, v7, 1, vcc_lo
.LBB168_373:
	s_or_b32 exec_lo, exec_lo, s2
	v_mov_b32_e32 v7, v9
.LBB168_374:
	s_or_b32 exec_lo, exec_lo, s1
	v_cmp_gt_u32_e32 vcc_lo, 28, v5
	v_add_nc_u32_e32 v9, 4, v5
	s_mov_b32 s1, exec_lo
	s_waitcnt lgkmcnt(1)
	v_cndmask_b32_e64 v3, 0, 4, vcc_lo
	s_waitcnt lgkmcnt(0)
	v_add_lshl_u32 v4, v3, v5, 2
	ds_bpermute_b32 v8, v4, v7
	ds_bpermute_b32 v3, v4, v1
	;; [unrolled: 1-line block ×3, first 2 shown]
	v_cmpx_lt_u32_e64 v9, v6
	s_cbranch_execz .LBB168_380
; %bb.375:
	s_waitcnt lgkmcnt(2)
	v_and_b32_e32 v9, v7, v8
	s_mov_b32 s2, exec_lo
	v_and_b32_e32 v9, 1, v9
	v_cmpx_eq_u32_e32 1, v9
	s_xor_b32 s2, exec_lo, s2
	s_cbranch_execz .LBB168_377
; %bb.376:
	s_waitcnt lgkmcnt(0)
	v_cmp_lt_i64_e32 vcc_lo, v[3:4], v[1:2]
                                        ; implicit-def: $vgpr7
                                        ; implicit-def: $vgpr8
	v_cndmask_b32_e32 v2, v2, v4, vcc_lo
	v_cndmask_b32_e32 v1, v1, v3, vcc_lo
                                        ; implicit-def: $vgpr3_vgpr4
.LBB168_377:
	s_or_saveexec_b32 s2, s2
	v_mov_b32_e32 v9, 1
	s_xor_b32 exec_lo, exec_lo, s2
	s_cbranch_execz .LBB168_379
; %bb.378:
	v_and_b32_e32 v7, 1, v7
	v_cmp_eq_u32_e32 vcc_lo, 1, v7
	v_and_b32_e32 v7, 0xff, v8
	s_waitcnt lgkmcnt(0)
	v_cndmask_b32_e32 v2, v4, v2, vcc_lo
	v_cndmask_b32_e32 v1, v3, v1, vcc_lo
	v_cndmask_b32_e64 v9, v7, 1, vcc_lo
.LBB168_379:
	s_or_b32 exec_lo, exec_lo, s2
	v_mov_b32_e32 v7, v9
.LBB168_380:
	s_or_b32 exec_lo, exec_lo, s1
	v_cmp_gt_u32_e32 vcc_lo, 24, v5
	v_add_nc_u32_e32 v9, 8, v5
	s_mov_b32 s1, exec_lo
	s_waitcnt lgkmcnt(1)
	v_cndmask_b32_e64 v3, 0, 8, vcc_lo
	s_waitcnt lgkmcnt(0)
	v_add_lshl_u32 v4, v3, v5, 2
	ds_bpermute_b32 v8, v4, v7
	ds_bpermute_b32 v3, v4, v1
	;; [unrolled: 1-line block ×3, first 2 shown]
	v_cmpx_lt_u32_e64 v9, v6
	s_cbranch_execz .LBB168_386
; %bb.381:
	s_waitcnt lgkmcnt(2)
	v_and_b32_e32 v9, v7, v8
	s_mov_b32 s2, exec_lo
	v_and_b32_e32 v9, 1, v9
	v_cmpx_eq_u32_e32 1, v9
	s_xor_b32 s2, exec_lo, s2
	s_cbranch_execz .LBB168_383
; %bb.382:
	s_waitcnt lgkmcnt(0)
	v_cmp_lt_i64_e32 vcc_lo, v[3:4], v[1:2]
                                        ; implicit-def: $vgpr7
                                        ; implicit-def: $vgpr8
	v_cndmask_b32_e32 v2, v2, v4, vcc_lo
	v_cndmask_b32_e32 v1, v1, v3, vcc_lo
                                        ; implicit-def: $vgpr3_vgpr4
.LBB168_383:
	s_or_saveexec_b32 s2, s2
	v_mov_b32_e32 v9, 1
	s_xor_b32 exec_lo, exec_lo, s2
	s_cbranch_execz .LBB168_385
; %bb.384:
	v_and_b32_e32 v7, 1, v7
	v_cmp_eq_u32_e32 vcc_lo, 1, v7
	v_and_b32_e32 v7, 0xff, v8
	s_waitcnt lgkmcnt(0)
	v_cndmask_b32_e32 v2, v4, v2, vcc_lo
	v_cndmask_b32_e32 v1, v3, v1, vcc_lo
	v_cndmask_b32_e64 v9, v7, 1, vcc_lo
.LBB168_385:
	s_or_b32 exec_lo, exec_lo, s2
	v_mov_b32_e32 v7, v9
.LBB168_386:
	s_or_b32 exec_lo, exec_lo, s1
	s_waitcnt lgkmcnt(2)
	v_lshlrev_b32_e32 v8, 2, v5
	v_add_nc_u32_e32 v10, 16, v5
	s_waitcnt lgkmcnt(0)
	v_or_b32_e32 v4, 64, v8
	v_cmp_lt_u32_e32 vcc_lo, v10, v6
	v_mov_b32_e32 v6, v7
	ds_bpermute_b32 v9, v4, v7
	ds_bpermute_b32 v3, v4, v1
	;; [unrolled: 1-line block ×3, first 2 shown]
	s_and_saveexec_b32 s1, vcc_lo
	s_cbranch_execz .LBB168_392
; %bb.387:
	s_waitcnt lgkmcnt(2)
	v_and_b32_e32 v6, v7, v9
	s_mov_b32 s2, exec_lo
	v_and_b32_e32 v6, 1, v6
	v_cmpx_eq_u32_e32 1, v6
	s_xor_b32 s2, exec_lo, s2
	s_cbranch_execz .LBB168_389
; %bb.388:
	s_waitcnt lgkmcnt(0)
	v_cmp_lt_i64_e32 vcc_lo, v[3:4], v[1:2]
                                        ; implicit-def: $vgpr7
                                        ; implicit-def: $vgpr9
	v_cndmask_b32_e32 v2, v2, v4, vcc_lo
	v_cndmask_b32_e32 v1, v1, v3, vcc_lo
                                        ; implicit-def: $vgpr3_vgpr4
.LBB168_389:
	s_or_saveexec_b32 s2, s2
	v_mov_b32_e32 v6, 1
	s_xor_b32 exec_lo, exec_lo, s2
	s_cbranch_execz .LBB168_391
; %bb.390:
	v_and_b32_e32 v6, 1, v7
	v_cmp_eq_u32_e32 vcc_lo, 1, v6
	v_cndmask_b32_e64 v6, v9, 1, vcc_lo
	s_waitcnt lgkmcnt(0)
	v_cndmask_b32_e32 v2, v4, v2, vcc_lo
	v_cndmask_b32_e32 v1, v3, v1, vcc_lo
.LBB168_391:
	s_or_b32 exec_lo, exec_lo, s2
	v_and_b32_e32 v7, 0xff, v6
.LBB168_392:
	s_or_b32 exec_lo, exec_lo, s1
	s_mov_b32 s1, exec_lo
	v_cmpx_eq_u32_e32 0, v5
	s_cbranch_execz .LBB168_394
; %bb.393:
	s_waitcnt lgkmcnt(1)
	v_lshrrev_b32_e32 v3, 1, v0
	v_and_b32_e32 v3, 0x70, v3
	ds_write_b8 v3, v6 offset:512
	ds_write_b64 v3, v[1:2] offset:520
.LBB168_394:
	s_or_b32 exec_lo, exec_lo, s1
	s_mov_b32 s1, exec_lo
	s_waitcnt lgkmcnt(0)
	s_barrier
	buffer_gl0_inv
	v_cmpx_gt_u32_e32 8, v0
	s_cbranch_execz .LBB168_414
; %bb.395:
	v_lshlrev_b32_e32 v1, 4, v5
	v_and_b32_e32 v6, 7, v5
	s_add_i32 s0, s0, 31
	s_mov_b32 s2, exec_lo
	s_lshr_b32 s0, s0, 5
	ds_read_u8 v9, v1 offset:512
	ds_read_b64 v[1:2], v1 offset:520
	v_cmp_ne_u32_e32 vcc_lo, 7, v6
	v_add_nc_u32_e32 v11, 1, v6
	v_add_co_ci_u32_e64 v3, null, 0, v5, vcc_lo
	v_lshlrev_b32_e32 v4, 2, v3
	s_waitcnt lgkmcnt(1)
	v_and_b32_e32 v7, 0xff, v9
	s_waitcnt lgkmcnt(0)
	ds_bpermute_b32 v3, v4, v1
	ds_bpermute_b32 v10, v4, v7
	ds_bpermute_b32 v4, v4, v2
	v_cmpx_gt_u32_e64 s0, v11
	s_cbranch_execz .LBB168_401
; %bb.396:
	s_waitcnt lgkmcnt(1)
	v_and_b32_e32 v7, v7, v10
	s_mov_b32 s3, exec_lo
	v_and_b32_e32 v7, 1, v7
	v_cmpx_eq_u32_e32 1, v7
	s_xor_b32 s3, exec_lo, s3
	s_cbranch_execz .LBB168_398
; %bb.397:
	s_waitcnt lgkmcnt(0)
	v_cmp_lt_i64_e32 vcc_lo, v[3:4], v[1:2]
                                        ; implicit-def: $vgpr9
                                        ; implicit-def: $vgpr10
	v_cndmask_b32_e32 v2, v2, v4, vcc_lo
	v_cndmask_b32_e32 v1, v1, v3, vcc_lo
                                        ; implicit-def: $vgpr3_vgpr4
.LBB168_398:
	s_or_saveexec_b32 s3, s3
	v_mov_b32_e32 v7, 1
	s_xor_b32 exec_lo, exec_lo, s3
	s_cbranch_execz .LBB168_400
; %bb.399:
	v_and_b32_e32 v7, 1, v9
	v_cmp_eq_u32_e32 vcc_lo, 1, v7
	v_and_b32_e32 v7, 0xff, v10
	s_waitcnt lgkmcnt(0)
	v_cndmask_b32_e32 v2, v4, v2, vcc_lo
	v_cndmask_b32_e32 v1, v3, v1, vcc_lo
	v_cndmask_b32_e64 v7, v7, 1, vcc_lo
.LBB168_400:
	s_or_b32 exec_lo, exec_lo, s3
.LBB168_401:
	s_or_b32 exec_lo, exec_lo, s2
	v_cmp_gt_u32_e32 vcc_lo, 6, v6
	v_add_nc_u32_e32 v9, 2, v6
	s_mov_b32 s2, exec_lo
	s_waitcnt lgkmcnt(2)
	v_cndmask_b32_e64 v3, 0, 2, vcc_lo
	s_waitcnt lgkmcnt(0)
	v_add_lshl_u32 v4, v3, v5, 2
	ds_bpermute_b32 v5, v4, v7
	ds_bpermute_b32 v3, v4, v1
	ds_bpermute_b32 v4, v4, v2
	v_cmpx_gt_u32_e64 s0, v9
	s_cbranch_execz .LBB168_407
; %bb.402:
	s_waitcnt lgkmcnt(2)
	v_and_b32_e32 v9, v7, v5
	s_mov_b32 s3, exec_lo
	v_and_b32_e32 v9, 1, v9
	v_cmpx_eq_u32_e32 1, v9
	s_xor_b32 s3, exec_lo, s3
	s_cbranch_execz .LBB168_404
; %bb.403:
	s_waitcnt lgkmcnt(0)
	v_cmp_lt_i64_e32 vcc_lo, v[3:4], v[1:2]
                                        ; implicit-def: $vgpr7
                                        ; implicit-def: $vgpr5
	v_cndmask_b32_e32 v2, v2, v4, vcc_lo
	v_cndmask_b32_e32 v1, v1, v3, vcc_lo
                                        ; implicit-def: $vgpr3_vgpr4
.LBB168_404:
	s_or_saveexec_b32 s3, s3
	v_mov_b32_e32 v9, 1
	s_xor_b32 exec_lo, exec_lo, s3
	s_cbranch_execz .LBB168_406
; %bb.405:
	v_and_b32_e32 v7, 1, v7
	v_and_b32_e32 v5, 0xff, v5
	v_cmp_eq_u32_e32 vcc_lo, 1, v7
	s_waitcnt lgkmcnt(0)
	v_cndmask_b32_e32 v2, v4, v2, vcc_lo
	v_cndmask_b32_e32 v1, v3, v1, vcc_lo
	v_cndmask_b32_e64 v9, v5, 1, vcc_lo
.LBB168_406:
	s_or_b32 exec_lo, exec_lo, s3
	v_mov_b32_e32 v7, v9
.LBB168_407:
	s_or_b32 exec_lo, exec_lo, s2
	s_waitcnt lgkmcnt(0)
	v_or_b32_e32 v4, 16, v8
	v_add_nc_u32_e32 v6, 4, v6
	ds_bpermute_b32 v5, v4, v7
	ds_bpermute_b32 v3, v4, v1
	;; [unrolled: 1-line block ×3, first 2 shown]
	v_cmp_gt_u32_e32 vcc_lo, s0, v6
	s_and_saveexec_b32 s0, vcc_lo
	s_cbranch_execz .LBB168_413
; %bb.408:
	s_waitcnt lgkmcnt(2)
	v_and_b32_e32 v6, v7, v5
	s_mov_b32 s2, exec_lo
	v_and_b32_e32 v6, 1, v6
	v_cmpx_eq_u32_e32 1, v6
	s_xor_b32 s2, exec_lo, s2
	s_cbranch_execz .LBB168_410
; %bb.409:
	s_waitcnt lgkmcnt(0)
	v_cmp_lt_i64_e32 vcc_lo, v[3:4], v[1:2]
                                        ; implicit-def: $vgpr7
                                        ; implicit-def: $vgpr5
	v_cndmask_b32_e32 v2, v2, v4, vcc_lo
	v_cndmask_b32_e32 v1, v1, v3, vcc_lo
                                        ; implicit-def: $vgpr3_vgpr4
.LBB168_410:
	s_or_saveexec_b32 s2, s2
	v_mov_b32_e32 v6, 1
	s_xor_b32 exec_lo, exec_lo, s2
	s_cbranch_execz .LBB168_412
; %bb.411:
	v_and_b32_e32 v6, 1, v7
	v_cmp_eq_u32_e32 vcc_lo, 1, v6
	s_waitcnt lgkmcnt(0)
	v_cndmask_b32_e32 v2, v4, v2, vcc_lo
	v_cndmask_b32_e32 v1, v3, v1, vcc_lo
	v_cndmask_b32_e64 v6, v5, 1, vcc_lo
.LBB168_412:
	s_or_b32 exec_lo, exec_lo, s2
	v_mov_b32_e32 v7, v6
.LBB168_413:
	s_or_b32 exec_lo, exec_lo, s0
.LBB168_414:
	s_or_b32 exec_lo, exec_lo, s1
.LBB168_415:
	s_mov_b32 s2, exec_lo
                                        ; implicit-def: $vgpr3_vgpr4
                                        ; implicit-def: $vgpr5
	v_cmpx_eq_u32_e32 0, v0
	s_cbranch_execz .LBB168_419
; %bb.416:
	s_waitcnt lgkmcnt(0)
	v_mov_b32_e32 v3, s20
	v_mov_b32_e32 v4, s21
	;; [unrolled: 1-line block ×3, first 2 shown]
	s_cmp_eq_u64 s[14:15], 0
	s_cbranch_scc1 .LBB168_418
; %bb.417:
	v_and_b32_e32 v0, 1, v7
	v_cmp_gt_i64_e32 vcc_lo, s[20:21], v[1:2]
	s_bitcmp1_b32 s24, 0
	s_cselect_b32 s1, -1, 0
	v_cmp_eq_u32_e64 s0, 1, v0
	v_cndmask_b32_e64 v5, v7, 1, s1
	s_and_b32 vcc_lo, s0, vcc_lo
	v_cndmask_b32_e32 v0, s20, v1, vcc_lo
	v_cndmask_b32_e32 v3, s21, v2, vcc_lo
	v_cndmask_b32_e64 v4, v2, v3, s1
	v_cndmask_b32_e64 v3, v1, v0, s1
.LBB168_418:
	s_or_b32 s22, s22, exec_lo
.LBB168_419:
	s_or_b32 exec_lo, exec_lo, s2
	v_mov_b32_e32 v1, s6
	v_mov_b32_e32 v2, s7
	s_and_saveexec_b32 s0, s22
	s_cbranch_execnz .LBB168_357
	s_branch .LBB168_358
	.section	.rodata,"a",@progbits
	.p2align	6, 0x0
	.amdhsa_kernel _ZN7rocprim17ROCPRIM_400000_NS6detail17trampoline_kernelINS0_14default_configENS1_22reduce_config_selectorIN6thrust23THRUST_200600_302600_NS5tupleIblNS6_9null_typeES8_S8_S8_S8_S8_S8_S8_EEEEZNS1_11reduce_implILb1ES3_NS6_12zip_iteratorINS7_INS6_11hip_rocprim26transform_input_iterator_tIbNSD_35transform_pair_of_input_iterators_tIbNS6_6detail15normal_iteratorINS6_10device_ptrIKjEEEESL_NS6_8equal_toIjEEEENSG_9not_fun_tINSD_8identityEEEEENSD_19counting_iterator_tIlEES8_S8_S8_S8_S8_S8_S8_S8_EEEEPS9_S9_NSD_9__find_if7functorIS9_EEEE10hipError_tPvRmT1_T2_T3_mT4_P12ihipStream_tbEUlT_E1_NS1_11comp_targetILNS1_3genE8ELNS1_11target_archE1030ELNS1_3gpuE2ELNS1_3repE0EEENS1_30default_config_static_selectorELNS0_4arch9wavefront6targetE0EEEvS14_
		.amdhsa_group_segment_fixed_size 640
		.amdhsa_private_segment_fixed_size 0
		.amdhsa_kernarg_size 88
		.amdhsa_user_sgpr_count 6
		.amdhsa_user_sgpr_private_segment_buffer 1
		.amdhsa_user_sgpr_dispatch_ptr 0
		.amdhsa_user_sgpr_queue_ptr 0
		.amdhsa_user_sgpr_kernarg_segment_ptr 1
		.amdhsa_user_sgpr_dispatch_id 0
		.amdhsa_user_sgpr_flat_scratch_init 0
		.amdhsa_user_sgpr_private_segment_size 0
		.amdhsa_wavefront_size32 1
		.amdhsa_uses_dynamic_stack 0
		.amdhsa_system_sgpr_private_segment_wavefront_offset 0
		.amdhsa_system_sgpr_workgroup_id_x 1
		.amdhsa_system_sgpr_workgroup_id_y 0
		.amdhsa_system_sgpr_workgroup_id_z 0
		.amdhsa_system_sgpr_workgroup_info 0
		.amdhsa_system_vgpr_workitem_id 0
		.amdhsa_next_free_vgpr 27
		.amdhsa_next_free_sgpr 32
		.amdhsa_reserve_vcc 1
		.amdhsa_reserve_flat_scratch 0
		.amdhsa_float_round_mode_32 0
		.amdhsa_float_round_mode_16_64 0
		.amdhsa_float_denorm_mode_32 3
		.amdhsa_float_denorm_mode_16_64 3
		.amdhsa_dx10_clamp 1
		.amdhsa_ieee_mode 1
		.amdhsa_fp16_overflow 0
		.amdhsa_workgroup_processor_mode 1
		.amdhsa_memory_ordered 1
		.amdhsa_forward_progress 1
		.amdhsa_shared_vgpr_count 0
		.amdhsa_exception_fp_ieee_invalid_op 0
		.amdhsa_exception_fp_denorm_src 0
		.amdhsa_exception_fp_ieee_div_zero 0
		.amdhsa_exception_fp_ieee_overflow 0
		.amdhsa_exception_fp_ieee_underflow 0
		.amdhsa_exception_fp_ieee_inexact 0
		.amdhsa_exception_int_div_zero 0
	.end_amdhsa_kernel
	.section	.text._ZN7rocprim17ROCPRIM_400000_NS6detail17trampoline_kernelINS0_14default_configENS1_22reduce_config_selectorIN6thrust23THRUST_200600_302600_NS5tupleIblNS6_9null_typeES8_S8_S8_S8_S8_S8_S8_EEEEZNS1_11reduce_implILb1ES3_NS6_12zip_iteratorINS7_INS6_11hip_rocprim26transform_input_iterator_tIbNSD_35transform_pair_of_input_iterators_tIbNS6_6detail15normal_iteratorINS6_10device_ptrIKjEEEESL_NS6_8equal_toIjEEEENSG_9not_fun_tINSD_8identityEEEEENSD_19counting_iterator_tIlEES8_S8_S8_S8_S8_S8_S8_S8_EEEEPS9_S9_NSD_9__find_if7functorIS9_EEEE10hipError_tPvRmT1_T2_T3_mT4_P12ihipStream_tbEUlT_E1_NS1_11comp_targetILNS1_3genE8ELNS1_11target_archE1030ELNS1_3gpuE2ELNS1_3repE0EEENS1_30default_config_static_selectorELNS0_4arch9wavefront6targetE0EEEvS14_,"axG",@progbits,_ZN7rocprim17ROCPRIM_400000_NS6detail17trampoline_kernelINS0_14default_configENS1_22reduce_config_selectorIN6thrust23THRUST_200600_302600_NS5tupleIblNS6_9null_typeES8_S8_S8_S8_S8_S8_S8_EEEEZNS1_11reduce_implILb1ES3_NS6_12zip_iteratorINS7_INS6_11hip_rocprim26transform_input_iterator_tIbNSD_35transform_pair_of_input_iterators_tIbNS6_6detail15normal_iteratorINS6_10device_ptrIKjEEEESL_NS6_8equal_toIjEEEENSG_9not_fun_tINSD_8identityEEEEENSD_19counting_iterator_tIlEES8_S8_S8_S8_S8_S8_S8_S8_EEEEPS9_S9_NSD_9__find_if7functorIS9_EEEE10hipError_tPvRmT1_T2_T3_mT4_P12ihipStream_tbEUlT_E1_NS1_11comp_targetILNS1_3genE8ELNS1_11target_archE1030ELNS1_3gpuE2ELNS1_3repE0EEENS1_30default_config_static_selectorELNS0_4arch9wavefront6targetE0EEEvS14_,comdat
.Lfunc_end168:
	.size	_ZN7rocprim17ROCPRIM_400000_NS6detail17trampoline_kernelINS0_14default_configENS1_22reduce_config_selectorIN6thrust23THRUST_200600_302600_NS5tupleIblNS6_9null_typeES8_S8_S8_S8_S8_S8_S8_EEEEZNS1_11reduce_implILb1ES3_NS6_12zip_iteratorINS7_INS6_11hip_rocprim26transform_input_iterator_tIbNSD_35transform_pair_of_input_iterators_tIbNS6_6detail15normal_iteratorINS6_10device_ptrIKjEEEESL_NS6_8equal_toIjEEEENSG_9not_fun_tINSD_8identityEEEEENSD_19counting_iterator_tIlEES8_S8_S8_S8_S8_S8_S8_S8_EEEEPS9_S9_NSD_9__find_if7functorIS9_EEEE10hipError_tPvRmT1_T2_T3_mT4_P12ihipStream_tbEUlT_E1_NS1_11comp_targetILNS1_3genE8ELNS1_11target_archE1030ELNS1_3gpuE2ELNS1_3repE0EEENS1_30default_config_static_selectorELNS0_4arch9wavefront6targetE0EEEvS14_, .Lfunc_end168-_ZN7rocprim17ROCPRIM_400000_NS6detail17trampoline_kernelINS0_14default_configENS1_22reduce_config_selectorIN6thrust23THRUST_200600_302600_NS5tupleIblNS6_9null_typeES8_S8_S8_S8_S8_S8_S8_EEEEZNS1_11reduce_implILb1ES3_NS6_12zip_iteratorINS7_INS6_11hip_rocprim26transform_input_iterator_tIbNSD_35transform_pair_of_input_iterators_tIbNS6_6detail15normal_iteratorINS6_10device_ptrIKjEEEESL_NS6_8equal_toIjEEEENSG_9not_fun_tINSD_8identityEEEEENSD_19counting_iterator_tIlEES8_S8_S8_S8_S8_S8_S8_S8_EEEEPS9_S9_NSD_9__find_if7functorIS9_EEEE10hipError_tPvRmT1_T2_T3_mT4_P12ihipStream_tbEUlT_E1_NS1_11comp_targetILNS1_3genE8ELNS1_11target_archE1030ELNS1_3gpuE2ELNS1_3repE0EEENS1_30default_config_static_selectorELNS0_4arch9wavefront6targetE0EEEvS14_
                                        ; -- End function
	.set _ZN7rocprim17ROCPRIM_400000_NS6detail17trampoline_kernelINS0_14default_configENS1_22reduce_config_selectorIN6thrust23THRUST_200600_302600_NS5tupleIblNS6_9null_typeES8_S8_S8_S8_S8_S8_S8_EEEEZNS1_11reduce_implILb1ES3_NS6_12zip_iteratorINS7_INS6_11hip_rocprim26transform_input_iterator_tIbNSD_35transform_pair_of_input_iterators_tIbNS6_6detail15normal_iteratorINS6_10device_ptrIKjEEEESL_NS6_8equal_toIjEEEENSG_9not_fun_tINSD_8identityEEEEENSD_19counting_iterator_tIlEES8_S8_S8_S8_S8_S8_S8_S8_EEEEPS9_S9_NSD_9__find_if7functorIS9_EEEE10hipError_tPvRmT1_T2_T3_mT4_P12ihipStream_tbEUlT_E1_NS1_11comp_targetILNS1_3genE8ELNS1_11target_archE1030ELNS1_3gpuE2ELNS1_3repE0EEENS1_30default_config_static_selectorELNS0_4arch9wavefront6targetE0EEEvS14_.num_vgpr, 27
	.set _ZN7rocprim17ROCPRIM_400000_NS6detail17trampoline_kernelINS0_14default_configENS1_22reduce_config_selectorIN6thrust23THRUST_200600_302600_NS5tupleIblNS6_9null_typeES8_S8_S8_S8_S8_S8_S8_EEEEZNS1_11reduce_implILb1ES3_NS6_12zip_iteratorINS7_INS6_11hip_rocprim26transform_input_iterator_tIbNSD_35transform_pair_of_input_iterators_tIbNS6_6detail15normal_iteratorINS6_10device_ptrIKjEEEESL_NS6_8equal_toIjEEEENSG_9not_fun_tINSD_8identityEEEEENSD_19counting_iterator_tIlEES8_S8_S8_S8_S8_S8_S8_S8_EEEEPS9_S9_NSD_9__find_if7functorIS9_EEEE10hipError_tPvRmT1_T2_T3_mT4_P12ihipStream_tbEUlT_E1_NS1_11comp_targetILNS1_3genE8ELNS1_11target_archE1030ELNS1_3gpuE2ELNS1_3repE0EEENS1_30default_config_static_selectorELNS0_4arch9wavefront6targetE0EEEvS14_.num_agpr, 0
	.set _ZN7rocprim17ROCPRIM_400000_NS6detail17trampoline_kernelINS0_14default_configENS1_22reduce_config_selectorIN6thrust23THRUST_200600_302600_NS5tupleIblNS6_9null_typeES8_S8_S8_S8_S8_S8_S8_EEEEZNS1_11reduce_implILb1ES3_NS6_12zip_iteratorINS7_INS6_11hip_rocprim26transform_input_iterator_tIbNSD_35transform_pair_of_input_iterators_tIbNS6_6detail15normal_iteratorINS6_10device_ptrIKjEEEESL_NS6_8equal_toIjEEEENSG_9not_fun_tINSD_8identityEEEEENSD_19counting_iterator_tIlEES8_S8_S8_S8_S8_S8_S8_S8_EEEEPS9_S9_NSD_9__find_if7functorIS9_EEEE10hipError_tPvRmT1_T2_T3_mT4_P12ihipStream_tbEUlT_E1_NS1_11comp_targetILNS1_3genE8ELNS1_11target_archE1030ELNS1_3gpuE2ELNS1_3repE0EEENS1_30default_config_static_selectorELNS0_4arch9wavefront6targetE0EEEvS14_.numbered_sgpr, 32
	.set _ZN7rocprim17ROCPRIM_400000_NS6detail17trampoline_kernelINS0_14default_configENS1_22reduce_config_selectorIN6thrust23THRUST_200600_302600_NS5tupleIblNS6_9null_typeES8_S8_S8_S8_S8_S8_S8_EEEEZNS1_11reduce_implILb1ES3_NS6_12zip_iteratorINS7_INS6_11hip_rocprim26transform_input_iterator_tIbNSD_35transform_pair_of_input_iterators_tIbNS6_6detail15normal_iteratorINS6_10device_ptrIKjEEEESL_NS6_8equal_toIjEEEENSG_9not_fun_tINSD_8identityEEEEENSD_19counting_iterator_tIlEES8_S8_S8_S8_S8_S8_S8_S8_EEEEPS9_S9_NSD_9__find_if7functorIS9_EEEE10hipError_tPvRmT1_T2_T3_mT4_P12ihipStream_tbEUlT_E1_NS1_11comp_targetILNS1_3genE8ELNS1_11target_archE1030ELNS1_3gpuE2ELNS1_3repE0EEENS1_30default_config_static_selectorELNS0_4arch9wavefront6targetE0EEEvS14_.num_named_barrier, 0
	.set _ZN7rocprim17ROCPRIM_400000_NS6detail17trampoline_kernelINS0_14default_configENS1_22reduce_config_selectorIN6thrust23THRUST_200600_302600_NS5tupleIblNS6_9null_typeES8_S8_S8_S8_S8_S8_S8_EEEEZNS1_11reduce_implILb1ES3_NS6_12zip_iteratorINS7_INS6_11hip_rocprim26transform_input_iterator_tIbNSD_35transform_pair_of_input_iterators_tIbNS6_6detail15normal_iteratorINS6_10device_ptrIKjEEEESL_NS6_8equal_toIjEEEENSG_9not_fun_tINSD_8identityEEEEENSD_19counting_iterator_tIlEES8_S8_S8_S8_S8_S8_S8_S8_EEEEPS9_S9_NSD_9__find_if7functorIS9_EEEE10hipError_tPvRmT1_T2_T3_mT4_P12ihipStream_tbEUlT_E1_NS1_11comp_targetILNS1_3genE8ELNS1_11target_archE1030ELNS1_3gpuE2ELNS1_3repE0EEENS1_30default_config_static_selectorELNS0_4arch9wavefront6targetE0EEEvS14_.private_seg_size, 0
	.set _ZN7rocprim17ROCPRIM_400000_NS6detail17trampoline_kernelINS0_14default_configENS1_22reduce_config_selectorIN6thrust23THRUST_200600_302600_NS5tupleIblNS6_9null_typeES8_S8_S8_S8_S8_S8_S8_EEEEZNS1_11reduce_implILb1ES3_NS6_12zip_iteratorINS7_INS6_11hip_rocprim26transform_input_iterator_tIbNSD_35transform_pair_of_input_iterators_tIbNS6_6detail15normal_iteratorINS6_10device_ptrIKjEEEESL_NS6_8equal_toIjEEEENSG_9not_fun_tINSD_8identityEEEEENSD_19counting_iterator_tIlEES8_S8_S8_S8_S8_S8_S8_S8_EEEEPS9_S9_NSD_9__find_if7functorIS9_EEEE10hipError_tPvRmT1_T2_T3_mT4_P12ihipStream_tbEUlT_E1_NS1_11comp_targetILNS1_3genE8ELNS1_11target_archE1030ELNS1_3gpuE2ELNS1_3repE0EEENS1_30default_config_static_selectorELNS0_4arch9wavefront6targetE0EEEvS14_.uses_vcc, 1
	.set _ZN7rocprim17ROCPRIM_400000_NS6detail17trampoline_kernelINS0_14default_configENS1_22reduce_config_selectorIN6thrust23THRUST_200600_302600_NS5tupleIblNS6_9null_typeES8_S8_S8_S8_S8_S8_S8_EEEEZNS1_11reduce_implILb1ES3_NS6_12zip_iteratorINS7_INS6_11hip_rocprim26transform_input_iterator_tIbNSD_35transform_pair_of_input_iterators_tIbNS6_6detail15normal_iteratorINS6_10device_ptrIKjEEEESL_NS6_8equal_toIjEEEENSG_9not_fun_tINSD_8identityEEEEENSD_19counting_iterator_tIlEES8_S8_S8_S8_S8_S8_S8_S8_EEEEPS9_S9_NSD_9__find_if7functorIS9_EEEE10hipError_tPvRmT1_T2_T3_mT4_P12ihipStream_tbEUlT_E1_NS1_11comp_targetILNS1_3genE8ELNS1_11target_archE1030ELNS1_3gpuE2ELNS1_3repE0EEENS1_30default_config_static_selectorELNS0_4arch9wavefront6targetE0EEEvS14_.uses_flat_scratch, 0
	.set _ZN7rocprim17ROCPRIM_400000_NS6detail17trampoline_kernelINS0_14default_configENS1_22reduce_config_selectorIN6thrust23THRUST_200600_302600_NS5tupleIblNS6_9null_typeES8_S8_S8_S8_S8_S8_S8_EEEEZNS1_11reduce_implILb1ES3_NS6_12zip_iteratorINS7_INS6_11hip_rocprim26transform_input_iterator_tIbNSD_35transform_pair_of_input_iterators_tIbNS6_6detail15normal_iteratorINS6_10device_ptrIKjEEEESL_NS6_8equal_toIjEEEENSG_9not_fun_tINSD_8identityEEEEENSD_19counting_iterator_tIlEES8_S8_S8_S8_S8_S8_S8_S8_EEEEPS9_S9_NSD_9__find_if7functorIS9_EEEE10hipError_tPvRmT1_T2_T3_mT4_P12ihipStream_tbEUlT_E1_NS1_11comp_targetILNS1_3genE8ELNS1_11target_archE1030ELNS1_3gpuE2ELNS1_3repE0EEENS1_30default_config_static_selectorELNS0_4arch9wavefront6targetE0EEEvS14_.has_dyn_sized_stack, 0
	.set _ZN7rocprim17ROCPRIM_400000_NS6detail17trampoline_kernelINS0_14default_configENS1_22reduce_config_selectorIN6thrust23THRUST_200600_302600_NS5tupleIblNS6_9null_typeES8_S8_S8_S8_S8_S8_S8_EEEEZNS1_11reduce_implILb1ES3_NS6_12zip_iteratorINS7_INS6_11hip_rocprim26transform_input_iterator_tIbNSD_35transform_pair_of_input_iterators_tIbNS6_6detail15normal_iteratorINS6_10device_ptrIKjEEEESL_NS6_8equal_toIjEEEENSG_9not_fun_tINSD_8identityEEEEENSD_19counting_iterator_tIlEES8_S8_S8_S8_S8_S8_S8_S8_EEEEPS9_S9_NSD_9__find_if7functorIS9_EEEE10hipError_tPvRmT1_T2_T3_mT4_P12ihipStream_tbEUlT_E1_NS1_11comp_targetILNS1_3genE8ELNS1_11target_archE1030ELNS1_3gpuE2ELNS1_3repE0EEENS1_30default_config_static_selectorELNS0_4arch9wavefront6targetE0EEEvS14_.has_recursion, 0
	.set _ZN7rocprim17ROCPRIM_400000_NS6detail17trampoline_kernelINS0_14default_configENS1_22reduce_config_selectorIN6thrust23THRUST_200600_302600_NS5tupleIblNS6_9null_typeES8_S8_S8_S8_S8_S8_S8_EEEEZNS1_11reduce_implILb1ES3_NS6_12zip_iteratorINS7_INS6_11hip_rocprim26transform_input_iterator_tIbNSD_35transform_pair_of_input_iterators_tIbNS6_6detail15normal_iteratorINS6_10device_ptrIKjEEEESL_NS6_8equal_toIjEEEENSG_9not_fun_tINSD_8identityEEEEENSD_19counting_iterator_tIlEES8_S8_S8_S8_S8_S8_S8_S8_EEEEPS9_S9_NSD_9__find_if7functorIS9_EEEE10hipError_tPvRmT1_T2_T3_mT4_P12ihipStream_tbEUlT_E1_NS1_11comp_targetILNS1_3genE8ELNS1_11target_archE1030ELNS1_3gpuE2ELNS1_3repE0EEENS1_30default_config_static_selectorELNS0_4arch9wavefront6targetE0EEEvS14_.has_indirect_call, 0
	.section	.AMDGPU.csdata,"",@progbits
; Kernel info:
; codeLenInByte = 14960
; TotalNumSgprs: 34
; NumVgprs: 27
; ScratchSize: 0
; MemoryBound: 0
; FloatMode: 240
; IeeeMode: 1
; LDSByteSize: 640 bytes/workgroup (compile time only)
; SGPRBlocks: 0
; VGPRBlocks: 3
; NumSGPRsForWavesPerEU: 34
; NumVGPRsForWavesPerEU: 27
; Occupancy: 16
; WaveLimiterHint : 0
; COMPUTE_PGM_RSRC2:SCRATCH_EN: 0
; COMPUTE_PGM_RSRC2:USER_SGPR: 6
; COMPUTE_PGM_RSRC2:TRAP_HANDLER: 0
; COMPUTE_PGM_RSRC2:TGID_X_EN: 1
; COMPUTE_PGM_RSRC2:TGID_Y_EN: 0
; COMPUTE_PGM_RSRC2:TGID_Z_EN: 0
; COMPUTE_PGM_RSRC2:TIDIG_COMP_CNT: 0
	.section	.text._ZN6thrust23THRUST_200600_302600_NS11hip_rocprim14__parallel_for6kernelILj256ENS1_20__uninitialized_fill7functorINS0_10device_ptrItEEtEEmLj1EEEvT0_T1_SA_,"axG",@progbits,_ZN6thrust23THRUST_200600_302600_NS11hip_rocprim14__parallel_for6kernelILj256ENS1_20__uninitialized_fill7functorINS0_10device_ptrItEEtEEmLj1EEEvT0_T1_SA_,comdat
	.protected	_ZN6thrust23THRUST_200600_302600_NS11hip_rocprim14__parallel_for6kernelILj256ENS1_20__uninitialized_fill7functorINS0_10device_ptrItEEtEEmLj1EEEvT0_T1_SA_ ; -- Begin function _ZN6thrust23THRUST_200600_302600_NS11hip_rocprim14__parallel_for6kernelILj256ENS1_20__uninitialized_fill7functorINS0_10device_ptrItEEtEEmLj1EEEvT0_T1_SA_
	.globl	_ZN6thrust23THRUST_200600_302600_NS11hip_rocprim14__parallel_for6kernelILj256ENS1_20__uninitialized_fill7functorINS0_10device_ptrItEEtEEmLj1EEEvT0_T1_SA_
	.p2align	8
	.type	_ZN6thrust23THRUST_200600_302600_NS11hip_rocprim14__parallel_for6kernelILj256ENS1_20__uninitialized_fill7functorINS0_10device_ptrItEEtEEmLj1EEEvT0_T1_SA_,@function
_ZN6thrust23THRUST_200600_302600_NS11hip_rocprim14__parallel_for6kernelILj256ENS1_20__uninitialized_fill7functorINS0_10device_ptrItEEtEEmLj1EEEvT0_T1_SA_: ; @_ZN6thrust23THRUST_200600_302600_NS11hip_rocprim14__parallel_for6kernelILj256ENS1_20__uninitialized_fill7functorINS0_10device_ptrItEEtEEmLj1EEEvT0_T1_SA_
; %bb.0:
	s_clause 0x2
	s_load_dwordx4 s[8:11], s[4:5], 0x10
	s_load_dwordx2 s[0:1], s[4:5], 0x0
	s_load_dword s7, s[4:5], 0x8
	s_lshl_b32 s2, s6, 8
	s_waitcnt lgkmcnt(0)
	s_add_u32 s2, s10, s2
	s_addc_u32 s3, s11, 0
	s_sub_u32 s4, s8, s2
	s_subb_u32 s5, s9, s3
	v_cmp_lt_u64_e64 s5, 0xff, s[4:5]
	s_and_b32 vcc_lo, exec_lo, s5
	s_mov_b32 s5, -1
	s_cbranch_vccz .LBB169_3
; %bb.1:
	s_andn2_b32 vcc_lo, exec_lo, s5
	s_cbranch_vccz .LBB169_6
.LBB169_2:
	s_endpgm
.LBB169_3:
	v_cmp_gt_u32_e32 vcc_lo, s4, v0
	s_and_saveexec_b32 s4, vcc_lo
	s_cbranch_execz .LBB169_5
; %bb.4:
	v_lshlrev_b32_e32 v1, 1, v0
	s_lshl_b64 s[8:9], s[2:3], 1
	v_mov_b32_e32 v3, s7
	s_add_u32 s5, s0, s8
	s_addc_u32 s6, s1, s9
	v_add_co_u32 v1, s5, s5, v1
	v_add_co_ci_u32_e64 v2, null, s6, 0, s5
	flat_store_short v[1:2], v3
.LBB169_5:
	s_or_b32 exec_lo, exec_lo, s4
	s_cbranch_execnz .LBB169_2
.LBB169_6:
	v_lshlrev_b32_e32 v0, 1, v0
	s_lshl_b64 s[2:3], s[2:3], 1
	v_mov_b32_e32 v2, s7
	s_add_u32 s0, s0, s2
	s_addc_u32 s1, s1, s3
	v_add_co_u32 v0, s0, s0, v0
	v_add_co_ci_u32_e64 v1, null, s1, 0, s0
	flat_store_short v[0:1], v2
	s_endpgm
	.section	.rodata,"a",@progbits
	.p2align	6, 0x0
	.amdhsa_kernel _ZN6thrust23THRUST_200600_302600_NS11hip_rocprim14__parallel_for6kernelILj256ENS1_20__uninitialized_fill7functorINS0_10device_ptrItEEtEEmLj1EEEvT0_T1_SA_
		.amdhsa_group_segment_fixed_size 0
		.amdhsa_private_segment_fixed_size 0
		.amdhsa_kernarg_size 32
		.amdhsa_user_sgpr_count 6
		.amdhsa_user_sgpr_private_segment_buffer 1
		.amdhsa_user_sgpr_dispatch_ptr 0
		.amdhsa_user_sgpr_queue_ptr 0
		.amdhsa_user_sgpr_kernarg_segment_ptr 1
		.amdhsa_user_sgpr_dispatch_id 0
		.amdhsa_user_sgpr_flat_scratch_init 0
		.amdhsa_user_sgpr_private_segment_size 0
		.amdhsa_wavefront_size32 1
		.amdhsa_uses_dynamic_stack 0
		.amdhsa_system_sgpr_private_segment_wavefront_offset 0
		.amdhsa_system_sgpr_workgroup_id_x 1
		.amdhsa_system_sgpr_workgroup_id_y 0
		.amdhsa_system_sgpr_workgroup_id_z 0
		.amdhsa_system_sgpr_workgroup_info 0
		.amdhsa_system_vgpr_workitem_id 0
		.amdhsa_next_free_vgpr 4
		.amdhsa_next_free_sgpr 12
		.amdhsa_reserve_vcc 1
		.amdhsa_reserve_flat_scratch 0
		.amdhsa_float_round_mode_32 0
		.amdhsa_float_round_mode_16_64 0
		.amdhsa_float_denorm_mode_32 3
		.amdhsa_float_denorm_mode_16_64 3
		.amdhsa_dx10_clamp 1
		.amdhsa_ieee_mode 1
		.amdhsa_fp16_overflow 0
		.amdhsa_workgroup_processor_mode 1
		.amdhsa_memory_ordered 1
		.amdhsa_forward_progress 1
		.amdhsa_shared_vgpr_count 0
		.amdhsa_exception_fp_ieee_invalid_op 0
		.amdhsa_exception_fp_denorm_src 0
		.amdhsa_exception_fp_ieee_div_zero 0
		.amdhsa_exception_fp_ieee_overflow 0
		.amdhsa_exception_fp_ieee_underflow 0
		.amdhsa_exception_fp_ieee_inexact 0
		.amdhsa_exception_int_div_zero 0
	.end_amdhsa_kernel
	.section	.text._ZN6thrust23THRUST_200600_302600_NS11hip_rocprim14__parallel_for6kernelILj256ENS1_20__uninitialized_fill7functorINS0_10device_ptrItEEtEEmLj1EEEvT0_T1_SA_,"axG",@progbits,_ZN6thrust23THRUST_200600_302600_NS11hip_rocprim14__parallel_for6kernelILj256ENS1_20__uninitialized_fill7functorINS0_10device_ptrItEEtEEmLj1EEEvT0_T1_SA_,comdat
.Lfunc_end169:
	.size	_ZN6thrust23THRUST_200600_302600_NS11hip_rocprim14__parallel_for6kernelILj256ENS1_20__uninitialized_fill7functorINS0_10device_ptrItEEtEEmLj1EEEvT0_T1_SA_, .Lfunc_end169-_ZN6thrust23THRUST_200600_302600_NS11hip_rocprim14__parallel_for6kernelILj256ENS1_20__uninitialized_fill7functorINS0_10device_ptrItEEtEEmLj1EEEvT0_T1_SA_
                                        ; -- End function
	.set _ZN6thrust23THRUST_200600_302600_NS11hip_rocprim14__parallel_for6kernelILj256ENS1_20__uninitialized_fill7functorINS0_10device_ptrItEEtEEmLj1EEEvT0_T1_SA_.num_vgpr, 4
	.set _ZN6thrust23THRUST_200600_302600_NS11hip_rocprim14__parallel_for6kernelILj256ENS1_20__uninitialized_fill7functorINS0_10device_ptrItEEtEEmLj1EEEvT0_T1_SA_.num_agpr, 0
	.set _ZN6thrust23THRUST_200600_302600_NS11hip_rocprim14__parallel_for6kernelILj256ENS1_20__uninitialized_fill7functorINS0_10device_ptrItEEtEEmLj1EEEvT0_T1_SA_.numbered_sgpr, 12
	.set _ZN6thrust23THRUST_200600_302600_NS11hip_rocprim14__parallel_for6kernelILj256ENS1_20__uninitialized_fill7functorINS0_10device_ptrItEEtEEmLj1EEEvT0_T1_SA_.num_named_barrier, 0
	.set _ZN6thrust23THRUST_200600_302600_NS11hip_rocprim14__parallel_for6kernelILj256ENS1_20__uninitialized_fill7functorINS0_10device_ptrItEEtEEmLj1EEEvT0_T1_SA_.private_seg_size, 0
	.set _ZN6thrust23THRUST_200600_302600_NS11hip_rocprim14__parallel_for6kernelILj256ENS1_20__uninitialized_fill7functorINS0_10device_ptrItEEtEEmLj1EEEvT0_T1_SA_.uses_vcc, 1
	.set _ZN6thrust23THRUST_200600_302600_NS11hip_rocprim14__parallel_for6kernelILj256ENS1_20__uninitialized_fill7functorINS0_10device_ptrItEEtEEmLj1EEEvT0_T1_SA_.uses_flat_scratch, 0
	.set _ZN6thrust23THRUST_200600_302600_NS11hip_rocprim14__parallel_for6kernelILj256ENS1_20__uninitialized_fill7functorINS0_10device_ptrItEEtEEmLj1EEEvT0_T1_SA_.has_dyn_sized_stack, 0
	.set _ZN6thrust23THRUST_200600_302600_NS11hip_rocprim14__parallel_for6kernelILj256ENS1_20__uninitialized_fill7functorINS0_10device_ptrItEEtEEmLj1EEEvT0_T1_SA_.has_recursion, 0
	.set _ZN6thrust23THRUST_200600_302600_NS11hip_rocprim14__parallel_for6kernelILj256ENS1_20__uninitialized_fill7functorINS0_10device_ptrItEEtEEmLj1EEEvT0_T1_SA_.has_indirect_call, 0
	.section	.AMDGPU.csdata,"",@progbits
; Kernel info:
; codeLenInByte = 200
; TotalNumSgprs: 14
; NumVgprs: 4
; ScratchSize: 0
; MemoryBound: 0
; FloatMode: 240
; IeeeMode: 1
; LDSByteSize: 0 bytes/workgroup (compile time only)
; SGPRBlocks: 0
; VGPRBlocks: 0
; NumSGPRsForWavesPerEU: 14
; NumVGPRsForWavesPerEU: 4
; Occupancy: 16
; WaveLimiterHint : 0
; COMPUTE_PGM_RSRC2:SCRATCH_EN: 0
; COMPUTE_PGM_RSRC2:USER_SGPR: 6
; COMPUTE_PGM_RSRC2:TRAP_HANDLER: 0
; COMPUTE_PGM_RSRC2:TGID_X_EN: 1
; COMPUTE_PGM_RSRC2:TGID_Y_EN: 0
; COMPUTE_PGM_RSRC2:TGID_Z_EN: 0
; COMPUTE_PGM_RSRC2:TIDIG_COMP_CNT: 0
	.section	.text._ZN7rocprim17ROCPRIM_400000_NS6detail17trampoline_kernelINS0_14default_configENS1_21merge_config_selectorINS0_5tupleIJttEEENS0_10empty_typeEEEZNS1_10merge_implIS3_NS0_12zip_iteratorINS5_IJN6thrust23THRUST_200600_302600_NS6detail15normal_iteratorINSC_10device_ptrIKtEEEESI_EEEEESK_NSA_INS5_IJNSE_INSF_ItEEEESM_EEEEEPS7_SP_SP_NSC_11hip_rocprim7__merge17predicate_wrapperIttNSC_4lessItEEEEEE10hipError_tPvRmT0_T1_T2_T3_T4_T5_mmT6_P12ihipStream_tbEUlT_E_NS1_11comp_targetILNS1_3genE0ELNS1_11target_archE4294967295ELNS1_3gpuE0ELNS1_3repE0EEENS1_30default_config_static_selectorELNS0_4arch9wavefront6targetE0EEEvS10_,"axG",@progbits,_ZN7rocprim17ROCPRIM_400000_NS6detail17trampoline_kernelINS0_14default_configENS1_21merge_config_selectorINS0_5tupleIJttEEENS0_10empty_typeEEEZNS1_10merge_implIS3_NS0_12zip_iteratorINS5_IJN6thrust23THRUST_200600_302600_NS6detail15normal_iteratorINSC_10device_ptrIKtEEEESI_EEEEESK_NSA_INS5_IJNSE_INSF_ItEEEESM_EEEEEPS7_SP_SP_NSC_11hip_rocprim7__merge17predicate_wrapperIttNSC_4lessItEEEEEE10hipError_tPvRmT0_T1_T2_T3_T4_T5_mmT6_P12ihipStream_tbEUlT_E_NS1_11comp_targetILNS1_3genE0ELNS1_11target_archE4294967295ELNS1_3gpuE0ELNS1_3repE0EEENS1_30default_config_static_selectorELNS0_4arch9wavefront6targetE0EEEvS10_,comdat
	.protected	_ZN7rocprim17ROCPRIM_400000_NS6detail17trampoline_kernelINS0_14default_configENS1_21merge_config_selectorINS0_5tupleIJttEEENS0_10empty_typeEEEZNS1_10merge_implIS3_NS0_12zip_iteratorINS5_IJN6thrust23THRUST_200600_302600_NS6detail15normal_iteratorINSC_10device_ptrIKtEEEESI_EEEEESK_NSA_INS5_IJNSE_INSF_ItEEEESM_EEEEEPS7_SP_SP_NSC_11hip_rocprim7__merge17predicate_wrapperIttNSC_4lessItEEEEEE10hipError_tPvRmT0_T1_T2_T3_T4_T5_mmT6_P12ihipStream_tbEUlT_E_NS1_11comp_targetILNS1_3genE0ELNS1_11target_archE4294967295ELNS1_3gpuE0ELNS1_3repE0EEENS1_30default_config_static_selectorELNS0_4arch9wavefront6targetE0EEEvS10_ ; -- Begin function _ZN7rocprim17ROCPRIM_400000_NS6detail17trampoline_kernelINS0_14default_configENS1_21merge_config_selectorINS0_5tupleIJttEEENS0_10empty_typeEEEZNS1_10merge_implIS3_NS0_12zip_iteratorINS5_IJN6thrust23THRUST_200600_302600_NS6detail15normal_iteratorINSC_10device_ptrIKtEEEESI_EEEEESK_NSA_INS5_IJNSE_INSF_ItEEEESM_EEEEEPS7_SP_SP_NSC_11hip_rocprim7__merge17predicate_wrapperIttNSC_4lessItEEEEEE10hipError_tPvRmT0_T1_T2_T3_T4_T5_mmT6_P12ihipStream_tbEUlT_E_NS1_11comp_targetILNS1_3genE0ELNS1_11target_archE4294967295ELNS1_3gpuE0ELNS1_3repE0EEENS1_30default_config_static_selectorELNS0_4arch9wavefront6targetE0EEEvS10_
	.globl	_ZN7rocprim17ROCPRIM_400000_NS6detail17trampoline_kernelINS0_14default_configENS1_21merge_config_selectorINS0_5tupleIJttEEENS0_10empty_typeEEEZNS1_10merge_implIS3_NS0_12zip_iteratorINS5_IJN6thrust23THRUST_200600_302600_NS6detail15normal_iteratorINSC_10device_ptrIKtEEEESI_EEEEESK_NSA_INS5_IJNSE_INSF_ItEEEESM_EEEEEPS7_SP_SP_NSC_11hip_rocprim7__merge17predicate_wrapperIttNSC_4lessItEEEEEE10hipError_tPvRmT0_T1_T2_T3_T4_T5_mmT6_P12ihipStream_tbEUlT_E_NS1_11comp_targetILNS1_3genE0ELNS1_11target_archE4294967295ELNS1_3gpuE0ELNS1_3repE0EEENS1_30default_config_static_selectorELNS0_4arch9wavefront6targetE0EEEvS10_
	.p2align	8
	.type	_ZN7rocprim17ROCPRIM_400000_NS6detail17trampoline_kernelINS0_14default_configENS1_21merge_config_selectorINS0_5tupleIJttEEENS0_10empty_typeEEEZNS1_10merge_implIS3_NS0_12zip_iteratorINS5_IJN6thrust23THRUST_200600_302600_NS6detail15normal_iteratorINSC_10device_ptrIKtEEEESI_EEEEESK_NSA_INS5_IJNSE_INSF_ItEEEESM_EEEEEPS7_SP_SP_NSC_11hip_rocprim7__merge17predicate_wrapperIttNSC_4lessItEEEEEE10hipError_tPvRmT0_T1_T2_T3_T4_T5_mmT6_P12ihipStream_tbEUlT_E_NS1_11comp_targetILNS1_3genE0ELNS1_11target_archE4294967295ELNS1_3gpuE0ELNS1_3repE0EEENS1_30default_config_static_selectorELNS0_4arch9wavefront6targetE0EEEvS10_,@function
_ZN7rocprim17ROCPRIM_400000_NS6detail17trampoline_kernelINS0_14default_configENS1_21merge_config_selectorINS0_5tupleIJttEEENS0_10empty_typeEEEZNS1_10merge_implIS3_NS0_12zip_iteratorINS5_IJN6thrust23THRUST_200600_302600_NS6detail15normal_iteratorINSC_10device_ptrIKtEEEESI_EEEEESK_NSA_INS5_IJNSE_INSF_ItEEEESM_EEEEEPS7_SP_SP_NSC_11hip_rocprim7__merge17predicate_wrapperIttNSC_4lessItEEEEEE10hipError_tPvRmT0_T1_T2_T3_T4_T5_mmT6_P12ihipStream_tbEUlT_E_NS1_11comp_targetILNS1_3genE0ELNS1_11target_archE4294967295ELNS1_3gpuE0ELNS1_3repE0EEENS1_30default_config_static_selectorELNS0_4arch9wavefront6targetE0EEEvS10_: ; @_ZN7rocprim17ROCPRIM_400000_NS6detail17trampoline_kernelINS0_14default_configENS1_21merge_config_selectorINS0_5tupleIJttEEENS0_10empty_typeEEEZNS1_10merge_implIS3_NS0_12zip_iteratorINS5_IJN6thrust23THRUST_200600_302600_NS6detail15normal_iteratorINSC_10device_ptrIKtEEEESI_EEEEESK_NSA_INS5_IJNSE_INSF_ItEEEESM_EEEEEPS7_SP_SP_NSC_11hip_rocprim7__merge17predicate_wrapperIttNSC_4lessItEEEEEE10hipError_tPvRmT0_T1_T2_T3_T4_T5_mmT6_P12ihipStream_tbEUlT_E_NS1_11comp_targetILNS1_3genE0ELNS1_11target_archE4294967295ELNS1_3gpuE0ELNS1_3repE0EEENS1_30default_config_static_selectorELNS0_4arch9wavefront6targetE0EEEvS10_
; %bb.0:
	.section	.rodata,"a",@progbits
	.p2align	6, 0x0
	.amdhsa_kernel _ZN7rocprim17ROCPRIM_400000_NS6detail17trampoline_kernelINS0_14default_configENS1_21merge_config_selectorINS0_5tupleIJttEEENS0_10empty_typeEEEZNS1_10merge_implIS3_NS0_12zip_iteratorINS5_IJN6thrust23THRUST_200600_302600_NS6detail15normal_iteratorINSC_10device_ptrIKtEEEESI_EEEEESK_NSA_INS5_IJNSE_INSF_ItEEEESM_EEEEEPS7_SP_SP_NSC_11hip_rocprim7__merge17predicate_wrapperIttNSC_4lessItEEEEEE10hipError_tPvRmT0_T1_T2_T3_T4_T5_mmT6_P12ihipStream_tbEUlT_E_NS1_11comp_targetILNS1_3genE0ELNS1_11target_archE4294967295ELNS1_3gpuE0ELNS1_3repE0EEENS1_30default_config_static_selectorELNS0_4arch9wavefront6targetE0EEEvS10_
		.amdhsa_group_segment_fixed_size 0
		.amdhsa_private_segment_fixed_size 0
		.amdhsa_kernarg_size 64
		.amdhsa_user_sgpr_count 6
		.amdhsa_user_sgpr_private_segment_buffer 1
		.amdhsa_user_sgpr_dispatch_ptr 0
		.amdhsa_user_sgpr_queue_ptr 0
		.amdhsa_user_sgpr_kernarg_segment_ptr 1
		.amdhsa_user_sgpr_dispatch_id 0
		.amdhsa_user_sgpr_flat_scratch_init 0
		.amdhsa_user_sgpr_private_segment_size 0
		.amdhsa_wavefront_size32 1
		.amdhsa_uses_dynamic_stack 0
		.amdhsa_system_sgpr_private_segment_wavefront_offset 0
		.amdhsa_system_sgpr_workgroup_id_x 1
		.amdhsa_system_sgpr_workgroup_id_y 0
		.amdhsa_system_sgpr_workgroup_id_z 0
		.amdhsa_system_sgpr_workgroup_info 0
		.amdhsa_system_vgpr_workitem_id 0
		.amdhsa_next_free_vgpr 1
		.amdhsa_next_free_sgpr 1
		.amdhsa_reserve_vcc 0
		.amdhsa_reserve_flat_scratch 0
		.amdhsa_float_round_mode_32 0
		.amdhsa_float_round_mode_16_64 0
		.amdhsa_float_denorm_mode_32 3
		.amdhsa_float_denorm_mode_16_64 3
		.amdhsa_dx10_clamp 1
		.amdhsa_ieee_mode 1
		.amdhsa_fp16_overflow 0
		.amdhsa_workgroup_processor_mode 1
		.amdhsa_memory_ordered 1
		.amdhsa_forward_progress 1
		.amdhsa_shared_vgpr_count 0
		.amdhsa_exception_fp_ieee_invalid_op 0
		.amdhsa_exception_fp_denorm_src 0
		.amdhsa_exception_fp_ieee_div_zero 0
		.amdhsa_exception_fp_ieee_overflow 0
		.amdhsa_exception_fp_ieee_underflow 0
		.amdhsa_exception_fp_ieee_inexact 0
		.amdhsa_exception_int_div_zero 0
	.end_amdhsa_kernel
	.section	.text._ZN7rocprim17ROCPRIM_400000_NS6detail17trampoline_kernelINS0_14default_configENS1_21merge_config_selectorINS0_5tupleIJttEEENS0_10empty_typeEEEZNS1_10merge_implIS3_NS0_12zip_iteratorINS5_IJN6thrust23THRUST_200600_302600_NS6detail15normal_iteratorINSC_10device_ptrIKtEEEESI_EEEEESK_NSA_INS5_IJNSE_INSF_ItEEEESM_EEEEEPS7_SP_SP_NSC_11hip_rocprim7__merge17predicate_wrapperIttNSC_4lessItEEEEEE10hipError_tPvRmT0_T1_T2_T3_T4_T5_mmT6_P12ihipStream_tbEUlT_E_NS1_11comp_targetILNS1_3genE0ELNS1_11target_archE4294967295ELNS1_3gpuE0ELNS1_3repE0EEENS1_30default_config_static_selectorELNS0_4arch9wavefront6targetE0EEEvS10_,"axG",@progbits,_ZN7rocprim17ROCPRIM_400000_NS6detail17trampoline_kernelINS0_14default_configENS1_21merge_config_selectorINS0_5tupleIJttEEENS0_10empty_typeEEEZNS1_10merge_implIS3_NS0_12zip_iteratorINS5_IJN6thrust23THRUST_200600_302600_NS6detail15normal_iteratorINSC_10device_ptrIKtEEEESI_EEEEESK_NSA_INS5_IJNSE_INSF_ItEEEESM_EEEEEPS7_SP_SP_NSC_11hip_rocprim7__merge17predicate_wrapperIttNSC_4lessItEEEEEE10hipError_tPvRmT0_T1_T2_T3_T4_T5_mmT6_P12ihipStream_tbEUlT_E_NS1_11comp_targetILNS1_3genE0ELNS1_11target_archE4294967295ELNS1_3gpuE0ELNS1_3repE0EEENS1_30default_config_static_selectorELNS0_4arch9wavefront6targetE0EEEvS10_,comdat
.Lfunc_end170:
	.size	_ZN7rocprim17ROCPRIM_400000_NS6detail17trampoline_kernelINS0_14default_configENS1_21merge_config_selectorINS0_5tupleIJttEEENS0_10empty_typeEEEZNS1_10merge_implIS3_NS0_12zip_iteratorINS5_IJN6thrust23THRUST_200600_302600_NS6detail15normal_iteratorINSC_10device_ptrIKtEEEESI_EEEEESK_NSA_INS5_IJNSE_INSF_ItEEEESM_EEEEEPS7_SP_SP_NSC_11hip_rocprim7__merge17predicate_wrapperIttNSC_4lessItEEEEEE10hipError_tPvRmT0_T1_T2_T3_T4_T5_mmT6_P12ihipStream_tbEUlT_E_NS1_11comp_targetILNS1_3genE0ELNS1_11target_archE4294967295ELNS1_3gpuE0ELNS1_3repE0EEENS1_30default_config_static_selectorELNS0_4arch9wavefront6targetE0EEEvS10_, .Lfunc_end170-_ZN7rocprim17ROCPRIM_400000_NS6detail17trampoline_kernelINS0_14default_configENS1_21merge_config_selectorINS0_5tupleIJttEEENS0_10empty_typeEEEZNS1_10merge_implIS3_NS0_12zip_iteratorINS5_IJN6thrust23THRUST_200600_302600_NS6detail15normal_iteratorINSC_10device_ptrIKtEEEESI_EEEEESK_NSA_INS5_IJNSE_INSF_ItEEEESM_EEEEEPS7_SP_SP_NSC_11hip_rocprim7__merge17predicate_wrapperIttNSC_4lessItEEEEEE10hipError_tPvRmT0_T1_T2_T3_T4_T5_mmT6_P12ihipStream_tbEUlT_E_NS1_11comp_targetILNS1_3genE0ELNS1_11target_archE4294967295ELNS1_3gpuE0ELNS1_3repE0EEENS1_30default_config_static_selectorELNS0_4arch9wavefront6targetE0EEEvS10_
                                        ; -- End function
	.set _ZN7rocprim17ROCPRIM_400000_NS6detail17trampoline_kernelINS0_14default_configENS1_21merge_config_selectorINS0_5tupleIJttEEENS0_10empty_typeEEEZNS1_10merge_implIS3_NS0_12zip_iteratorINS5_IJN6thrust23THRUST_200600_302600_NS6detail15normal_iteratorINSC_10device_ptrIKtEEEESI_EEEEESK_NSA_INS5_IJNSE_INSF_ItEEEESM_EEEEEPS7_SP_SP_NSC_11hip_rocprim7__merge17predicate_wrapperIttNSC_4lessItEEEEEE10hipError_tPvRmT0_T1_T2_T3_T4_T5_mmT6_P12ihipStream_tbEUlT_E_NS1_11comp_targetILNS1_3genE0ELNS1_11target_archE4294967295ELNS1_3gpuE0ELNS1_3repE0EEENS1_30default_config_static_selectorELNS0_4arch9wavefront6targetE0EEEvS10_.num_vgpr, 0
	.set _ZN7rocprim17ROCPRIM_400000_NS6detail17trampoline_kernelINS0_14default_configENS1_21merge_config_selectorINS0_5tupleIJttEEENS0_10empty_typeEEEZNS1_10merge_implIS3_NS0_12zip_iteratorINS5_IJN6thrust23THRUST_200600_302600_NS6detail15normal_iteratorINSC_10device_ptrIKtEEEESI_EEEEESK_NSA_INS5_IJNSE_INSF_ItEEEESM_EEEEEPS7_SP_SP_NSC_11hip_rocprim7__merge17predicate_wrapperIttNSC_4lessItEEEEEE10hipError_tPvRmT0_T1_T2_T3_T4_T5_mmT6_P12ihipStream_tbEUlT_E_NS1_11comp_targetILNS1_3genE0ELNS1_11target_archE4294967295ELNS1_3gpuE0ELNS1_3repE0EEENS1_30default_config_static_selectorELNS0_4arch9wavefront6targetE0EEEvS10_.num_agpr, 0
	.set _ZN7rocprim17ROCPRIM_400000_NS6detail17trampoline_kernelINS0_14default_configENS1_21merge_config_selectorINS0_5tupleIJttEEENS0_10empty_typeEEEZNS1_10merge_implIS3_NS0_12zip_iteratorINS5_IJN6thrust23THRUST_200600_302600_NS6detail15normal_iteratorINSC_10device_ptrIKtEEEESI_EEEEESK_NSA_INS5_IJNSE_INSF_ItEEEESM_EEEEEPS7_SP_SP_NSC_11hip_rocprim7__merge17predicate_wrapperIttNSC_4lessItEEEEEE10hipError_tPvRmT0_T1_T2_T3_T4_T5_mmT6_P12ihipStream_tbEUlT_E_NS1_11comp_targetILNS1_3genE0ELNS1_11target_archE4294967295ELNS1_3gpuE0ELNS1_3repE0EEENS1_30default_config_static_selectorELNS0_4arch9wavefront6targetE0EEEvS10_.numbered_sgpr, 0
	.set _ZN7rocprim17ROCPRIM_400000_NS6detail17trampoline_kernelINS0_14default_configENS1_21merge_config_selectorINS0_5tupleIJttEEENS0_10empty_typeEEEZNS1_10merge_implIS3_NS0_12zip_iteratorINS5_IJN6thrust23THRUST_200600_302600_NS6detail15normal_iteratorINSC_10device_ptrIKtEEEESI_EEEEESK_NSA_INS5_IJNSE_INSF_ItEEEESM_EEEEEPS7_SP_SP_NSC_11hip_rocprim7__merge17predicate_wrapperIttNSC_4lessItEEEEEE10hipError_tPvRmT0_T1_T2_T3_T4_T5_mmT6_P12ihipStream_tbEUlT_E_NS1_11comp_targetILNS1_3genE0ELNS1_11target_archE4294967295ELNS1_3gpuE0ELNS1_3repE0EEENS1_30default_config_static_selectorELNS0_4arch9wavefront6targetE0EEEvS10_.num_named_barrier, 0
	.set _ZN7rocprim17ROCPRIM_400000_NS6detail17trampoline_kernelINS0_14default_configENS1_21merge_config_selectorINS0_5tupleIJttEEENS0_10empty_typeEEEZNS1_10merge_implIS3_NS0_12zip_iteratorINS5_IJN6thrust23THRUST_200600_302600_NS6detail15normal_iteratorINSC_10device_ptrIKtEEEESI_EEEEESK_NSA_INS5_IJNSE_INSF_ItEEEESM_EEEEEPS7_SP_SP_NSC_11hip_rocprim7__merge17predicate_wrapperIttNSC_4lessItEEEEEE10hipError_tPvRmT0_T1_T2_T3_T4_T5_mmT6_P12ihipStream_tbEUlT_E_NS1_11comp_targetILNS1_3genE0ELNS1_11target_archE4294967295ELNS1_3gpuE0ELNS1_3repE0EEENS1_30default_config_static_selectorELNS0_4arch9wavefront6targetE0EEEvS10_.private_seg_size, 0
	.set _ZN7rocprim17ROCPRIM_400000_NS6detail17trampoline_kernelINS0_14default_configENS1_21merge_config_selectorINS0_5tupleIJttEEENS0_10empty_typeEEEZNS1_10merge_implIS3_NS0_12zip_iteratorINS5_IJN6thrust23THRUST_200600_302600_NS6detail15normal_iteratorINSC_10device_ptrIKtEEEESI_EEEEESK_NSA_INS5_IJNSE_INSF_ItEEEESM_EEEEEPS7_SP_SP_NSC_11hip_rocprim7__merge17predicate_wrapperIttNSC_4lessItEEEEEE10hipError_tPvRmT0_T1_T2_T3_T4_T5_mmT6_P12ihipStream_tbEUlT_E_NS1_11comp_targetILNS1_3genE0ELNS1_11target_archE4294967295ELNS1_3gpuE0ELNS1_3repE0EEENS1_30default_config_static_selectorELNS0_4arch9wavefront6targetE0EEEvS10_.uses_vcc, 0
	.set _ZN7rocprim17ROCPRIM_400000_NS6detail17trampoline_kernelINS0_14default_configENS1_21merge_config_selectorINS0_5tupleIJttEEENS0_10empty_typeEEEZNS1_10merge_implIS3_NS0_12zip_iteratorINS5_IJN6thrust23THRUST_200600_302600_NS6detail15normal_iteratorINSC_10device_ptrIKtEEEESI_EEEEESK_NSA_INS5_IJNSE_INSF_ItEEEESM_EEEEEPS7_SP_SP_NSC_11hip_rocprim7__merge17predicate_wrapperIttNSC_4lessItEEEEEE10hipError_tPvRmT0_T1_T2_T3_T4_T5_mmT6_P12ihipStream_tbEUlT_E_NS1_11comp_targetILNS1_3genE0ELNS1_11target_archE4294967295ELNS1_3gpuE0ELNS1_3repE0EEENS1_30default_config_static_selectorELNS0_4arch9wavefront6targetE0EEEvS10_.uses_flat_scratch, 0
	.set _ZN7rocprim17ROCPRIM_400000_NS6detail17trampoline_kernelINS0_14default_configENS1_21merge_config_selectorINS0_5tupleIJttEEENS0_10empty_typeEEEZNS1_10merge_implIS3_NS0_12zip_iteratorINS5_IJN6thrust23THRUST_200600_302600_NS6detail15normal_iteratorINSC_10device_ptrIKtEEEESI_EEEEESK_NSA_INS5_IJNSE_INSF_ItEEEESM_EEEEEPS7_SP_SP_NSC_11hip_rocprim7__merge17predicate_wrapperIttNSC_4lessItEEEEEE10hipError_tPvRmT0_T1_T2_T3_T4_T5_mmT6_P12ihipStream_tbEUlT_E_NS1_11comp_targetILNS1_3genE0ELNS1_11target_archE4294967295ELNS1_3gpuE0ELNS1_3repE0EEENS1_30default_config_static_selectorELNS0_4arch9wavefront6targetE0EEEvS10_.has_dyn_sized_stack, 0
	.set _ZN7rocprim17ROCPRIM_400000_NS6detail17trampoline_kernelINS0_14default_configENS1_21merge_config_selectorINS0_5tupleIJttEEENS0_10empty_typeEEEZNS1_10merge_implIS3_NS0_12zip_iteratorINS5_IJN6thrust23THRUST_200600_302600_NS6detail15normal_iteratorINSC_10device_ptrIKtEEEESI_EEEEESK_NSA_INS5_IJNSE_INSF_ItEEEESM_EEEEEPS7_SP_SP_NSC_11hip_rocprim7__merge17predicate_wrapperIttNSC_4lessItEEEEEE10hipError_tPvRmT0_T1_T2_T3_T4_T5_mmT6_P12ihipStream_tbEUlT_E_NS1_11comp_targetILNS1_3genE0ELNS1_11target_archE4294967295ELNS1_3gpuE0ELNS1_3repE0EEENS1_30default_config_static_selectorELNS0_4arch9wavefront6targetE0EEEvS10_.has_recursion, 0
	.set _ZN7rocprim17ROCPRIM_400000_NS6detail17trampoline_kernelINS0_14default_configENS1_21merge_config_selectorINS0_5tupleIJttEEENS0_10empty_typeEEEZNS1_10merge_implIS3_NS0_12zip_iteratorINS5_IJN6thrust23THRUST_200600_302600_NS6detail15normal_iteratorINSC_10device_ptrIKtEEEESI_EEEEESK_NSA_INS5_IJNSE_INSF_ItEEEESM_EEEEEPS7_SP_SP_NSC_11hip_rocprim7__merge17predicate_wrapperIttNSC_4lessItEEEEEE10hipError_tPvRmT0_T1_T2_T3_T4_T5_mmT6_P12ihipStream_tbEUlT_E_NS1_11comp_targetILNS1_3genE0ELNS1_11target_archE4294967295ELNS1_3gpuE0ELNS1_3repE0EEENS1_30default_config_static_selectorELNS0_4arch9wavefront6targetE0EEEvS10_.has_indirect_call, 0
	.section	.AMDGPU.csdata,"",@progbits
; Kernel info:
; codeLenInByte = 0
; TotalNumSgprs: 0
; NumVgprs: 0
; ScratchSize: 0
; MemoryBound: 0
; FloatMode: 240
; IeeeMode: 1
; LDSByteSize: 0 bytes/workgroup (compile time only)
; SGPRBlocks: 0
; VGPRBlocks: 0
; NumSGPRsForWavesPerEU: 1
; NumVGPRsForWavesPerEU: 1
; Occupancy: 16
; WaveLimiterHint : 0
; COMPUTE_PGM_RSRC2:SCRATCH_EN: 0
; COMPUTE_PGM_RSRC2:USER_SGPR: 6
; COMPUTE_PGM_RSRC2:TRAP_HANDLER: 0
; COMPUTE_PGM_RSRC2:TGID_X_EN: 1
; COMPUTE_PGM_RSRC2:TGID_Y_EN: 0
; COMPUTE_PGM_RSRC2:TGID_Z_EN: 0
; COMPUTE_PGM_RSRC2:TIDIG_COMP_CNT: 0
	.section	.text._ZN7rocprim17ROCPRIM_400000_NS6detail17trampoline_kernelINS0_14default_configENS1_21merge_config_selectorINS0_5tupleIJttEEENS0_10empty_typeEEEZNS1_10merge_implIS3_NS0_12zip_iteratorINS5_IJN6thrust23THRUST_200600_302600_NS6detail15normal_iteratorINSC_10device_ptrIKtEEEESI_EEEEESK_NSA_INS5_IJNSE_INSF_ItEEEESM_EEEEEPS7_SP_SP_NSC_11hip_rocprim7__merge17predicate_wrapperIttNSC_4lessItEEEEEE10hipError_tPvRmT0_T1_T2_T3_T4_T5_mmT6_P12ihipStream_tbEUlT_E_NS1_11comp_targetILNS1_3genE5ELNS1_11target_archE942ELNS1_3gpuE9ELNS1_3repE0EEENS1_30default_config_static_selectorELNS0_4arch9wavefront6targetE0EEEvS10_,"axG",@progbits,_ZN7rocprim17ROCPRIM_400000_NS6detail17trampoline_kernelINS0_14default_configENS1_21merge_config_selectorINS0_5tupleIJttEEENS0_10empty_typeEEEZNS1_10merge_implIS3_NS0_12zip_iteratorINS5_IJN6thrust23THRUST_200600_302600_NS6detail15normal_iteratorINSC_10device_ptrIKtEEEESI_EEEEESK_NSA_INS5_IJNSE_INSF_ItEEEESM_EEEEEPS7_SP_SP_NSC_11hip_rocprim7__merge17predicate_wrapperIttNSC_4lessItEEEEEE10hipError_tPvRmT0_T1_T2_T3_T4_T5_mmT6_P12ihipStream_tbEUlT_E_NS1_11comp_targetILNS1_3genE5ELNS1_11target_archE942ELNS1_3gpuE9ELNS1_3repE0EEENS1_30default_config_static_selectorELNS0_4arch9wavefront6targetE0EEEvS10_,comdat
	.protected	_ZN7rocprim17ROCPRIM_400000_NS6detail17trampoline_kernelINS0_14default_configENS1_21merge_config_selectorINS0_5tupleIJttEEENS0_10empty_typeEEEZNS1_10merge_implIS3_NS0_12zip_iteratorINS5_IJN6thrust23THRUST_200600_302600_NS6detail15normal_iteratorINSC_10device_ptrIKtEEEESI_EEEEESK_NSA_INS5_IJNSE_INSF_ItEEEESM_EEEEEPS7_SP_SP_NSC_11hip_rocprim7__merge17predicate_wrapperIttNSC_4lessItEEEEEE10hipError_tPvRmT0_T1_T2_T3_T4_T5_mmT6_P12ihipStream_tbEUlT_E_NS1_11comp_targetILNS1_3genE5ELNS1_11target_archE942ELNS1_3gpuE9ELNS1_3repE0EEENS1_30default_config_static_selectorELNS0_4arch9wavefront6targetE0EEEvS10_ ; -- Begin function _ZN7rocprim17ROCPRIM_400000_NS6detail17trampoline_kernelINS0_14default_configENS1_21merge_config_selectorINS0_5tupleIJttEEENS0_10empty_typeEEEZNS1_10merge_implIS3_NS0_12zip_iteratorINS5_IJN6thrust23THRUST_200600_302600_NS6detail15normal_iteratorINSC_10device_ptrIKtEEEESI_EEEEESK_NSA_INS5_IJNSE_INSF_ItEEEESM_EEEEEPS7_SP_SP_NSC_11hip_rocprim7__merge17predicate_wrapperIttNSC_4lessItEEEEEE10hipError_tPvRmT0_T1_T2_T3_T4_T5_mmT6_P12ihipStream_tbEUlT_E_NS1_11comp_targetILNS1_3genE5ELNS1_11target_archE942ELNS1_3gpuE9ELNS1_3repE0EEENS1_30default_config_static_selectorELNS0_4arch9wavefront6targetE0EEEvS10_
	.globl	_ZN7rocprim17ROCPRIM_400000_NS6detail17trampoline_kernelINS0_14default_configENS1_21merge_config_selectorINS0_5tupleIJttEEENS0_10empty_typeEEEZNS1_10merge_implIS3_NS0_12zip_iteratorINS5_IJN6thrust23THRUST_200600_302600_NS6detail15normal_iteratorINSC_10device_ptrIKtEEEESI_EEEEESK_NSA_INS5_IJNSE_INSF_ItEEEESM_EEEEEPS7_SP_SP_NSC_11hip_rocprim7__merge17predicate_wrapperIttNSC_4lessItEEEEEE10hipError_tPvRmT0_T1_T2_T3_T4_T5_mmT6_P12ihipStream_tbEUlT_E_NS1_11comp_targetILNS1_3genE5ELNS1_11target_archE942ELNS1_3gpuE9ELNS1_3repE0EEENS1_30default_config_static_selectorELNS0_4arch9wavefront6targetE0EEEvS10_
	.p2align	8
	.type	_ZN7rocprim17ROCPRIM_400000_NS6detail17trampoline_kernelINS0_14default_configENS1_21merge_config_selectorINS0_5tupleIJttEEENS0_10empty_typeEEEZNS1_10merge_implIS3_NS0_12zip_iteratorINS5_IJN6thrust23THRUST_200600_302600_NS6detail15normal_iteratorINSC_10device_ptrIKtEEEESI_EEEEESK_NSA_INS5_IJNSE_INSF_ItEEEESM_EEEEEPS7_SP_SP_NSC_11hip_rocprim7__merge17predicate_wrapperIttNSC_4lessItEEEEEE10hipError_tPvRmT0_T1_T2_T3_T4_T5_mmT6_P12ihipStream_tbEUlT_E_NS1_11comp_targetILNS1_3genE5ELNS1_11target_archE942ELNS1_3gpuE9ELNS1_3repE0EEENS1_30default_config_static_selectorELNS0_4arch9wavefront6targetE0EEEvS10_,@function
_ZN7rocprim17ROCPRIM_400000_NS6detail17trampoline_kernelINS0_14default_configENS1_21merge_config_selectorINS0_5tupleIJttEEENS0_10empty_typeEEEZNS1_10merge_implIS3_NS0_12zip_iteratorINS5_IJN6thrust23THRUST_200600_302600_NS6detail15normal_iteratorINSC_10device_ptrIKtEEEESI_EEEEESK_NSA_INS5_IJNSE_INSF_ItEEEESM_EEEEEPS7_SP_SP_NSC_11hip_rocprim7__merge17predicate_wrapperIttNSC_4lessItEEEEEE10hipError_tPvRmT0_T1_T2_T3_T4_T5_mmT6_P12ihipStream_tbEUlT_E_NS1_11comp_targetILNS1_3genE5ELNS1_11target_archE942ELNS1_3gpuE9ELNS1_3repE0EEENS1_30default_config_static_selectorELNS0_4arch9wavefront6targetE0EEEvS10_: ; @_ZN7rocprim17ROCPRIM_400000_NS6detail17trampoline_kernelINS0_14default_configENS1_21merge_config_selectorINS0_5tupleIJttEEENS0_10empty_typeEEEZNS1_10merge_implIS3_NS0_12zip_iteratorINS5_IJN6thrust23THRUST_200600_302600_NS6detail15normal_iteratorINSC_10device_ptrIKtEEEESI_EEEEESK_NSA_INS5_IJNSE_INSF_ItEEEESM_EEEEEPS7_SP_SP_NSC_11hip_rocprim7__merge17predicate_wrapperIttNSC_4lessItEEEEEE10hipError_tPvRmT0_T1_T2_T3_T4_T5_mmT6_P12ihipStream_tbEUlT_E_NS1_11comp_targetILNS1_3genE5ELNS1_11target_archE942ELNS1_3gpuE9ELNS1_3repE0EEENS1_30default_config_static_selectorELNS0_4arch9wavefront6targetE0EEEvS10_
; %bb.0:
	.section	.rodata,"a",@progbits
	.p2align	6, 0x0
	.amdhsa_kernel _ZN7rocprim17ROCPRIM_400000_NS6detail17trampoline_kernelINS0_14default_configENS1_21merge_config_selectorINS0_5tupleIJttEEENS0_10empty_typeEEEZNS1_10merge_implIS3_NS0_12zip_iteratorINS5_IJN6thrust23THRUST_200600_302600_NS6detail15normal_iteratorINSC_10device_ptrIKtEEEESI_EEEEESK_NSA_INS5_IJNSE_INSF_ItEEEESM_EEEEEPS7_SP_SP_NSC_11hip_rocprim7__merge17predicate_wrapperIttNSC_4lessItEEEEEE10hipError_tPvRmT0_T1_T2_T3_T4_T5_mmT6_P12ihipStream_tbEUlT_E_NS1_11comp_targetILNS1_3genE5ELNS1_11target_archE942ELNS1_3gpuE9ELNS1_3repE0EEENS1_30default_config_static_selectorELNS0_4arch9wavefront6targetE0EEEvS10_
		.amdhsa_group_segment_fixed_size 0
		.amdhsa_private_segment_fixed_size 0
		.amdhsa_kernarg_size 64
		.amdhsa_user_sgpr_count 6
		.amdhsa_user_sgpr_private_segment_buffer 1
		.amdhsa_user_sgpr_dispatch_ptr 0
		.amdhsa_user_sgpr_queue_ptr 0
		.amdhsa_user_sgpr_kernarg_segment_ptr 1
		.amdhsa_user_sgpr_dispatch_id 0
		.amdhsa_user_sgpr_flat_scratch_init 0
		.amdhsa_user_sgpr_private_segment_size 0
		.amdhsa_wavefront_size32 1
		.amdhsa_uses_dynamic_stack 0
		.amdhsa_system_sgpr_private_segment_wavefront_offset 0
		.amdhsa_system_sgpr_workgroup_id_x 1
		.amdhsa_system_sgpr_workgroup_id_y 0
		.amdhsa_system_sgpr_workgroup_id_z 0
		.amdhsa_system_sgpr_workgroup_info 0
		.amdhsa_system_vgpr_workitem_id 0
		.amdhsa_next_free_vgpr 1
		.amdhsa_next_free_sgpr 1
		.amdhsa_reserve_vcc 0
		.amdhsa_reserve_flat_scratch 0
		.amdhsa_float_round_mode_32 0
		.amdhsa_float_round_mode_16_64 0
		.amdhsa_float_denorm_mode_32 3
		.amdhsa_float_denorm_mode_16_64 3
		.amdhsa_dx10_clamp 1
		.amdhsa_ieee_mode 1
		.amdhsa_fp16_overflow 0
		.amdhsa_workgroup_processor_mode 1
		.amdhsa_memory_ordered 1
		.amdhsa_forward_progress 1
		.amdhsa_shared_vgpr_count 0
		.amdhsa_exception_fp_ieee_invalid_op 0
		.amdhsa_exception_fp_denorm_src 0
		.amdhsa_exception_fp_ieee_div_zero 0
		.amdhsa_exception_fp_ieee_overflow 0
		.amdhsa_exception_fp_ieee_underflow 0
		.amdhsa_exception_fp_ieee_inexact 0
		.amdhsa_exception_int_div_zero 0
	.end_amdhsa_kernel
	.section	.text._ZN7rocprim17ROCPRIM_400000_NS6detail17trampoline_kernelINS0_14default_configENS1_21merge_config_selectorINS0_5tupleIJttEEENS0_10empty_typeEEEZNS1_10merge_implIS3_NS0_12zip_iteratorINS5_IJN6thrust23THRUST_200600_302600_NS6detail15normal_iteratorINSC_10device_ptrIKtEEEESI_EEEEESK_NSA_INS5_IJNSE_INSF_ItEEEESM_EEEEEPS7_SP_SP_NSC_11hip_rocprim7__merge17predicate_wrapperIttNSC_4lessItEEEEEE10hipError_tPvRmT0_T1_T2_T3_T4_T5_mmT6_P12ihipStream_tbEUlT_E_NS1_11comp_targetILNS1_3genE5ELNS1_11target_archE942ELNS1_3gpuE9ELNS1_3repE0EEENS1_30default_config_static_selectorELNS0_4arch9wavefront6targetE0EEEvS10_,"axG",@progbits,_ZN7rocprim17ROCPRIM_400000_NS6detail17trampoline_kernelINS0_14default_configENS1_21merge_config_selectorINS0_5tupleIJttEEENS0_10empty_typeEEEZNS1_10merge_implIS3_NS0_12zip_iteratorINS5_IJN6thrust23THRUST_200600_302600_NS6detail15normal_iteratorINSC_10device_ptrIKtEEEESI_EEEEESK_NSA_INS5_IJNSE_INSF_ItEEEESM_EEEEEPS7_SP_SP_NSC_11hip_rocprim7__merge17predicate_wrapperIttNSC_4lessItEEEEEE10hipError_tPvRmT0_T1_T2_T3_T4_T5_mmT6_P12ihipStream_tbEUlT_E_NS1_11comp_targetILNS1_3genE5ELNS1_11target_archE942ELNS1_3gpuE9ELNS1_3repE0EEENS1_30default_config_static_selectorELNS0_4arch9wavefront6targetE0EEEvS10_,comdat
.Lfunc_end171:
	.size	_ZN7rocprim17ROCPRIM_400000_NS6detail17trampoline_kernelINS0_14default_configENS1_21merge_config_selectorINS0_5tupleIJttEEENS0_10empty_typeEEEZNS1_10merge_implIS3_NS0_12zip_iteratorINS5_IJN6thrust23THRUST_200600_302600_NS6detail15normal_iteratorINSC_10device_ptrIKtEEEESI_EEEEESK_NSA_INS5_IJNSE_INSF_ItEEEESM_EEEEEPS7_SP_SP_NSC_11hip_rocprim7__merge17predicate_wrapperIttNSC_4lessItEEEEEE10hipError_tPvRmT0_T1_T2_T3_T4_T5_mmT6_P12ihipStream_tbEUlT_E_NS1_11comp_targetILNS1_3genE5ELNS1_11target_archE942ELNS1_3gpuE9ELNS1_3repE0EEENS1_30default_config_static_selectorELNS0_4arch9wavefront6targetE0EEEvS10_, .Lfunc_end171-_ZN7rocprim17ROCPRIM_400000_NS6detail17trampoline_kernelINS0_14default_configENS1_21merge_config_selectorINS0_5tupleIJttEEENS0_10empty_typeEEEZNS1_10merge_implIS3_NS0_12zip_iteratorINS5_IJN6thrust23THRUST_200600_302600_NS6detail15normal_iteratorINSC_10device_ptrIKtEEEESI_EEEEESK_NSA_INS5_IJNSE_INSF_ItEEEESM_EEEEEPS7_SP_SP_NSC_11hip_rocprim7__merge17predicate_wrapperIttNSC_4lessItEEEEEE10hipError_tPvRmT0_T1_T2_T3_T4_T5_mmT6_P12ihipStream_tbEUlT_E_NS1_11comp_targetILNS1_3genE5ELNS1_11target_archE942ELNS1_3gpuE9ELNS1_3repE0EEENS1_30default_config_static_selectorELNS0_4arch9wavefront6targetE0EEEvS10_
                                        ; -- End function
	.set _ZN7rocprim17ROCPRIM_400000_NS6detail17trampoline_kernelINS0_14default_configENS1_21merge_config_selectorINS0_5tupleIJttEEENS0_10empty_typeEEEZNS1_10merge_implIS3_NS0_12zip_iteratorINS5_IJN6thrust23THRUST_200600_302600_NS6detail15normal_iteratorINSC_10device_ptrIKtEEEESI_EEEEESK_NSA_INS5_IJNSE_INSF_ItEEEESM_EEEEEPS7_SP_SP_NSC_11hip_rocprim7__merge17predicate_wrapperIttNSC_4lessItEEEEEE10hipError_tPvRmT0_T1_T2_T3_T4_T5_mmT6_P12ihipStream_tbEUlT_E_NS1_11comp_targetILNS1_3genE5ELNS1_11target_archE942ELNS1_3gpuE9ELNS1_3repE0EEENS1_30default_config_static_selectorELNS0_4arch9wavefront6targetE0EEEvS10_.num_vgpr, 0
	.set _ZN7rocprim17ROCPRIM_400000_NS6detail17trampoline_kernelINS0_14default_configENS1_21merge_config_selectorINS0_5tupleIJttEEENS0_10empty_typeEEEZNS1_10merge_implIS3_NS0_12zip_iteratorINS5_IJN6thrust23THRUST_200600_302600_NS6detail15normal_iteratorINSC_10device_ptrIKtEEEESI_EEEEESK_NSA_INS5_IJNSE_INSF_ItEEEESM_EEEEEPS7_SP_SP_NSC_11hip_rocprim7__merge17predicate_wrapperIttNSC_4lessItEEEEEE10hipError_tPvRmT0_T1_T2_T3_T4_T5_mmT6_P12ihipStream_tbEUlT_E_NS1_11comp_targetILNS1_3genE5ELNS1_11target_archE942ELNS1_3gpuE9ELNS1_3repE0EEENS1_30default_config_static_selectorELNS0_4arch9wavefront6targetE0EEEvS10_.num_agpr, 0
	.set _ZN7rocprim17ROCPRIM_400000_NS6detail17trampoline_kernelINS0_14default_configENS1_21merge_config_selectorINS0_5tupleIJttEEENS0_10empty_typeEEEZNS1_10merge_implIS3_NS0_12zip_iteratorINS5_IJN6thrust23THRUST_200600_302600_NS6detail15normal_iteratorINSC_10device_ptrIKtEEEESI_EEEEESK_NSA_INS5_IJNSE_INSF_ItEEEESM_EEEEEPS7_SP_SP_NSC_11hip_rocprim7__merge17predicate_wrapperIttNSC_4lessItEEEEEE10hipError_tPvRmT0_T1_T2_T3_T4_T5_mmT6_P12ihipStream_tbEUlT_E_NS1_11comp_targetILNS1_3genE5ELNS1_11target_archE942ELNS1_3gpuE9ELNS1_3repE0EEENS1_30default_config_static_selectorELNS0_4arch9wavefront6targetE0EEEvS10_.numbered_sgpr, 0
	.set _ZN7rocprim17ROCPRIM_400000_NS6detail17trampoline_kernelINS0_14default_configENS1_21merge_config_selectorINS0_5tupleIJttEEENS0_10empty_typeEEEZNS1_10merge_implIS3_NS0_12zip_iteratorINS5_IJN6thrust23THRUST_200600_302600_NS6detail15normal_iteratorINSC_10device_ptrIKtEEEESI_EEEEESK_NSA_INS5_IJNSE_INSF_ItEEEESM_EEEEEPS7_SP_SP_NSC_11hip_rocprim7__merge17predicate_wrapperIttNSC_4lessItEEEEEE10hipError_tPvRmT0_T1_T2_T3_T4_T5_mmT6_P12ihipStream_tbEUlT_E_NS1_11comp_targetILNS1_3genE5ELNS1_11target_archE942ELNS1_3gpuE9ELNS1_3repE0EEENS1_30default_config_static_selectorELNS0_4arch9wavefront6targetE0EEEvS10_.num_named_barrier, 0
	.set _ZN7rocprim17ROCPRIM_400000_NS6detail17trampoline_kernelINS0_14default_configENS1_21merge_config_selectorINS0_5tupleIJttEEENS0_10empty_typeEEEZNS1_10merge_implIS3_NS0_12zip_iteratorINS5_IJN6thrust23THRUST_200600_302600_NS6detail15normal_iteratorINSC_10device_ptrIKtEEEESI_EEEEESK_NSA_INS5_IJNSE_INSF_ItEEEESM_EEEEEPS7_SP_SP_NSC_11hip_rocprim7__merge17predicate_wrapperIttNSC_4lessItEEEEEE10hipError_tPvRmT0_T1_T2_T3_T4_T5_mmT6_P12ihipStream_tbEUlT_E_NS1_11comp_targetILNS1_3genE5ELNS1_11target_archE942ELNS1_3gpuE9ELNS1_3repE0EEENS1_30default_config_static_selectorELNS0_4arch9wavefront6targetE0EEEvS10_.private_seg_size, 0
	.set _ZN7rocprim17ROCPRIM_400000_NS6detail17trampoline_kernelINS0_14default_configENS1_21merge_config_selectorINS0_5tupleIJttEEENS0_10empty_typeEEEZNS1_10merge_implIS3_NS0_12zip_iteratorINS5_IJN6thrust23THRUST_200600_302600_NS6detail15normal_iteratorINSC_10device_ptrIKtEEEESI_EEEEESK_NSA_INS5_IJNSE_INSF_ItEEEESM_EEEEEPS7_SP_SP_NSC_11hip_rocprim7__merge17predicate_wrapperIttNSC_4lessItEEEEEE10hipError_tPvRmT0_T1_T2_T3_T4_T5_mmT6_P12ihipStream_tbEUlT_E_NS1_11comp_targetILNS1_3genE5ELNS1_11target_archE942ELNS1_3gpuE9ELNS1_3repE0EEENS1_30default_config_static_selectorELNS0_4arch9wavefront6targetE0EEEvS10_.uses_vcc, 0
	.set _ZN7rocprim17ROCPRIM_400000_NS6detail17trampoline_kernelINS0_14default_configENS1_21merge_config_selectorINS0_5tupleIJttEEENS0_10empty_typeEEEZNS1_10merge_implIS3_NS0_12zip_iteratorINS5_IJN6thrust23THRUST_200600_302600_NS6detail15normal_iteratorINSC_10device_ptrIKtEEEESI_EEEEESK_NSA_INS5_IJNSE_INSF_ItEEEESM_EEEEEPS7_SP_SP_NSC_11hip_rocprim7__merge17predicate_wrapperIttNSC_4lessItEEEEEE10hipError_tPvRmT0_T1_T2_T3_T4_T5_mmT6_P12ihipStream_tbEUlT_E_NS1_11comp_targetILNS1_3genE5ELNS1_11target_archE942ELNS1_3gpuE9ELNS1_3repE0EEENS1_30default_config_static_selectorELNS0_4arch9wavefront6targetE0EEEvS10_.uses_flat_scratch, 0
	.set _ZN7rocprim17ROCPRIM_400000_NS6detail17trampoline_kernelINS0_14default_configENS1_21merge_config_selectorINS0_5tupleIJttEEENS0_10empty_typeEEEZNS1_10merge_implIS3_NS0_12zip_iteratorINS5_IJN6thrust23THRUST_200600_302600_NS6detail15normal_iteratorINSC_10device_ptrIKtEEEESI_EEEEESK_NSA_INS5_IJNSE_INSF_ItEEEESM_EEEEEPS7_SP_SP_NSC_11hip_rocprim7__merge17predicate_wrapperIttNSC_4lessItEEEEEE10hipError_tPvRmT0_T1_T2_T3_T4_T5_mmT6_P12ihipStream_tbEUlT_E_NS1_11comp_targetILNS1_3genE5ELNS1_11target_archE942ELNS1_3gpuE9ELNS1_3repE0EEENS1_30default_config_static_selectorELNS0_4arch9wavefront6targetE0EEEvS10_.has_dyn_sized_stack, 0
	.set _ZN7rocprim17ROCPRIM_400000_NS6detail17trampoline_kernelINS0_14default_configENS1_21merge_config_selectorINS0_5tupleIJttEEENS0_10empty_typeEEEZNS1_10merge_implIS3_NS0_12zip_iteratorINS5_IJN6thrust23THRUST_200600_302600_NS6detail15normal_iteratorINSC_10device_ptrIKtEEEESI_EEEEESK_NSA_INS5_IJNSE_INSF_ItEEEESM_EEEEEPS7_SP_SP_NSC_11hip_rocprim7__merge17predicate_wrapperIttNSC_4lessItEEEEEE10hipError_tPvRmT0_T1_T2_T3_T4_T5_mmT6_P12ihipStream_tbEUlT_E_NS1_11comp_targetILNS1_3genE5ELNS1_11target_archE942ELNS1_3gpuE9ELNS1_3repE0EEENS1_30default_config_static_selectorELNS0_4arch9wavefront6targetE0EEEvS10_.has_recursion, 0
	.set _ZN7rocprim17ROCPRIM_400000_NS6detail17trampoline_kernelINS0_14default_configENS1_21merge_config_selectorINS0_5tupleIJttEEENS0_10empty_typeEEEZNS1_10merge_implIS3_NS0_12zip_iteratorINS5_IJN6thrust23THRUST_200600_302600_NS6detail15normal_iteratorINSC_10device_ptrIKtEEEESI_EEEEESK_NSA_INS5_IJNSE_INSF_ItEEEESM_EEEEEPS7_SP_SP_NSC_11hip_rocprim7__merge17predicate_wrapperIttNSC_4lessItEEEEEE10hipError_tPvRmT0_T1_T2_T3_T4_T5_mmT6_P12ihipStream_tbEUlT_E_NS1_11comp_targetILNS1_3genE5ELNS1_11target_archE942ELNS1_3gpuE9ELNS1_3repE0EEENS1_30default_config_static_selectorELNS0_4arch9wavefront6targetE0EEEvS10_.has_indirect_call, 0
	.section	.AMDGPU.csdata,"",@progbits
; Kernel info:
; codeLenInByte = 0
; TotalNumSgprs: 0
; NumVgprs: 0
; ScratchSize: 0
; MemoryBound: 0
; FloatMode: 240
; IeeeMode: 1
; LDSByteSize: 0 bytes/workgroup (compile time only)
; SGPRBlocks: 0
; VGPRBlocks: 0
; NumSGPRsForWavesPerEU: 1
; NumVGPRsForWavesPerEU: 1
; Occupancy: 16
; WaveLimiterHint : 0
; COMPUTE_PGM_RSRC2:SCRATCH_EN: 0
; COMPUTE_PGM_RSRC2:USER_SGPR: 6
; COMPUTE_PGM_RSRC2:TRAP_HANDLER: 0
; COMPUTE_PGM_RSRC2:TGID_X_EN: 1
; COMPUTE_PGM_RSRC2:TGID_Y_EN: 0
; COMPUTE_PGM_RSRC2:TGID_Z_EN: 0
; COMPUTE_PGM_RSRC2:TIDIG_COMP_CNT: 0
	.section	.text._ZN7rocprim17ROCPRIM_400000_NS6detail17trampoline_kernelINS0_14default_configENS1_21merge_config_selectorINS0_5tupleIJttEEENS0_10empty_typeEEEZNS1_10merge_implIS3_NS0_12zip_iteratorINS5_IJN6thrust23THRUST_200600_302600_NS6detail15normal_iteratorINSC_10device_ptrIKtEEEESI_EEEEESK_NSA_INS5_IJNSE_INSF_ItEEEESM_EEEEEPS7_SP_SP_NSC_11hip_rocprim7__merge17predicate_wrapperIttNSC_4lessItEEEEEE10hipError_tPvRmT0_T1_T2_T3_T4_T5_mmT6_P12ihipStream_tbEUlT_E_NS1_11comp_targetILNS1_3genE4ELNS1_11target_archE910ELNS1_3gpuE8ELNS1_3repE0EEENS1_30default_config_static_selectorELNS0_4arch9wavefront6targetE0EEEvS10_,"axG",@progbits,_ZN7rocprim17ROCPRIM_400000_NS6detail17trampoline_kernelINS0_14default_configENS1_21merge_config_selectorINS0_5tupleIJttEEENS0_10empty_typeEEEZNS1_10merge_implIS3_NS0_12zip_iteratorINS5_IJN6thrust23THRUST_200600_302600_NS6detail15normal_iteratorINSC_10device_ptrIKtEEEESI_EEEEESK_NSA_INS5_IJNSE_INSF_ItEEEESM_EEEEEPS7_SP_SP_NSC_11hip_rocprim7__merge17predicate_wrapperIttNSC_4lessItEEEEEE10hipError_tPvRmT0_T1_T2_T3_T4_T5_mmT6_P12ihipStream_tbEUlT_E_NS1_11comp_targetILNS1_3genE4ELNS1_11target_archE910ELNS1_3gpuE8ELNS1_3repE0EEENS1_30default_config_static_selectorELNS0_4arch9wavefront6targetE0EEEvS10_,comdat
	.protected	_ZN7rocprim17ROCPRIM_400000_NS6detail17trampoline_kernelINS0_14default_configENS1_21merge_config_selectorINS0_5tupleIJttEEENS0_10empty_typeEEEZNS1_10merge_implIS3_NS0_12zip_iteratorINS5_IJN6thrust23THRUST_200600_302600_NS6detail15normal_iteratorINSC_10device_ptrIKtEEEESI_EEEEESK_NSA_INS5_IJNSE_INSF_ItEEEESM_EEEEEPS7_SP_SP_NSC_11hip_rocprim7__merge17predicate_wrapperIttNSC_4lessItEEEEEE10hipError_tPvRmT0_T1_T2_T3_T4_T5_mmT6_P12ihipStream_tbEUlT_E_NS1_11comp_targetILNS1_3genE4ELNS1_11target_archE910ELNS1_3gpuE8ELNS1_3repE0EEENS1_30default_config_static_selectorELNS0_4arch9wavefront6targetE0EEEvS10_ ; -- Begin function _ZN7rocprim17ROCPRIM_400000_NS6detail17trampoline_kernelINS0_14default_configENS1_21merge_config_selectorINS0_5tupleIJttEEENS0_10empty_typeEEEZNS1_10merge_implIS3_NS0_12zip_iteratorINS5_IJN6thrust23THRUST_200600_302600_NS6detail15normal_iteratorINSC_10device_ptrIKtEEEESI_EEEEESK_NSA_INS5_IJNSE_INSF_ItEEEESM_EEEEEPS7_SP_SP_NSC_11hip_rocprim7__merge17predicate_wrapperIttNSC_4lessItEEEEEE10hipError_tPvRmT0_T1_T2_T3_T4_T5_mmT6_P12ihipStream_tbEUlT_E_NS1_11comp_targetILNS1_3genE4ELNS1_11target_archE910ELNS1_3gpuE8ELNS1_3repE0EEENS1_30default_config_static_selectorELNS0_4arch9wavefront6targetE0EEEvS10_
	.globl	_ZN7rocprim17ROCPRIM_400000_NS6detail17trampoline_kernelINS0_14default_configENS1_21merge_config_selectorINS0_5tupleIJttEEENS0_10empty_typeEEEZNS1_10merge_implIS3_NS0_12zip_iteratorINS5_IJN6thrust23THRUST_200600_302600_NS6detail15normal_iteratorINSC_10device_ptrIKtEEEESI_EEEEESK_NSA_INS5_IJNSE_INSF_ItEEEESM_EEEEEPS7_SP_SP_NSC_11hip_rocprim7__merge17predicate_wrapperIttNSC_4lessItEEEEEE10hipError_tPvRmT0_T1_T2_T3_T4_T5_mmT6_P12ihipStream_tbEUlT_E_NS1_11comp_targetILNS1_3genE4ELNS1_11target_archE910ELNS1_3gpuE8ELNS1_3repE0EEENS1_30default_config_static_selectorELNS0_4arch9wavefront6targetE0EEEvS10_
	.p2align	8
	.type	_ZN7rocprim17ROCPRIM_400000_NS6detail17trampoline_kernelINS0_14default_configENS1_21merge_config_selectorINS0_5tupleIJttEEENS0_10empty_typeEEEZNS1_10merge_implIS3_NS0_12zip_iteratorINS5_IJN6thrust23THRUST_200600_302600_NS6detail15normal_iteratorINSC_10device_ptrIKtEEEESI_EEEEESK_NSA_INS5_IJNSE_INSF_ItEEEESM_EEEEEPS7_SP_SP_NSC_11hip_rocprim7__merge17predicate_wrapperIttNSC_4lessItEEEEEE10hipError_tPvRmT0_T1_T2_T3_T4_T5_mmT6_P12ihipStream_tbEUlT_E_NS1_11comp_targetILNS1_3genE4ELNS1_11target_archE910ELNS1_3gpuE8ELNS1_3repE0EEENS1_30default_config_static_selectorELNS0_4arch9wavefront6targetE0EEEvS10_,@function
_ZN7rocprim17ROCPRIM_400000_NS6detail17trampoline_kernelINS0_14default_configENS1_21merge_config_selectorINS0_5tupleIJttEEENS0_10empty_typeEEEZNS1_10merge_implIS3_NS0_12zip_iteratorINS5_IJN6thrust23THRUST_200600_302600_NS6detail15normal_iteratorINSC_10device_ptrIKtEEEESI_EEEEESK_NSA_INS5_IJNSE_INSF_ItEEEESM_EEEEEPS7_SP_SP_NSC_11hip_rocprim7__merge17predicate_wrapperIttNSC_4lessItEEEEEE10hipError_tPvRmT0_T1_T2_T3_T4_T5_mmT6_P12ihipStream_tbEUlT_E_NS1_11comp_targetILNS1_3genE4ELNS1_11target_archE910ELNS1_3gpuE8ELNS1_3repE0EEENS1_30default_config_static_selectorELNS0_4arch9wavefront6targetE0EEEvS10_: ; @_ZN7rocprim17ROCPRIM_400000_NS6detail17trampoline_kernelINS0_14default_configENS1_21merge_config_selectorINS0_5tupleIJttEEENS0_10empty_typeEEEZNS1_10merge_implIS3_NS0_12zip_iteratorINS5_IJN6thrust23THRUST_200600_302600_NS6detail15normal_iteratorINSC_10device_ptrIKtEEEESI_EEEEESK_NSA_INS5_IJNSE_INSF_ItEEEESM_EEEEEPS7_SP_SP_NSC_11hip_rocprim7__merge17predicate_wrapperIttNSC_4lessItEEEEEE10hipError_tPvRmT0_T1_T2_T3_T4_T5_mmT6_P12ihipStream_tbEUlT_E_NS1_11comp_targetILNS1_3genE4ELNS1_11target_archE910ELNS1_3gpuE8ELNS1_3repE0EEENS1_30default_config_static_selectorELNS0_4arch9wavefront6targetE0EEEvS10_
; %bb.0:
	.section	.rodata,"a",@progbits
	.p2align	6, 0x0
	.amdhsa_kernel _ZN7rocprim17ROCPRIM_400000_NS6detail17trampoline_kernelINS0_14default_configENS1_21merge_config_selectorINS0_5tupleIJttEEENS0_10empty_typeEEEZNS1_10merge_implIS3_NS0_12zip_iteratorINS5_IJN6thrust23THRUST_200600_302600_NS6detail15normal_iteratorINSC_10device_ptrIKtEEEESI_EEEEESK_NSA_INS5_IJNSE_INSF_ItEEEESM_EEEEEPS7_SP_SP_NSC_11hip_rocprim7__merge17predicate_wrapperIttNSC_4lessItEEEEEE10hipError_tPvRmT0_T1_T2_T3_T4_T5_mmT6_P12ihipStream_tbEUlT_E_NS1_11comp_targetILNS1_3genE4ELNS1_11target_archE910ELNS1_3gpuE8ELNS1_3repE0EEENS1_30default_config_static_selectorELNS0_4arch9wavefront6targetE0EEEvS10_
		.amdhsa_group_segment_fixed_size 0
		.amdhsa_private_segment_fixed_size 0
		.amdhsa_kernarg_size 64
		.amdhsa_user_sgpr_count 6
		.amdhsa_user_sgpr_private_segment_buffer 1
		.amdhsa_user_sgpr_dispatch_ptr 0
		.amdhsa_user_sgpr_queue_ptr 0
		.amdhsa_user_sgpr_kernarg_segment_ptr 1
		.amdhsa_user_sgpr_dispatch_id 0
		.amdhsa_user_sgpr_flat_scratch_init 0
		.amdhsa_user_sgpr_private_segment_size 0
		.amdhsa_wavefront_size32 1
		.amdhsa_uses_dynamic_stack 0
		.amdhsa_system_sgpr_private_segment_wavefront_offset 0
		.amdhsa_system_sgpr_workgroup_id_x 1
		.amdhsa_system_sgpr_workgroup_id_y 0
		.amdhsa_system_sgpr_workgroup_id_z 0
		.amdhsa_system_sgpr_workgroup_info 0
		.amdhsa_system_vgpr_workitem_id 0
		.amdhsa_next_free_vgpr 1
		.amdhsa_next_free_sgpr 1
		.amdhsa_reserve_vcc 0
		.amdhsa_reserve_flat_scratch 0
		.amdhsa_float_round_mode_32 0
		.amdhsa_float_round_mode_16_64 0
		.amdhsa_float_denorm_mode_32 3
		.amdhsa_float_denorm_mode_16_64 3
		.amdhsa_dx10_clamp 1
		.amdhsa_ieee_mode 1
		.amdhsa_fp16_overflow 0
		.amdhsa_workgroup_processor_mode 1
		.amdhsa_memory_ordered 1
		.amdhsa_forward_progress 1
		.amdhsa_shared_vgpr_count 0
		.amdhsa_exception_fp_ieee_invalid_op 0
		.amdhsa_exception_fp_denorm_src 0
		.amdhsa_exception_fp_ieee_div_zero 0
		.amdhsa_exception_fp_ieee_overflow 0
		.amdhsa_exception_fp_ieee_underflow 0
		.amdhsa_exception_fp_ieee_inexact 0
		.amdhsa_exception_int_div_zero 0
	.end_amdhsa_kernel
	.section	.text._ZN7rocprim17ROCPRIM_400000_NS6detail17trampoline_kernelINS0_14default_configENS1_21merge_config_selectorINS0_5tupleIJttEEENS0_10empty_typeEEEZNS1_10merge_implIS3_NS0_12zip_iteratorINS5_IJN6thrust23THRUST_200600_302600_NS6detail15normal_iteratorINSC_10device_ptrIKtEEEESI_EEEEESK_NSA_INS5_IJNSE_INSF_ItEEEESM_EEEEEPS7_SP_SP_NSC_11hip_rocprim7__merge17predicate_wrapperIttNSC_4lessItEEEEEE10hipError_tPvRmT0_T1_T2_T3_T4_T5_mmT6_P12ihipStream_tbEUlT_E_NS1_11comp_targetILNS1_3genE4ELNS1_11target_archE910ELNS1_3gpuE8ELNS1_3repE0EEENS1_30default_config_static_selectorELNS0_4arch9wavefront6targetE0EEEvS10_,"axG",@progbits,_ZN7rocprim17ROCPRIM_400000_NS6detail17trampoline_kernelINS0_14default_configENS1_21merge_config_selectorINS0_5tupleIJttEEENS0_10empty_typeEEEZNS1_10merge_implIS3_NS0_12zip_iteratorINS5_IJN6thrust23THRUST_200600_302600_NS6detail15normal_iteratorINSC_10device_ptrIKtEEEESI_EEEEESK_NSA_INS5_IJNSE_INSF_ItEEEESM_EEEEEPS7_SP_SP_NSC_11hip_rocprim7__merge17predicate_wrapperIttNSC_4lessItEEEEEE10hipError_tPvRmT0_T1_T2_T3_T4_T5_mmT6_P12ihipStream_tbEUlT_E_NS1_11comp_targetILNS1_3genE4ELNS1_11target_archE910ELNS1_3gpuE8ELNS1_3repE0EEENS1_30default_config_static_selectorELNS0_4arch9wavefront6targetE0EEEvS10_,comdat
.Lfunc_end172:
	.size	_ZN7rocprim17ROCPRIM_400000_NS6detail17trampoline_kernelINS0_14default_configENS1_21merge_config_selectorINS0_5tupleIJttEEENS0_10empty_typeEEEZNS1_10merge_implIS3_NS0_12zip_iteratorINS5_IJN6thrust23THRUST_200600_302600_NS6detail15normal_iteratorINSC_10device_ptrIKtEEEESI_EEEEESK_NSA_INS5_IJNSE_INSF_ItEEEESM_EEEEEPS7_SP_SP_NSC_11hip_rocprim7__merge17predicate_wrapperIttNSC_4lessItEEEEEE10hipError_tPvRmT0_T1_T2_T3_T4_T5_mmT6_P12ihipStream_tbEUlT_E_NS1_11comp_targetILNS1_3genE4ELNS1_11target_archE910ELNS1_3gpuE8ELNS1_3repE0EEENS1_30default_config_static_selectorELNS0_4arch9wavefront6targetE0EEEvS10_, .Lfunc_end172-_ZN7rocprim17ROCPRIM_400000_NS6detail17trampoline_kernelINS0_14default_configENS1_21merge_config_selectorINS0_5tupleIJttEEENS0_10empty_typeEEEZNS1_10merge_implIS3_NS0_12zip_iteratorINS5_IJN6thrust23THRUST_200600_302600_NS6detail15normal_iteratorINSC_10device_ptrIKtEEEESI_EEEEESK_NSA_INS5_IJNSE_INSF_ItEEEESM_EEEEEPS7_SP_SP_NSC_11hip_rocprim7__merge17predicate_wrapperIttNSC_4lessItEEEEEE10hipError_tPvRmT0_T1_T2_T3_T4_T5_mmT6_P12ihipStream_tbEUlT_E_NS1_11comp_targetILNS1_3genE4ELNS1_11target_archE910ELNS1_3gpuE8ELNS1_3repE0EEENS1_30default_config_static_selectorELNS0_4arch9wavefront6targetE0EEEvS10_
                                        ; -- End function
	.set _ZN7rocprim17ROCPRIM_400000_NS6detail17trampoline_kernelINS0_14default_configENS1_21merge_config_selectorINS0_5tupleIJttEEENS0_10empty_typeEEEZNS1_10merge_implIS3_NS0_12zip_iteratorINS5_IJN6thrust23THRUST_200600_302600_NS6detail15normal_iteratorINSC_10device_ptrIKtEEEESI_EEEEESK_NSA_INS5_IJNSE_INSF_ItEEEESM_EEEEEPS7_SP_SP_NSC_11hip_rocprim7__merge17predicate_wrapperIttNSC_4lessItEEEEEE10hipError_tPvRmT0_T1_T2_T3_T4_T5_mmT6_P12ihipStream_tbEUlT_E_NS1_11comp_targetILNS1_3genE4ELNS1_11target_archE910ELNS1_3gpuE8ELNS1_3repE0EEENS1_30default_config_static_selectorELNS0_4arch9wavefront6targetE0EEEvS10_.num_vgpr, 0
	.set _ZN7rocprim17ROCPRIM_400000_NS6detail17trampoline_kernelINS0_14default_configENS1_21merge_config_selectorINS0_5tupleIJttEEENS0_10empty_typeEEEZNS1_10merge_implIS3_NS0_12zip_iteratorINS5_IJN6thrust23THRUST_200600_302600_NS6detail15normal_iteratorINSC_10device_ptrIKtEEEESI_EEEEESK_NSA_INS5_IJNSE_INSF_ItEEEESM_EEEEEPS7_SP_SP_NSC_11hip_rocprim7__merge17predicate_wrapperIttNSC_4lessItEEEEEE10hipError_tPvRmT0_T1_T2_T3_T4_T5_mmT6_P12ihipStream_tbEUlT_E_NS1_11comp_targetILNS1_3genE4ELNS1_11target_archE910ELNS1_3gpuE8ELNS1_3repE0EEENS1_30default_config_static_selectorELNS0_4arch9wavefront6targetE0EEEvS10_.num_agpr, 0
	.set _ZN7rocprim17ROCPRIM_400000_NS6detail17trampoline_kernelINS0_14default_configENS1_21merge_config_selectorINS0_5tupleIJttEEENS0_10empty_typeEEEZNS1_10merge_implIS3_NS0_12zip_iteratorINS5_IJN6thrust23THRUST_200600_302600_NS6detail15normal_iteratorINSC_10device_ptrIKtEEEESI_EEEEESK_NSA_INS5_IJNSE_INSF_ItEEEESM_EEEEEPS7_SP_SP_NSC_11hip_rocprim7__merge17predicate_wrapperIttNSC_4lessItEEEEEE10hipError_tPvRmT0_T1_T2_T3_T4_T5_mmT6_P12ihipStream_tbEUlT_E_NS1_11comp_targetILNS1_3genE4ELNS1_11target_archE910ELNS1_3gpuE8ELNS1_3repE0EEENS1_30default_config_static_selectorELNS0_4arch9wavefront6targetE0EEEvS10_.numbered_sgpr, 0
	.set _ZN7rocprim17ROCPRIM_400000_NS6detail17trampoline_kernelINS0_14default_configENS1_21merge_config_selectorINS0_5tupleIJttEEENS0_10empty_typeEEEZNS1_10merge_implIS3_NS0_12zip_iteratorINS5_IJN6thrust23THRUST_200600_302600_NS6detail15normal_iteratorINSC_10device_ptrIKtEEEESI_EEEEESK_NSA_INS5_IJNSE_INSF_ItEEEESM_EEEEEPS7_SP_SP_NSC_11hip_rocprim7__merge17predicate_wrapperIttNSC_4lessItEEEEEE10hipError_tPvRmT0_T1_T2_T3_T4_T5_mmT6_P12ihipStream_tbEUlT_E_NS1_11comp_targetILNS1_3genE4ELNS1_11target_archE910ELNS1_3gpuE8ELNS1_3repE0EEENS1_30default_config_static_selectorELNS0_4arch9wavefront6targetE0EEEvS10_.num_named_barrier, 0
	.set _ZN7rocprim17ROCPRIM_400000_NS6detail17trampoline_kernelINS0_14default_configENS1_21merge_config_selectorINS0_5tupleIJttEEENS0_10empty_typeEEEZNS1_10merge_implIS3_NS0_12zip_iteratorINS5_IJN6thrust23THRUST_200600_302600_NS6detail15normal_iteratorINSC_10device_ptrIKtEEEESI_EEEEESK_NSA_INS5_IJNSE_INSF_ItEEEESM_EEEEEPS7_SP_SP_NSC_11hip_rocprim7__merge17predicate_wrapperIttNSC_4lessItEEEEEE10hipError_tPvRmT0_T1_T2_T3_T4_T5_mmT6_P12ihipStream_tbEUlT_E_NS1_11comp_targetILNS1_3genE4ELNS1_11target_archE910ELNS1_3gpuE8ELNS1_3repE0EEENS1_30default_config_static_selectorELNS0_4arch9wavefront6targetE0EEEvS10_.private_seg_size, 0
	.set _ZN7rocprim17ROCPRIM_400000_NS6detail17trampoline_kernelINS0_14default_configENS1_21merge_config_selectorINS0_5tupleIJttEEENS0_10empty_typeEEEZNS1_10merge_implIS3_NS0_12zip_iteratorINS5_IJN6thrust23THRUST_200600_302600_NS6detail15normal_iteratorINSC_10device_ptrIKtEEEESI_EEEEESK_NSA_INS5_IJNSE_INSF_ItEEEESM_EEEEEPS7_SP_SP_NSC_11hip_rocprim7__merge17predicate_wrapperIttNSC_4lessItEEEEEE10hipError_tPvRmT0_T1_T2_T3_T4_T5_mmT6_P12ihipStream_tbEUlT_E_NS1_11comp_targetILNS1_3genE4ELNS1_11target_archE910ELNS1_3gpuE8ELNS1_3repE0EEENS1_30default_config_static_selectorELNS0_4arch9wavefront6targetE0EEEvS10_.uses_vcc, 0
	.set _ZN7rocprim17ROCPRIM_400000_NS6detail17trampoline_kernelINS0_14default_configENS1_21merge_config_selectorINS0_5tupleIJttEEENS0_10empty_typeEEEZNS1_10merge_implIS3_NS0_12zip_iteratorINS5_IJN6thrust23THRUST_200600_302600_NS6detail15normal_iteratorINSC_10device_ptrIKtEEEESI_EEEEESK_NSA_INS5_IJNSE_INSF_ItEEEESM_EEEEEPS7_SP_SP_NSC_11hip_rocprim7__merge17predicate_wrapperIttNSC_4lessItEEEEEE10hipError_tPvRmT0_T1_T2_T3_T4_T5_mmT6_P12ihipStream_tbEUlT_E_NS1_11comp_targetILNS1_3genE4ELNS1_11target_archE910ELNS1_3gpuE8ELNS1_3repE0EEENS1_30default_config_static_selectorELNS0_4arch9wavefront6targetE0EEEvS10_.uses_flat_scratch, 0
	.set _ZN7rocprim17ROCPRIM_400000_NS6detail17trampoline_kernelINS0_14default_configENS1_21merge_config_selectorINS0_5tupleIJttEEENS0_10empty_typeEEEZNS1_10merge_implIS3_NS0_12zip_iteratorINS5_IJN6thrust23THRUST_200600_302600_NS6detail15normal_iteratorINSC_10device_ptrIKtEEEESI_EEEEESK_NSA_INS5_IJNSE_INSF_ItEEEESM_EEEEEPS7_SP_SP_NSC_11hip_rocprim7__merge17predicate_wrapperIttNSC_4lessItEEEEEE10hipError_tPvRmT0_T1_T2_T3_T4_T5_mmT6_P12ihipStream_tbEUlT_E_NS1_11comp_targetILNS1_3genE4ELNS1_11target_archE910ELNS1_3gpuE8ELNS1_3repE0EEENS1_30default_config_static_selectorELNS0_4arch9wavefront6targetE0EEEvS10_.has_dyn_sized_stack, 0
	.set _ZN7rocprim17ROCPRIM_400000_NS6detail17trampoline_kernelINS0_14default_configENS1_21merge_config_selectorINS0_5tupleIJttEEENS0_10empty_typeEEEZNS1_10merge_implIS3_NS0_12zip_iteratorINS5_IJN6thrust23THRUST_200600_302600_NS6detail15normal_iteratorINSC_10device_ptrIKtEEEESI_EEEEESK_NSA_INS5_IJNSE_INSF_ItEEEESM_EEEEEPS7_SP_SP_NSC_11hip_rocprim7__merge17predicate_wrapperIttNSC_4lessItEEEEEE10hipError_tPvRmT0_T1_T2_T3_T4_T5_mmT6_P12ihipStream_tbEUlT_E_NS1_11comp_targetILNS1_3genE4ELNS1_11target_archE910ELNS1_3gpuE8ELNS1_3repE0EEENS1_30default_config_static_selectorELNS0_4arch9wavefront6targetE0EEEvS10_.has_recursion, 0
	.set _ZN7rocprim17ROCPRIM_400000_NS6detail17trampoline_kernelINS0_14default_configENS1_21merge_config_selectorINS0_5tupleIJttEEENS0_10empty_typeEEEZNS1_10merge_implIS3_NS0_12zip_iteratorINS5_IJN6thrust23THRUST_200600_302600_NS6detail15normal_iteratorINSC_10device_ptrIKtEEEESI_EEEEESK_NSA_INS5_IJNSE_INSF_ItEEEESM_EEEEEPS7_SP_SP_NSC_11hip_rocprim7__merge17predicate_wrapperIttNSC_4lessItEEEEEE10hipError_tPvRmT0_T1_T2_T3_T4_T5_mmT6_P12ihipStream_tbEUlT_E_NS1_11comp_targetILNS1_3genE4ELNS1_11target_archE910ELNS1_3gpuE8ELNS1_3repE0EEENS1_30default_config_static_selectorELNS0_4arch9wavefront6targetE0EEEvS10_.has_indirect_call, 0
	.section	.AMDGPU.csdata,"",@progbits
; Kernel info:
; codeLenInByte = 0
; TotalNumSgprs: 0
; NumVgprs: 0
; ScratchSize: 0
; MemoryBound: 0
; FloatMode: 240
; IeeeMode: 1
; LDSByteSize: 0 bytes/workgroup (compile time only)
; SGPRBlocks: 0
; VGPRBlocks: 0
; NumSGPRsForWavesPerEU: 1
; NumVGPRsForWavesPerEU: 1
; Occupancy: 16
; WaveLimiterHint : 0
; COMPUTE_PGM_RSRC2:SCRATCH_EN: 0
; COMPUTE_PGM_RSRC2:USER_SGPR: 6
; COMPUTE_PGM_RSRC2:TRAP_HANDLER: 0
; COMPUTE_PGM_RSRC2:TGID_X_EN: 1
; COMPUTE_PGM_RSRC2:TGID_Y_EN: 0
; COMPUTE_PGM_RSRC2:TGID_Z_EN: 0
; COMPUTE_PGM_RSRC2:TIDIG_COMP_CNT: 0
	.section	.text._ZN7rocprim17ROCPRIM_400000_NS6detail17trampoline_kernelINS0_14default_configENS1_21merge_config_selectorINS0_5tupleIJttEEENS0_10empty_typeEEEZNS1_10merge_implIS3_NS0_12zip_iteratorINS5_IJN6thrust23THRUST_200600_302600_NS6detail15normal_iteratorINSC_10device_ptrIKtEEEESI_EEEEESK_NSA_INS5_IJNSE_INSF_ItEEEESM_EEEEEPS7_SP_SP_NSC_11hip_rocprim7__merge17predicate_wrapperIttNSC_4lessItEEEEEE10hipError_tPvRmT0_T1_T2_T3_T4_T5_mmT6_P12ihipStream_tbEUlT_E_NS1_11comp_targetILNS1_3genE3ELNS1_11target_archE908ELNS1_3gpuE7ELNS1_3repE0EEENS1_30default_config_static_selectorELNS0_4arch9wavefront6targetE0EEEvS10_,"axG",@progbits,_ZN7rocprim17ROCPRIM_400000_NS6detail17trampoline_kernelINS0_14default_configENS1_21merge_config_selectorINS0_5tupleIJttEEENS0_10empty_typeEEEZNS1_10merge_implIS3_NS0_12zip_iteratorINS5_IJN6thrust23THRUST_200600_302600_NS6detail15normal_iteratorINSC_10device_ptrIKtEEEESI_EEEEESK_NSA_INS5_IJNSE_INSF_ItEEEESM_EEEEEPS7_SP_SP_NSC_11hip_rocprim7__merge17predicate_wrapperIttNSC_4lessItEEEEEE10hipError_tPvRmT0_T1_T2_T3_T4_T5_mmT6_P12ihipStream_tbEUlT_E_NS1_11comp_targetILNS1_3genE3ELNS1_11target_archE908ELNS1_3gpuE7ELNS1_3repE0EEENS1_30default_config_static_selectorELNS0_4arch9wavefront6targetE0EEEvS10_,comdat
	.protected	_ZN7rocprim17ROCPRIM_400000_NS6detail17trampoline_kernelINS0_14default_configENS1_21merge_config_selectorINS0_5tupleIJttEEENS0_10empty_typeEEEZNS1_10merge_implIS3_NS0_12zip_iteratorINS5_IJN6thrust23THRUST_200600_302600_NS6detail15normal_iteratorINSC_10device_ptrIKtEEEESI_EEEEESK_NSA_INS5_IJNSE_INSF_ItEEEESM_EEEEEPS7_SP_SP_NSC_11hip_rocprim7__merge17predicate_wrapperIttNSC_4lessItEEEEEE10hipError_tPvRmT0_T1_T2_T3_T4_T5_mmT6_P12ihipStream_tbEUlT_E_NS1_11comp_targetILNS1_3genE3ELNS1_11target_archE908ELNS1_3gpuE7ELNS1_3repE0EEENS1_30default_config_static_selectorELNS0_4arch9wavefront6targetE0EEEvS10_ ; -- Begin function _ZN7rocprim17ROCPRIM_400000_NS6detail17trampoline_kernelINS0_14default_configENS1_21merge_config_selectorINS0_5tupleIJttEEENS0_10empty_typeEEEZNS1_10merge_implIS3_NS0_12zip_iteratorINS5_IJN6thrust23THRUST_200600_302600_NS6detail15normal_iteratorINSC_10device_ptrIKtEEEESI_EEEEESK_NSA_INS5_IJNSE_INSF_ItEEEESM_EEEEEPS7_SP_SP_NSC_11hip_rocprim7__merge17predicate_wrapperIttNSC_4lessItEEEEEE10hipError_tPvRmT0_T1_T2_T3_T4_T5_mmT6_P12ihipStream_tbEUlT_E_NS1_11comp_targetILNS1_3genE3ELNS1_11target_archE908ELNS1_3gpuE7ELNS1_3repE0EEENS1_30default_config_static_selectorELNS0_4arch9wavefront6targetE0EEEvS10_
	.globl	_ZN7rocprim17ROCPRIM_400000_NS6detail17trampoline_kernelINS0_14default_configENS1_21merge_config_selectorINS0_5tupleIJttEEENS0_10empty_typeEEEZNS1_10merge_implIS3_NS0_12zip_iteratorINS5_IJN6thrust23THRUST_200600_302600_NS6detail15normal_iteratorINSC_10device_ptrIKtEEEESI_EEEEESK_NSA_INS5_IJNSE_INSF_ItEEEESM_EEEEEPS7_SP_SP_NSC_11hip_rocprim7__merge17predicate_wrapperIttNSC_4lessItEEEEEE10hipError_tPvRmT0_T1_T2_T3_T4_T5_mmT6_P12ihipStream_tbEUlT_E_NS1_11comp_targetILNS1_3genE3ELNS1_11target_archE908ELNS1_3gpuE7ELNS1_3repE0EEENS1_30default_config_static_selectorELNS0_4arch9wavefront6targetE0EEEvS10_
	.p2align	8
	.type	_ZN7rocprim17ROCPRIM_400000_NS6detail17trampoline_kernelINS0_14default_configENS1_21merge_config_selectorINS0_5tupleIJttEEENS0_10empty_typeEEEZNS1_10merge_implIS3_NS0_12zip_iteratorINS5_IJN6thrust23THRUST_200600_302600_NS6detail15normal_iteratorINSC_10device_ptrIKtEEEESI_EEEEESK_NSA_INS5_IJNSE_INSF_ItEEEESM_EEEEEPS7_SP_SP_NSC_11hip_rocprim7__merge17predicate_wrapperIttNSC_4lessItEEEEEE10hipError_tPvRmT0_T1_T2_T3_T4_T5_mmT6_P12ihipStream_tbEUlT_E_NS1_11comp_targetILNS1_3genE3ELNS1_11target_archE908ELNS1_3gpuE7ELNS1_3repE0EEENS1_30default_config_static_selectorELNS0_4arch9wavefront6targetE0EEEvS10_,@function
_ZN7rocprim17ROCPRIM_400000_NS6detail17trampoline_kernelINS0_14default_configENS1_21merge_config_selectorINS0_5tupleIJttEEENS0_10empty_typeEEEZNS1_10merge_implIS3_NS0_12zip_iteratorINS5_IJN6thrust23THRUST_200600_302600_NS6detail15normal_iteratorINSC_10device_ptrIKtEEEESI_EEEEESK_NSA_INS5_IJNSE_INSF_ItEEEESM_EEEEEPS7_SP_SP_NSC_11hip_rocprim7__merge17predicate_wrapperIttNSC_4lessItEEEEEE10hipError_tPvRmT0_T1_T2_T3_T4_T5_mmT6_P12ihipStream_tbEUlT_E_NS1_11comp_targetILNS1_3genE3ELNS1_11target_archE908ELNS1_3gpuE7ELNS1_3repE0EEENS1_30default_config_static_selectorELNS0_4arch9wavefront6targetE0EEEvS10_: ; @_ZN7rocprim17ROCPRIM_400000_NS6detail17trampoline_kernelINS0_14default_configENS1_21merge_config_selectorINS0_5tupleIJttEEENS0_10empty_typeEEEZNS1_10merge_implIS3_NS0_12zip_iteratorINS5_IJN6thrust23THRUST_200600_302600_NS6detail15normal_iteratorINSC_10device_ptrIKtEEEESI_EEEEESK_NSA_INS5_IJNSE_INSF_ItEEEESM_EEEEEPS7_SP_SP_NSC_11hip_rocprim7__merge17predicate_wrapperIttNSC_4lessItEEEEEE10hipError_tPvRmT0_T1_T2_T3_T4_T5_mmT6_P12ihipStream_tbEUlT_E_NS1_11comp_targetILNS1_3genE3ELNS1_11target_archE908ELNS1_3gpuE7ELNS1_3repE0EEENS1_30default_config_static_selectorELNS0_4arch9wavefront6targetE0EEEvS10_
; %bb.0:
	.section	.rodata,"a",@progbits
	.p2align	6, 0x0
	.amdhsa_kernel _ZN7rocprim17ROCPRIM_400000_NS6detail17trampoline_kernelINS0_14default_configENS1_21merge_config_selectorINS0_5tupleIJttEEENS0_10empty_typeEEEZNS1_10merge_implIS3_NS0_12zip_iteratorINS5_IJN6thrust23THRUST_200600_302600_NS6detail15normal_iteratorINSC_10device_ptrIKtEEEESI_EEEEESK_NSA_INS5_IJNSE_INSF_ItEEEESM_EEEEEPS7_SP_SP_NSC_11hip_rocprim7__merge17predicate_wrapperIttNSC_4lessItEEEEEE10hipError_tPvRmT0_T1_T2_T3_T4_T5_mmT6_P12ihipStream_tbEUlT_E_NS1_11comp_targetILNS1_3genE3ELNS1_11target_archE908ELNS1_3gpuE7ELNS1_3repE0EEENS1_30default_config_static_selectorELNS0_4arch9wavefront6targetE0EEEvS10_
		.amdhsa_group_segment_fixed_size 0
		.amdhsa_private_segment_fixed_size 0
		.amdhsa_kernarg_size 64
		.amdhsa_user_sgpr_count 6
		.amdhsa_user_sgpr_private_segment_buffer 1
		.amdhsa_user_sgpr_dispatch_ptr 0
		.amdhsa_user_sgpr_queue_ptr 0
		.amdhsa_user_sgpr_kernarg_segment_ptr 1
		.amdhsa_user_sgpr_dispatch_id 0
		.amdhsa_user_sgpr_flat_scratch_init 0
		.amdhsa_user_sgpr_private_segment_size 0
		.amdhsa_wavefront_size32 1
		.amdhsa_uses_dynamic_stack 0
		.amdhsa_system_sgpr_private_segment_wavefront_offset 0
		.amdhsa_system_sgpr_workgroup_id_x 1
		.amdhsa_system_sgpr_workgroup_id_y 0
		.amdhsa_system_sgpr_workgroup_id_z 0
		.amdhsa_system_sgpr_workgroup_info 0
		.amdhsa_system_vgpr_workitem_id 0
		.amdhsa_next_free_vgpr 1
		.amdhsa_next_free_sgpr 1
		.amdhsa_reserve_vcc 0
		.amdhsa_reserve_flat_scratch 0
		.amdhsa_float_round_mode_32 0
		.amdhsa_float_round_mode_16_64 0
		.amdhsa_float_denorm_mode_32 3
		.amdhsa_float_denorm_mode_16_64 3
		.amdhsa_dx10_clamp 1
		.amdhsa_ieee_mode 1
		.amdhsa_fp16_overflow 0
		.amdhsa_workgroup_processor_mode 1
		.amdhsa_memory_ordered 1
		.amdhsa_forward_progress 1
		.amdhsa_shared_vgpr_count 0
		.amdhsa_exception_fp_ieee_invalid_op 0
		.amdhsa_exception_fp_denorm_src 0
		.amdhsa_exception_fp_ieee_div_zero 0
		.amdhsa_exception_fp_ieee_overflow 0
		.amdhsa_exception_fp_ieee_underflow 0
		.amdhsa_exception_fp_ieee_inexact 0
		.amdhsa_exception_int_div_zero 0
	.end_amdhsa_kernel
	.section	.text._ZN7rocprim17ROCPRIM_400000_NS6detail17trampoline_kernelINS0_14default_configENS1_21merge_config_selectorINS0_5tupleIJttEEENS0_10empty_typeEEEZNS1_10merge_implIS3_NS0_12zip_iteratorINS5_IJN6thrust23THRUST_200600_302600_NS6detail15normal_iteratorINSC_10device_ptrIKtEEEESI_EEEEESK_NSA_INS5_IJNSE_INSF_ItEEEESM_EEEEEPS7_SP_SP_NSC_11hip_rocprim7__merge17predicate_wrapperIttNSC_4lessItEEEEEE10hipError_tPvRmT0_T1_T2_T3_T4_T5_mmT6_P12ihipStream_tbEUlT_E_NS1_11comp_targetILNS1_3genE3ELNS1_11target_archE908ELNS1_3gpuE7ELNS1_3repE0EEENS1_30default_config_static_selectorELNS0_4arch9wavefront6targetE0EEEvS10_,"axG",@progbits,_ZN7rocprim17ROCPRIM_400000_NS6detail17trampoline_kernelINS0_14default_configENS1_21merge_config_selectorINS0_5tupleIJttEEENS0_10empty_typeEEEZNS1_10merge_implIS3_NS0_12zip_iteratorINS5_IJN6thrust23THRUST_200600_302600_NS6detail15normal_iteratorINSC_10device_ptrIKtEEEESI_EEEEESK_NSA_INS5_IJNSE_INSF_ItEEEESM_EEEEEPS7_SP_SP_NSC_11hip_rocprim7__merge17predicate_wrapperIttNSC_4lessItEEEEEE10hipError_tPvRmT0_T1_T2_T3_T4_T5_mmT6_P12ihipStream_tbEUlT_E_NS1_11comp_targetILNS1_3genE3ELNS1_11target_archE908ELNS1_3gpuE7ELNS1_3repE0EEENS1_30default_config_static_selectorELNS0_4arch9wavefront6targetE0EEEvS10_,comdat
.Lfunc_end173:
	.size	_ZN7rocprim17ROCPRIM_400000_NS6detail17trampoline_kernelINS0_14default_configENS1_21merge_config_selectorINS0_5tupleIJttEEENS0_10empty_typeEEEZNS1_10merge_implIS3_NS0_12zip_iteratorINS5_IJN6thrust23THRUST_200600_302600_NS6detail15normal_iteratorINSC_10device_ptrIKtEEEESI_EEEEESK_NSA_INS5_IJNSE_INSF_ItEEEESM_EEEEEPS7_SP_SP_NSC_11hip_rocprim7__merge17predicate_wrapperIttNSC_4lessItEEEEEE10hipError_tPvRmT0_T1_T2_T3_T4_T5_mmT6_P12ihipStream_tbEUlT_E_NS1_11comp_targetILNS1_3genE3ELNS1_11target_archE908ELNS1_3gpuE7ELNS1_3repE0EEENS1_30default_config_static_selectorELNS0_4arch9wavefront6targetE0EEEvS10_, .Lfunc_end173-_ZN7rocprim17ROCPRIM_400000_NS6detail17trampoline_kernelINS0_14default_configENS1_21merge_config_selectorINS0_5tupleIJttEEENS0_10empty_typeEEEZNS1_10merge_implIS3_NS0_12zip_iteratorINS5_IJN6thrust23THRUST_200600_302600_NS6detail15normal_iteratorINSC_10device_ptrIKtEEEESI_EEEEESK_NSA_INS5_IJNSE_INSF_ItEEEESM_EEEEEPS7_SP_SP_NSC_11hip_rocprim7__merge17predicate_wrapperIttNSC_4lessItEEEEEE10hipError_tPvRmT0_T1_T2_T3_T4_T5_mmT6_P12ihipStream_tbEUlT_E_NS1_11comp_targetILNS1_3genE3ELNS1_11target_archE908ELNS1_3gpuE7ELNS1_3repE0EEENS1_30default_config_static_selectorELNS0_4arch9wavefront6targetE0EEEvS10_
                                        ; -- End function
	.set _ZN7rocprim17ROCPRIM_400000_NS6detail17trampoline_kernelINS0_14default_configENS1_21merge_config_selectorINS0_5tupleIJttEEENS0_10empty_typeEEEZNS1_10merge_implIS3_NS0_12zip_iteratorINS5_IJN6thrust23THRUST_200600_302600_NS6detail15normal_iteratorINSC_10device_ptrIKtEEEESI_EEEEESK_NSA_INS5_IJNSE_INSF_ItEEEESM_EEEEEPS7_SP_SP_NSC_11hip_rocprim7__merge17predicate_wrapperIttNSC_4lessItEEEEEE10hipError_tPvRmT0_T1_T2_T3_T4_T5_mmT6_P12ihipStream_tbEUlT_E_NS1_11comp_targetILNS1_3genE3ELNS1_11target_archE908ELNS1_3gpuE7ELNS1_3repE0EEENS1_30default_config_static_selectorELNS0_4arch9wavefront6targetE0EEEvS10_.num_vgpr, 0
	.set _ZN7rocprim17ROCPRIM_400000_NS6detail17trampoline_kernelINS0_14default_configENS1_21merge_config_selectorINS0_5tupleIJttEEENS0_10empty_typeEEEZNS1_10merge_implIS3_NS0_12zip_iteratorINS5_IJN6thrust23THRUST_200600_302600_NS6detail15normal_iteratorINSC_10device_ptrIKtEEEESI_EEEEESK_NSA_INS5_IJNSE_INSF_ItEEEESM_EEEEEPS7_SP_SP_NSC_11hip_rocprim7__merge17predicate_wrapperIttNSC_4lessItEEEEEE10hipError_tPvRmT0_T1_T2_T3_T4_T5_mmT6_P12ihipStream_tbEUlT_E_NS1_11comp_targetILNS1_3genE3ELNS1_11target_archE908ELNS1_3gpuE7ELNS1_3repE0EEENS1_30default_config_static_selectorELNS0_4arch9wavefront6targetE0EEEvS10_.num_agpr, 0
	.set _ZN7rocprim17ROCPRIM_400000_NS6detail17trampoline_kernelINS0_14default_configENS1_21merge_config_selectorINS0_5tupleIJttEEENS0_10empty_typeEEEZNS1_10merge_implIS3_NS0_12zip_iteratorINS5_IJN6thrust23THRUST_200600_302600_NS6detail15normal_iteratorINSC_10device_ptrIKtEEEESI_EEEEESK_NSA_INS5_IJNSE_INSF_ItEEEESM_EEEEEPS7_SP_SP_NSC_11hip_rocprim7__merge17predicate_wrapperIttNSC_4lessItEEEEEE10hipError_tPvRmT0_T1_T2_T3_T4_T5_mmT6_P12ihipStream_tbEUlT_E_NS1_11comp_targetILNS1_3genE3ELNS1_11target_archE908ELNS1_3gpuE7ELNS1_3repE0EEENS1_30default_config_static_selectorELNS0_4arch9wavefront6targetE0EEEvS10_.numbered_sgpr, 0
	.set _ZN7rocprim17ROCPRIM_400000_NS6detail17trampoline_kernelINS0_14default_configENS1_21merge_config_selectorINS0_5tupleIJttEEENS0_10empty_typeEEEZNS1_10merge_implIS3_NS0_12zip_iteratorINS5_IJN6thrust23THRUST_200600_302600_NS6detail15normal_iteratorINSC_10device_ptrIKtEEEESI_EEEEESK_NSA_INS5_IJNSE_INSF_ItEEEESM_EEEEEPS7_SP_SP_NSC_11hip_rocprim7__merge17predicate_wrapperIttNSC_4lessItEEEEEE10hipError_tPvRmT0_T1_T2_T3_T4_T5_mmT6_P12ihipStream_tbEUlT_E_NS1_11comp_targetILNS1_3genE3ELNS1_11target_archE908ELNS1_3gpuE7ELNS1_3repE0EEENS1_30default_config_static_selectorELNS0_4arch9wavefront6targetE0EEEvS10_.num_named_barrier, 0
	.set _ZN7rocprim17ROCPRIM_400000_NS6detail17trampoline_kernelINS0_14default_configENS1_21merge_config_selectorINS0_5tupleIJttEEENS0_10empty_typeEEEZNS1_10merge_implIS3_NS0_12zip_iteratorINS5_IJN6thrust23THRUST_200600_302600_NS6detail15normal_iteratorINSC_10device_ptrIKtEEEESI_EEEEESK_NSA_INS5_IJNSE_INSF_ItEEEESM_EEEEEPS7_SP_SP_NSC_11hip_rocprim7__merge17predicate_wrapperIttNSC_4lessItEEEEEE10hipError_tPvRmT0_T1_T2_T3_T4_T5_mmT6_P12ihipStream_tbEUlT_E_NS1_11comp_targetILNS1_3genE3ELNS1_11target_archE908ELNS1_3gpuE7ELNS1_3repE0EEENS1_30default_config_static_selectorELNS0_4arch9wavefront6targetE0EEEvS10_.private_seg_size, 0
	.set _ZN7rocprim17ROCPRIM_400000_NS6detail17trampoline_kernelINS0_14default_configENS1_21merge_config_selectorINS0_5tupleIJttEEENS0_10empty_typeEEEZNS1_10merge_implIS3_NS0_12zip_iteratorINS5_IJN6thrust23THRUST_200600_302600_NS6detail15normal_iteratorINSC_10device_ptrIKtEEEESI_EEEEESK_NSA_INS5_IJNSE_INSF_ItEEEESM_EEEEEPS7_SP_SP_NSC_11hip_rocprim7__merge17predicate_wrapperIttNSC_4lessItEEEEEE10hipError_tPvRmT0_T1_T2_T3_T4_T5_mmT6_P12ihipStream_tbEUlT_E_NS1_11comp_targetILNS1_3genE3ELNS1_11target_archE908ELNS1_3gpuE7ELNS1_3repE0EEENS1_30default_config_static_selectorELNS0_4arch9wavefront6targetE0EEEvS10_.uses_vcc, 0
	.set _ZN7rocprim17ROCPRIM_400000_NS6detail17trampoline_kernelINS0_14default_configENS1_21merge_config_selectorINS0_5tupleIJttEEENS0_10empty_typeEEEZNS1_10merge_implIS3_NS0_12zip_iteratorINS5_IJN6thrust23THRUST_200600_302600_NS6detail15normal_iteratorINSC_10device_ptrIKtEEEESI_EEEEESK_NSA_INS5_IJNSE_INSF_ItEEEESM_EEEEEPS7_SP_SP_NSC_11hip_rocprim7__merge17predicate_wrapperIttNSC_4lessItEEEEEE10hipError_tPvRmT0_T1_T2_T3_T4_T5_mmT6_P12ihipStream_tbEUlT_E_NS1_11comp_targetILNS1_3genE3ELNS1_11target_archE908ELNS1_3gpuE7ELNS1_3repE0EEENS1_30default_config_static_selectorELNS0_4arch9wavefront6targetE0EEEvS10_.uses_flat_scratch, 0
	.set _ZN7rocprim17ROCPRIM_400000_NS6detail17trampoline_kernelINS0_14default_configENS1_21merge_config_selectorINS0_5tupleIJttEEENS0_10empty_typeEEEZNS1_10merge_implIS3_NS0_12zip_iteratorINS5_IJN6thrust23THRUST_200600_302600_NS6detail15normal_iteratorINSC_10device_ptrIKtEEEESI_EEEEESK_NSA_INS5_IJNSE_INSF_ItEEEESM_EEEEEPS7_SP_SP_NSC_11hip_rocprim7__merge17predicate_wrapperIttNSC_4lessItEEEEEE10hipError_tPvRmT0_T1_T2_T3_T4_T5_mmT6_P12ihipStream_tbEUlT_E_NS1_11comp_targetILNS1_3genE3ELNS1_11target_archE908ELNS1_3gpuE7ELNS1_3repE0EEENS1_30default_config_static_selectorELNS0_4arch9wavefront6targetE0EEEvS10_.has_dyn_sized_stack, 0
	.set _ZN7rocprim17ROCPRIM_400000_NS6detail17trampoline_kernelINS0_14default_configENS1_21merge_config_selectorINS0_5tupleIJttEEENS0_10empty_typeEEEZNS1_10merge_implIS3_NS0_12zip_iteratorINS5_IJN6thrust23THRUST_200600_302600_NS6detail15normal_iteratorINSC_10device_ptrIKtEEEESI_EEEEESK_NSA_INS5_IJNSE_INSF_ItEEEESM_EEEEEPS7_SP_SP_NSC_11hip_rocprim7__merge17predicate_wrapperIttNSC_4lessItEEEEEE10hipError_tPvRmT0_T1_T2_T3_T4_T5_mmT6_P12ihipStream_tbEUlT_E_NS1_11comp_targetILNS1_3genE3ELNS1_11target_archE908ELNS1_3gpuE7ELNS1_3repE0EEENS1_30default_config_static_selectorELNS0_4arch9wavefront6targetE0EEEvS10_.has_recursion, 0
	.set _ZN7rocprim17ROCPRIM_400000_NS6detail17trampoline_kernelINS0_14default_configENS1_21merge_config_selectorINS0_5tupleIJttEEENS0_10empty_typeEEEZNS1_10merge_implIS3_NS0_12zip_iteratorINS5_IJN6thrust23THRUST_200600_302600_NS6detail15normal_iteratorINSC_10device_ptrIKtEEEESI_EEEEESK_NSA_INS5_IJNSE_INSF_ItEEEESM_EEEEEPS7_SP_SP_NSC_11hip_rocprim7__merge17predicate_wrapperIttNSC_4lessItEEEEEE10hipError_tPvRmT0_T1_T2_T3_T4_T5_mmT6_P12ihipStream_tbEUlT_E_NS1_11comp_targetILNS1_3genE3ELNS1_11target_archE908ELNS1_3gpuE7ELNS1_3repE0EEENS1_30default_config_static_selectorELNS0_4arch9wavefront6targetE0EEEvS10_.has_indirect_call, 0
	.section	.AMDGPU.csdata,"",@progbits
; Kernel info:
; codeLenInByte = 0
; TotalNumSgprs: 0
; NumVgprs: 0
; ScratchSize: 0
; MemoryBound: 0
; FloatMode: 240
; IeeeMode: 1
; LDSByteSize: 0 bytes/workgroup (compile time only)
; SGPRBlocks: 0
; VGPRBlocks: 0
; NumSGPRsForWavesPerEU: 1
; NumVGPRsForWavesPerEU: 1
; Occupancy: 16
; WaveLimiterHint : 0
; COMPUTE_PGM_RSRC2:SCRATCH_EN: 0
; COMPUTE_PGM_RSRC2:USER_SGPR: 6
; COMPUTE_PGM_RSRC2:TRAP_HANDLER: 0
; COMPUTE_PGM_RSRC2:TGID_X_EN: 1
; COMPUTE_PGM_RSRC2:TGID_Y_EN: 0
; COMPUTE_PGM_RSRC2:TGID_Z_EN: 0
; COMPUTE_PGM_RSRC2:TIDIG_COMP_CNT: 0
	.section	.text._ZN7rocprim17ROCPRIM_400000_NS6detail17trampoline_kernelINS0_14default_configENS1_21merge_config_selectorINS0_5tupleIJttEEENS0_10empty_typeEEEZNS1_10merge_implIS3_NS0_12zip_iteratorINS5_IJN6thrust23THRUST_200600_302600_NS6detail15normal_iteratorINSC_10device_ptrIKtEEEESI_EEEEESK_NSA_INS5_IJNSE_INSF_ItEEEESM_EEEEEPS7_SP_SP_NSC_11hip_rocprim7__merge17predicate_wrapperIttNSC_4lessItEEEEEE10hipError_tPvRmT0_T1_T2_T3_T4_T5_mmT6_P12ihipStream_tbEUlT_E_NS1_11comp_targetILNS1_3genE2ELNS1_11target_archE906ELNS1_3gpuE6ELNS1_3repE0EEENS1_30default_config_static_selectorELNS0_4arch9wavefront6targetE0EEEvS10_,"axG",@progbits,_ZN7rocprim17ROCPRIM_400000_NS6detail17trampoline_kernelINS0_14default_configENS1_21merge_config_selectorINS0_5tupleIJttEEENS0_10empty_typeEEEZNS1_10merge_implIS3_NS0_12zip_iteratorINS5_IJN6thrust23THRUST_200600_302600_NS6detail15normal_iteratorINSC_10device_ptrIKtEEEESI_EEEEESK_NSA_INS5_IJNSE_INSF_ItEEEESM_EEEEEPS7_SP_SP_NSC_11hip_rocprim7__merge17predicate_wrapperIttNSC_4lessItEEEEEE10hipError_tPvRmT0_T1_T2_T3_T4_T5_mmT6_P12ihipStream_tbEUlT_E_NS1_11comp_targetILNS1_3genE2ELNS1_11target_archE906ELNS1_3gpuE6ELNS1_3repE0EEENS1_30default_config_static_selectorELNS0_4arch9wavefront6targetE0EEEvS10_,comdat
	.protected	_ZN7rocprim17ROCPRIM_400000_NS6detail17trampoline_kernelINS0_14default_configENS1_21merge_config_selectorINS0_5tupleIJttEEENS0_10empty_typeEEEZNS1_10merge_implIS3_NS0_12zip_iteratorINS5_IJN6thrust23THRUST_200600_302600_NS6detail15normal_iteratorINSC_10device_ptrIKtEEEESI_EEEEESK_NSA_INS5_IJNSE_INSF_ItEEEESM_EEEEEPS7_SP_SP_NSC_11hip_rocprim7__merge17predicate_wrapperIttNSC_4lessItEEEEEE10hipError_tPvRmT0_T1_T2_T3_T4_T5_mmT6_P12ihipStream_tbEUlT_E_NS1_11comp_targetILNS1_3genE2ELNS1_11target_archE906ELNS1_3gpuE6ELNS1_3repE0EEENS1_30default_config_static_selectorELNS0_4arch9wavefront6targetE0EEEvS10_ ; -- Begin function _ZN7rocprim17ROCPRIM_400000_NS6detail17trampoline_kernelINS0_14default_configENS1_21merge_config_selectorINS0_5tupleIJttEEENS0_10empty_typeEEEZNS1_10merge_implIS3_NS0_12zip_iteratorINS5_IJN6thrust23THRUST_200600_302600_NS6detail15normal_iteratorINSC_10device_ptrIKtEEEESI_EEEEESK_NSA_INS5_IJNSE_INSF_ItEEEESM_EEEEEPS7_SP_SP_NSC_11hip_rocprim7__merge17predicate_wrapperIttNSC_4lessItEEEEEE10hipError_tPvRmT0_T1_T2_T3_T4_T5_mmT6_P12ihipStream_tbEUlT_E_NS1_11comp_targetILNS1_3genE2ELNS1_11target_archE906ELNS1_3gpuE6ELNS1_3repE0EEENS1_30default_config_static_selectorELNS0_4arch9wavefront6targetE0EEEvS10_
	.globl	_ZN7rocprim17ROCPRIM_400000_NS6detail17trampoline_kernelINS0_14default_configENS1_21merge_config_selectorINS0_5tupleIJttEEENS0_10empty_typeEEEZNS1_10merge_implIS3_NS0_12zip_iteratorINS5_IJN6thrust23THRUST_200600_302600_NS6detail15normal_iteratorINSC_10device_ptrIKtEEEESI_EEEEESK_NSA_INS5_IJNSE_INSF_ItEEEESM_EEEEEPS7_SP_SP_NSC_11hip_rocprim7__merge17predicate_wrapperIttNSC_4lessItEEEEEE10hipError_tPvRmT0_T1_T2_T3_T4_T5_mmT6_P12ihipStream_tbEUlT_E_NS1_11comp_targetILNS1_3genE2ELNS1_11target_archE906ELNS1_3gpuE6ELNS1_3repE0EEENS1_30default_config_static_selectorELNS0_4arch9wavefront6targetE0EEEvS10_
	.p2align	8
	.type	_ZN7rocprim17ROCPRIM_400000_NS6detail17trampoline_kernelINS0_14default_configENS1_21merge_config_selectorINS0_5tupleIJttEEENS0_10empty_typeEEEZNS1_10merge_implIS3_NS0_12zip_iteratorINS5_IJN6thrust23THRUST_200600_302600_NS6detail15normal_iteratorINSC_10device_ptrIKtEEEESI_EEEEESK_NSA_INS5_IJNSE_INSF_ItEEEESM_EEEEEPS7_SP_SP_NSC_11hip_rocprim7__merge17predicate_wrapperIttNSC_4lessItEEEEEE10hipError_tPvRmT0_T1_T2_T3_T4_T5_mmT6_P12ihipStream_tbEUlT_E_NS1_11comp_targetILNS1_3genE2ELNS1_11target_archE906ELNS1_3gpuE6ELNS1_3repE0EEENS1_30default_config_static_selectorELNS0_4arch9wavefront6targetE0EEEvS10_,@function
_ZN7rocprim17ROCPRIM_400000_NS6detail17trampoline_kernelINS0_14default_configENS1_21merge_config_selectorINS0_5tupleIJttEEENS0_10empty_typeEEEZNS1_10merge_implIS3_NS0_12zip_iteratorINS5_IJN6thrust23THRUST_200600_302600_NS6detail15normal_iteratorINSC_10device_ptrIKtEEEESI_EEEEESK_NSA_INS5_IJNSE_INSF_ItEEEESM_EEEEEPS7_SP_SP_NSC_11hip_rocprim7__merge17predicate_wrapperIttNSC_4lessItEEEEEE10hipError_tPvRmT0_T1_T2_T3_T4_T5_mmT6_P12ihipStream_tbEUlT_E_NS1_11comp_targetILNS1_3genE2ELNS1_11target_archE906ELNS1_3gpuE6ELNS1_3repE0EEENS1_30default_config_static_selectorELNS0_4arch9wavefront6targetE0EEEvS10_: ; @_ZN7rocprim17ROCPRIM_400000_NS6detail17trampoline_kernelINS0_14default_configENS1_21merge_config_selectorINS0_5tupleIJttEEENS0_10empty_typeEEEZNS1_10merge_implIS3_NS0_12zip_iteratorINS5_IJN6thrust23THRUST_200600_302600_NS6detail15normal_iteratorINSC_10device_ptrIKtEEEESI_EEEEESK_NSA_INS5_IJNSE_INSF_ItEEEESM_EEEEEPS7_SP_SP_NSC_11hip_rocprim7__merge17predicate_wrapperIttNSC_4lessItEEEEEE10hipError_tPvRmT0_T1_T2_T3_T4_T5_mmT6_P12ihipStream_tbEUlT_E_NS1_11comp_targetILNS1_3genE2ELNS1_11target_archE906ELNS1_3gpuE6ELNS1_3repE0EEENS1_30default_config_static_selectorELNS0_4arch9wavefront6targetE0EEEvS10_
; %bb.0:
	.section	.rodata,"a",@progbits
	.p2align	6, 0x0
	.amdhsa_kernel _ZN7rocprim17ROCPRIM_400000_NS6detail17trampoline_kernelINS0_14default_configENS1_21merge_config_selectorINS0_5tupleIJttEEENS0_10empty_typeEEEZNS1_10merge_implIS3_NS0_12zip_iteratorINS5_IJN6thrust23THRUST_200600_302600_NS6detail15normal_iteratorINSC_10device_ptrIKtEEEESI_EEEEESK_NSA_INS5_IJNSE_INSF_ItEEEESM_EEEEEPS7_SP_SP_NSC_11hip_rocprim7__merge17predicate_wrapperIttNSC_4lessItEEEEEE10hipError_tPvRmT0_T1_T2_T3_T4_T5_mmT6_P12ihipStream_tbEUlT_E_NS1_11comp_targetILNS1_3genE2ELNS1_11target_archE906ELNS1_3gpuE6ELNS1_3repE0EEENS1_30default_config_static_selectorELNS0_4arch9wavefront6targetE0EEEvS10_
		.amdhsa_group_segment_fixed_size 0
		.amdhsa_private_segment_fixed_size 0
		.amdhsa_kernarg_size 64
		.amdhsa_user_sgpr_count 6
		.amdhsa_user_sgpr_private_segment_buffer 1
		.amdhsa_user_sgpr_dispatch_ptr 0
		.amdhsa_user_sgpr_queue_ptr 0
		.amdhsa_user_sgpr_kernarg_segment_ptr 1
		.amdhsa_user_sgpr_dispatch_id 0
		.amdhsa_user_sgpr_flat_scratch_init 0
		.amdhsa_user_sgpr_private_segment_size 0
		.amdhsa_wavefront_size32 1
		.amdhsa_uses_dynamic_stack 0
		.amdhsa_system_sgpr_private_segment_wavefront_offset 0
		.amdhsa_system_sgpr_workgroup_id_x 1
		.amdhsa_system_sgpr_workgroup_id_y 0
		.amdhsa_system_sgpr_workgroup_id_z 0
		.amdhsa_system_sgpr_workgroup_info 0
		.amdhsa_system_vgpr_workitem_id 0
		.amdhsa_next_free_vgpr 1
		.amdhsa_next_free_sgpr 1
		.amdhsa_reserve_vcc 0
		.amdhsa_reserve_flat_scratch 0
		.amdhsa_float_round_mode_32 0
		.amdhsa_float_round_mode_16_64 0
		.amdhsa_float_denorm_mode_32 3
		.amdhsa_float_denorm_mode_16_64 3
		.amdhsa_dx10_clamp 1
		.amdhsa_ieee_mode 1
		.amdhsa_fp16_overflow 0
		.amdhsa_workgroup_processor_mode 1
		.amdhsa_memory_ordered 1
		.amdhsa_forward_progress 1
		.amdhsa_shared_vgpr_count 0
		.amdhsa_exception_fp_ieee_invalid_op 0
		.amdhsa_exception_fp_denorm_src 0
		.amdhsa_exception_fp_ieee_div_zero 0
		.amdhsa_exception_fp_ieee_overflow 0
		.amdhsa_exception_fp_ieee_underflow 0
		.amdhsa_exception_fp_ieee_inexact 0
		.amdhsa_exception_int_div_zero 0
	.end_amdhsa_kernel
	.section	.text._ZN7rocprim17ROCPRIM_400000_NS6detail17trampoline_kernelINS0_14default_configENS1_21merge_config_selectorINS0_5tupleIJttEEENS0_10empty_typeEEEZNS1_10merge_implIS3_NS0_12zip_iteratorINS5_IJN6thrust23THRUST_200600_302600_NS6detail15normal_iteratorINSC_10device_ptrIKtEEEESI_EEEEESK_NSA_INS5_IJNSE_INSF_ItEEEESM_EEEEEPS7_SP_SP_NSC_11hip_rocprim7__merge17predicate_wrapperIttNSC_4lessItEEEEEE10hipError_tPvRmT0_T1_T2_T3_T4_T5_mmT6_P12ihipStream_tbEUlT_E_NS1_11comp_targetILNS1_3genE2ELNS1_11target_archE906ELNS1_3gpuE6ELNS1_3repE0EEENS1_30default_config_static_selectorELNS0_4arch9wavefront6targetE0EEEvS10_,"axG",@progbits,_ZN7rocprim17ROCPRIM_400000_NS6detail17trampoline_kernelINS0_14default_configENS1_21merge_config_selectorINS0_5tupleIJttEEENS0_10empty_typeEEEZNS1_10merge_implIS3_NS0_12zip_iteratorINS5_IJN6thrust23THRUST_200600_302600_NS6detail15normal_iteratorINSC_10device_ptrIKtEEEESI_EEEEESK_NSA_INS5_IJNSE_INSF_ItEEEESM_EEEEEPS7_SP_SP_NSC_11hip_rocprim7__merge17predicate_wrapperIttNSC_4lessItEEEEEE10hipError_tPvRmT0_T1_T2_T3_T4_T5_mmT6_P12ihipStream_tbEUlT_E_NS1_11comp_targetILNS1_3genE2ELNS1_11target_archE906ELNS1_3gpuE6ELNS1_3repE0EEENS1_30default_config_static_selectorELNS0_4arch9wavefront6targetE0EEEvS10_,comdat
.Lfunc_end174:
	.size	_ZN7rocprim17ROCPRIM_400000_NS6detail17trampoline_kernelINS0_14default_configENS1_21merge_config_selectorINS0_5tupleIJttEEENS0_10empty_typeEEEZNS1_10merge_implIS3_NS0_12zip_iteratorINS5_IJN6thrust23THRUST_200600_302600_NS6detail15normal_iteratorINSC_10device_ptrIKtEEEESI_EEEEESK_NSA_INS5_IJNSE_INSF_ItEEEESM_EEEEEPS7_SP_SP_NSC_11hip_rocprim7__merge17predicate_wrapperIttNSC_4lessItEEEEEE10hipError_tPvRmT0_T1_T2_T3_T4_T5_mmT6_P12ihipStream_tbEUlT_E_NS1_11comp_targetILNS1_3genE2ELNS1_11target_archE906ELNS1_3gpuE6ELNS1_3repE0EEENS1_30default_config_static_selectorELNS0_4arch9wavefront6targetE0EEEvS10_, .Lfunc_end174-_ZN7rocprim17ROCPRIM_400000_NS6detail17trampoline_kernelINS0_14default_configENS1_21merge_config_selectorINS0_5tupleIJttEEENS0_10empty_typeEEEZNS1_10merge_implIS3_NS0_12zip_iteratorINS5_IJN6thrust23THRUST_200600_302600_NS6detail15normal_iteratorINSC_10device_ptrIKtEEEESI_EEEEESK_NSA_INS5_IJNSE_INSF_ItEEEESM_EEEEEPS7_SP_SP_NSC_11hip_rocprim7__merge17predicate_wrapperIttNSC_4lessItEEEEEE10hipError_tPvRmT0_T1_T2_T3_T4_T5_mmT6_P12ihipStream_tbEUlT_E_NS1_11comp_targetILNS1_3genE2ELNS1_11target_archE906ELNS1_3gpuE6ELNS1_3repE0EEENS1_30default_config_static_selectorELNS0_4arch9wavefront6targetE0EEEvS10_
                                        ; -- End function
	.set _ZN7rocprim17ROCPRIM_400000_NS6detail17trampoline_kernelINS0_14default_configENS1_21merge_config_selectorINS0_5tupleIJttEEENS0_10empty_typeEEEZNS1_10merge_implIS3_NS0_12zip_iteratorINS5_IJN6thrust23THRUST_200600_302600_NS6detail15normal_iteratorINSC_10device_ptrIKtEEEESI_EEEEESK_NSA_INS5_IJNSE_INSF_ItEEEESM_EEEEEPS7_SP_SP_NSC_11hip_rocprim7__merge17predicate_wrapperIttNSC_4lessItEEEEEE10hipError_tPvRmT0_T1_T2_T3_T4_T5_mmT6_P12ihipStream_tbEUlT_E_NS1_11comp_targetILNS1_3genE2ELNS1_11target_archE906ELNS1_3gpuE6ELNS1_3repE0EEENS1_30default_config_static_selectorELNS0_4arch9wavefront6targetE0EEEvS10_.num_vgpr, 0
	.set _ZN7rocprim17ROCPRIM_400000_NS6detail17trampoline_kernelINS0_14default_configENS1_21merge_config_selectorINS0_5tupleIJttEEENS0_10empty_typeEEEZNS1_10merge_implIS3_NS0_12zip_iteratorINS5_IJN6thrust23THRUST_200600_302600_NS6detail15normal_iteratorINSC_10device_ptrIKtEEEESI_EEEEESK_NSA_INS5_IJNSE_INSF_ItEEEESM_EEEEEPS7_SP_SP_NSC_11hip_rocprim7__merge17predicate_wrapperIttNSC_4lessItEEEEEE10hipError_tPvRmT0_T1_T2_T3_T4_T5_mmT6_P12ihipStream_tbEUlT_E_NS1_11comp_targetILNS1_3genE2ELNS1_11target_archE906ELNS1_3gpuE6ELNS1_3repE0EEENS1_30default_config_static_selectorELNS0_4arch9wavefront6targetE0EEEvS10_.num_agpr, 0
	.set _ZN7rocprim17ROCPRIM_400000_NS6detail17trampoline_kernelINS0_14default_configENS1_21merge_config_selectorINS0_5tupleIJttEEENS0_10empty_typeEEEZNS1_10merge_implIS3_NS0_12zip_iteratorINS5_IJN6thrust23THRUST_200600_302600_NS6detail15normal_iteratorINSC_10device_ptrIKtEEEESI_EEEEESK_NSA_INS5_IJNSE_INSF_ItEEEESM_EEEEEPS7_SP_SP_NSC_11hip_rocprim7__merge17predicate_wrapperIttNSC_4lessItEEEEEE10hipError_tPvRmT0_T1_T2_T3_T4_T5_mmT6_P12ihipStream_tbEUlT_E_NS1_11comp_targetILNS1_3genE2ELNS1_11target_archE906ELNS1_3gpuE6ELNS1_3repE0EEENS1_30default_config_static_selectorELNS0_4arch9wavefront6targetE0EEEvS10_.numbered_sgpr, 0
	.set _ZN7rocprim17ROCPRIM_400000_NS6detail17trampoline_kernelINS0_14default_configENS1_21merge_config_selectorINS0_5tupleIJttEEENS0_10empty_typeEEEZNS1_10merge_implIS3_NS0_12zip_iteratorINS5_IJN6thrust23THRUST_200600_302600_NS6detail15normal_iteratorINSC_10device_ptrIKtEEEESI_EEEEESK_NSA_INS5_IJNSE_INSF_ItEEEESM_EEEEEPS7_SP_SP_NSC_11hip_rocprim7__merge17predicate_wrapperIttNSC_4lessItEEEEEE10hipError_tPvRmT0_T1_T2_T3_T4_T5_mmT6_P12ihipStream_tbEUlT_E_NS1_11comp_targetILNS1_3genE2ELNS1_11target_archE906ELNS1_3gpuE6ELNS1_3repE0EEENS1_30default_config_static_selectorELNS0_4arch9wavefront6targetE0EEEvS10_.num_named_barrier, 0
	.set _ZN7rocprim17ROCPRIM_400000_NS6detail17trampoline_kernelINS0_14default_configENS1_21merge_config_selectorINS0_5tupleIJttEEENS0_10empty_typeEEEZNS1_10merge_implIS3_NS0_12zip_iteratorINS5_IJN6thrust23THRUST_200600_302600_NS6detail15normal_iteratorINSC_10device_ptrIKtEEEESI_EEEEESK_NSA_INS5_IJNSE_INSF_ItEEEESM_EEEEEPS7_SP_SP_NSC_11hip_rocprim7__merge17predicate_wrapperIttNSC_4lessItEEEEEE10hipError_tPvRmT0_T1_T2_T3_T4_T5_mmT6_P12ihipStream_tbEUlT_E_NS1_11comp_targetILNS1_3genE2ELNS1_11target_archE906ELNS1_3gpuE6ELNS1_3repE0EEENS1_30default_config_static_selectorELNS0_4arch9wavefront6targetE0EEEvS10_.private_seg_size, 0
	.set _ZN7rocprim17ROCPRIM_400000_NS6detail17trampoline_kernelINS0_14default_configENS1_21merge_config_selectorINS0_5tupleIJttEEENS0_10empty_typeEEEZNS1_10merge_implIS3_NS0_12zip_iteratorINS5_IJN6thrust23THRUST_200600_302600_NS6detail15normal_iteratorINSC_10device_ptrIKtEEEESI_EEEEESK_NSA_INS5_IJNSE_INSF_ItEEEESM_EEEEEPS7_SP_SP_NSC_11hip_rocprim7__merge17predicate_wrapperIttNSC_4lessItEEEEEE10hipError_tPvRmT0_T1_T2_T3_T4_T5_mmT6_P12ihipStream_tbEUlT_E_NS1_11comp_targetILNS1_3genE2ELNS1_11target_archE906ELNS1_3gpuE6ELNS1_3repE0EEENS1_30default_config_static_selectorELNS0_4arch9wavefront6targetE0EEEvS10_.uses_vcc, 0
	.set _ZN7rocprim17ROCPRIM_400000_NS6detail17trampoline_kernelINS0_14default_configENS1_21merge_config_selectorINS0_5tupleIJttEEENS0_10empty_typeEEEZNS1_10merge_implIS3_NS0_12zip_iteratorINS5_IJN6thrust23THRUST_200600_302600_NS6detail15normal_iteratorINSC_10device_ptrIKtEEEESI_EEEEESK_NSA_INS5_IJNSE_INSF_ItEEEESM_EEEEEPS7_SP_SP_NSC_11hip_rocprim7__merge17predicate_wrapperIttNSC_4lessItEEEEEE10hipError_tPvRmT0_T1_T2_T3_T4_T5_mmT6_P12ihipStream_tbEUlT_E_NS1_11comp_targetILNS1_3genE2ELNS1_11target_archE906ELNS1_3gpuE6ELNS1_3repE0EEENS1_30default_config_static_selectorELNS0_4arch9wavefront6targetE0EEEvS10_.uses_flat_scratch, 0
	.set _ZN7rocprim17ROCPRIM_400000_NS6detail17trampoline_kernelINS0_14default_configENS1_21merge_config_selectorINS0_5tupleIJttEEENS0_10empty_typeEEEZNS1_10merge_implIS3_NS0_12zip_iteratorINS5_IJN6thrust23THRUST_200600_302600_NS6detail15normal_iteratorINSC_10device_ptrIKtEEEESI_EEEEESK_NSA_INS5_IJNSE_INSF_ItEEEESM_EEEEEPS7_SP_SP_NSC_11hip_rocprim7__merge17predicate_wrapperIttNSC_4lessItEEEEEE10hipError_tPvRmT0_T1_T2_T3_T4_T5_mmT6_P12ihipStream_tbEUlT_E_NS1_11comp_targetILNS1_3genE2ELNS1_11target_archE906ELNS1_3gpuE6ELNS1_3repE0EEENS1_30default_config_static_selectorELNS0_4arch9wavefront6targetE0EEEvS10_.has_dyn_sized_stack, 0
	.set _ZN7rocprim17ROCPRIM_400000_NS6detail17trampoline_kernelINS0_14default_configENS1_21merge_config_selectorINS0_5tupleIJttEEENS0_10empty_typeEEEZNS1_10merge_implIS3_NS0_12zip_iteratorINS5_IJN6thrust23THRUST_200600_302600_NS6detail15normal_iteratorINSC_10device_ptrIKtEEEESI_EEEEESK_NSA_INS5_IJNSE_INSF_ItEEEESM_EEEEEPS7_SP_SP_NSC_11hip_rocprim7__merge17predicate_wrapperIttNSC_4lessItEEEEEE10hipError_tPvRmT0_T1_T2_T3_T4_T5_mmT6_P12ihipStream_tbEUlT_E_NS1_11comp_targetILNS1_3genE2ELNS1_11target_archE906ELNS1_3gpuE6ELNS1_3repE0EEENS1_30default_config_static_selectorELNS0_4arch9wavefront6targetE0EEEvS10_.has_recursion, 0
	.set _ZN7rocprim17ROCPRIM_400000_NS6detail17trampoline_kernelINS0_14default_configENS1_21merge_config_selectorINS0_5tupleIJttEEENS0_10empty_typeEEEZNS1_10merge_implIS3_NS0_12zip_iteratorINS5_IJN6thrust23THRUST_200600_302600_NS6detail15normal_iteratorINSC_10device_ptrIKtEEEESI_EEEEESK_NSA_INS5_IJNSE_INSF_ItEEEESM_EEEEEPS7_SP_SP_NSC_11hip_rocprim7__merge17predicate_wrapperIttNSC_4lessItEEEEEE10hipError_tPvRmT0_T1_T2_T3_T4_T5_mmT6_P12ihipStream_tbEUlT_E_NS1_11comp_targetILNS1_3genE2ELNS1_11target_archE906ELNS1_3gpuE6ELNS1_3repE0EEENS1_30default_config_static_selectorELNS0_4arch9wavefront6targetE0EEEvS10_.has_indirect_call, 0
	.section	.AMDGPU.csdata,"",@progbits
; Kernel info:
; codeLenInByte = 0
; TotalNumSgprs: 0
; NumVgprs: 0
; ScratchSize: 0
; MemoryBound: 0
; FloatMode: 240
; IeeeMode: 1
; LDSByteSize: 0 bytes/workgroup (compile time only)
; SGPRBlocks: 0
; VGPRBlocks: 0
; NumSGPRsForWavesPerEU: 1
; NumVGPRsForWavesPerEU: 1
; Occupancy: 16
; WaveLimiterHint : 0
; COMPUTE_PGM_RSRC2:SCRATCH_EN: 0
; COMPUTE_PGM_RSRC2:USER_SGPR: 6
; COMPUTE_PGM_RSRC2:TRAP_HANDLER: 0
; COMPUTE_PGM_RSRC2:TGID_X_EN: 1
; COMPUTE_PGM_RSRC2:TGID_Y_EN: 0
; COMPUTE_PGM_RSRC2:TGID_Z_EN: 0
; COMPUTE_PGM_RSRC2:TIDIG_COMP_CNT: 0
	.section	.text._ZN7rocprim17ROCPRIM_400000_NS6detail17trampoline_kernelINS0_14default_configENS1_21merge_config_selectorINS0_5tupleIJttEEENS0_10empty_typeEEEZNS1_10merge_implIS3_NS0_12zip_iteratorINS5_IJN6thrust23THRUST_200600_302600_NS6detail15normal_iteratorINSC_10device_ptrIKtEEEESI_EEEEESK_NSA_INS5_IJNSE_INSF_ItEEEESM_EEEEEPS7_SP_SP_NSC_11hip_rocprim7__merge17predicate_wrapperIttNSC_4lessItEEEEEE10hipError_tPvRmT0_T1_T2_T3_T4_T5_mmT6_P12ihipStream_tbEUlT_E_NS1_11comp_targetILNS1_3genE10ELNS1_11target_archE1201ELNS1_3gpuE5ELNS1_3repE0EEENS1_30default_config_static_selectorELNS0_4arch9wavefront6targetE0EEEvS10_,"axG",@progbits,_ZN7rocprim17ROCPRIM_400000_NS6detail17trampoline_kernelINS0_14default_configENS1_21merge_config_selectorINS0_5tupleIJttEEENS0_10empty_typeEEEZNS1_10merge_implIS3_NS0_12zip_iteratorINS5_IJN6thrust23THRUST_200600_302600_NS6detail15normal_iteratorINSC_10device_ptrIKtEEEESI_EEEEESK_NSA_INS5_IJNSE_INSF_ItEEEESM_EEEEEPS7_SP_SP_NSC_11hip_rocprim7__merge17predicate_wrapperIttNSC_4lessItEEEEEE10hipError_tPvRmT0_T1_T2_T3_T4_T5_mmT6_P12ihipStream_tbEUlT_E_NS1_11comp_targetILNS1_3genE10ELNS1_11target_archE1201ELNS1_3gpuE5ELNS1_3repE0EEENS1_30default_config_static_selectorELNS0_4arch9wavefront6targetE0EEEvS10_,comdat
	.protected	_ZN7rocprim17ROCPRIM_400000_NS6detail17trampoline_kernelINS0_14default_configENS1_21merge_config_selectorINS0_5tupleIJttEEENS0_10empty_typeEEEZNS1_10merge_implIS3_NS0_12zip_iteratorINS5_IJN6thrust23THRUST_200600_302600_NS6detail15normal_iteratorINSC_10device_ptrIKtEEEESI_EEEEESK_NSA_INS5_IJNSE_INSF_ItEEEESM_EEEEEPS7_SP_SP_NSC_11hip_rocprim7__merge17predicate_wrapperIttNSC_4lessItEEEEEE10hipError_tPvRmT0_T1_T2_T3_T4_T5_mmT6_P12ihipStream_tbEUlT_E_NS1_11comp_targetILNS1_3genE10ELNS1_11target_archE1201ELNS1_3gpuE5ELNS1_3repE0EEENS1_30default_config_static_selectorELNS0_4arch9wavefront6targetE0EEEvS10_ ; -- Begin function _ZN7rocprim17ROCPRIM_400000_NS6detail17trampoline_kernelINS0_14default_configENS1_21merge_config_selectorINS0_5tupleIJttEEENS0_10empty_typeEEEZNS1_10merge_implIS3_NS0_12zip_iteratorINS5_IJN6thrust23THRUST_200600_302600_NS6detail15normal_iteratorINSC_10device_ptrIKtEEEESI_EEEEESK_NSA_INS5_IJNSE_INSF_ItEEEESM_EEEEEPS7_SP_SP_NSC_11hip_rocprim7__merge17predicate_wrapperIttNSC_4lessItEEEEEE10hipError_tPvRmT0_T1_T2_T3_T4_T5_mmT6_P12ihipStream_tbEUlT_E_NS1_11comp_targetILNS1_3genE10ELNS1_11target_archE1201ELNS1_3gpuE5ELNS1_3repE0EEENS1_30default_config_static_selectorELNS0_4arch9wavefront6targetE0EEEvS10_
	.globl	_ZN7rocprim17ROCPRIM_400000_NS6detail17trampoline_kernelINS0_14default_configENS1_21merge_config_selectorINS0_5tupleIJttEEENS0_10empty_typeEEEZNS1_10merge_implIS3_NS0_12zip_iteratorINS5_IJN6thrust23THRUST_200600_302600_NS6detail15normal_iteratorINSC_10device_ptrIKtEEEESI_EEEEESK_NSA_INS5_IJNSE_INSF_ItEEEESM_EEEEEPS7_SP_SP_NSC_11hip_rocprim7__merge17predicate_wrapperIttNSC_4lessItEEEEEE10hipError_tPvRmT0_T1_T2_T3_T4_T5_mmT6_P12ihipStream_tbEUlT_E_NS1_11comp_targetILNS1_3genE10ELNS1_11target_archE1201ELNS1_3gpuE5ELNS1_3repE0EEENS1_30default_config_static_selectorELNS0_4arch9wavefront6targetE0EEEvS10_
	.p2align	8
	.type	_ZN7rocprim17ROCPRIM_400000_NS6detail17trampoline_kernelINS0_14default_configENS1_21merge_config_selectorINS0_5tupleIJttEEENS0_10empty_typeEEEZNS1_10merge_implIS3_NS0_12zip_iteratorINS5_IJN6thrust23THRUST_200600_302600_NS6detail15normal_iteratorINSC_10device_ptrIKtEEEESI_EEEEESK_NSA_INS5_IJNSE_INSF_ItEEEESM_EEEEEPS7_SP_SP_NSC_11hip_rocprim7__merge17predicate_wrapperIttNSC_4lessItEEEEEE10hipError_tPvRmT0_T1_T2_T3_T4_T5_mmT6_P12ihipStream_tbEUlT_E_NS1_11comp_targetILNS1_3genE10ELNS1_11target_archE1201ELNS1_3gpuE5ELNS1_3repE0EEENS1_30default_config_static_selectorELNS0_4arch9wavefront6targetE0EEEvS10_,@function
_ZN7rocprim17ROCPRIM_400000_NS6detail17trampoline_kernelINS0_14default_configENS1_21merge_config_selectorINS0_5tupleIJttEEENS0_10empty_typeEEEZNS1_10merge_implIS3_NS0_12zip_iteratorINS5_IJN6thrust23THRUST_200600_302600_NS6detail15normal_iteratorINSC_10device_ptrIKtEEEESI_EEEEESK_NSA_INS5_IJNSE_INSF_ItEEEESM_EEEEEPS7_SP_SP_NSC_11hip_rocprim7__merge17predicate_wrapperIttNSC_4lessItEEEEEE10hipError_tPvRmT0_T1_T2_T3_T4_T5_mmT6_P12ihipStream_tbEUlT_E_NS1_11comp_targetILNS1_3genE10ELNS1_11target_archE1201ELNS1_3gpuE5ELNS1_3repE0EEENS1_30default_config_static_selectorELNS0_4arch9wavefront6targetE0EEEvS10_: ; @_ZN7rocprim17ROCPRIM_400000_NS6detail17trampoline_kernelINS0_14default_configENS1_21merge_config_selectorINS0_5tupleIJttEEENS0_10empty_typeEEEZNS1_10merge_implIS3_NS0_12zip_iteratorINS5_IJN6thrust23THRUST_200600_302600_NS6detail15normal_iteratorINSC_10device_ptrIKtEEEESI_EEEEESK_NSA_INS5_IJNSE_INSF_ItEEEESM_EEEEEPS7_SP_SP_NSC_11hip_rocprim7__merge17predicate_wrapperIttNSC_4lessItEEEEEE10hipError_tPvRmT0_T1_T2_T3_T4_T5_mmT6_P12ihipStream_tbEUlT_E_NS1_11comp_targetILNS1_3genE10ELNS1_11target_archE1201ELNS1_3gpuE5ELNS1_3repE0EEENS1_30default_config_static_selectorELNS0_4arch9wavefront6targetE0EEEvS10_
; %bb.0:
	.section	.rodata,"a",@progbits
	.p2align	6, 0x0
	.amdhsa_kernel _ZN7rocprim17ROCPRIM_400000_NS6detail17trampoline_kernelINS0_14default_configENS1_21merge_config_selectorINS0_5tupleIJttEEENS0_10empty_typeEEEZNS1_10merge_implIS3_NS0_12zip_iteratorINS5_IJN6thrust23THRUST_200600_302600_NS6detail15normal_iteratorINSC_10device_ptrIKtEEEESI_EEEEESK_NSA_INS5_IJNSE_INSF_ItEEEESM_EEEEEPS7_SP_SP_NSC_11hip_rocprim7__merge17predicate_wrapperIttNSC_4lessItEEEEEE10hipError_tPvRmT0_T1_T2_T3_T4_T5_mmT6_P12ihipStream_tbEUlT_E_NS1_11comp_targetILNS1_3genE10ELNS1_11target_archE1201ELNS1_3gpuE5ELNS1_3repE0EEENS1_30default_config_static_selectorELNS0_4arch9wavefront6targetE0EEEvS10_
		.amdhsa_group_segment_fixed_size 0
		.amdhsa_private_segment_fixed_size 0
		.amdhsa_kernarg_size 64
		.amdhsa_user_sgpr_count 6
		.amdhsa_user_sgpr_private_segment_buffer 1
		.amdhsa_user_sgpr_dispatch_ptr 0
		.amdhsa_user_sgpr_queue_ptr 0
		.amdhsa_user_sgpr_kernarg_segment_ptr 1
		.amdhsa_user_sgpr_dispatch_id 0
		.amdhsa_user_sgpr_flat_scratch_init 0
		.amdhsa_user_sgpr_private_segment_size 0
		.amdhsa_wavefront_size32 1
		.amdhsa_uses_dynamic_stack 0
		.amdhsa_system_sgpr_private_segment_wavefront_offset 0
		.amdhsa_system_sgpr_workgroup_id_x 1
		.amdhsa_system_sgpr_workgroup_id_y 0
		.amdhsa_system_sgpr_workgroup_id_z 0
		.amdhsa_system_sgpr_workgroup_info 0
		.amdhsa_system_vgpr_workitem_id 0
		.amdhsa_next_free_vgpr 1
		.amdhsa_next_free_sgpr 1
		.amdhsa_reserve_vcc 0
		.amdhsa_reserve_flat_scratch 0
		.amdhsa_float_round_mode_32 0
		.amdhsa_float_round_mode_16_64 0
		.amdhsa_float_denorm_mode_32 3
		.amdhsa_float_denorm_mode_16_64 3
		.amdhsa_dx10_clamp 1
		.amdhsa_ieee_mode 1
		.amdhsa_fp16_overflow 0
		.amdhsa_workgroup_processor_mode 1
		.amdhsa_memory_ordered 1
		.amdhsa_forward_progress 1
		.amdhsa_shared_vgpr_count 0
		.amdhsa_exception_fp_ieee_invalid_op 0
		.amdhsa_exception_fp_denorm_src 0
		.amdhsa_exception_fp_ieee_div_zero 0
		.amdhsa_exception_fp_ieee_overflow 0
		.amdhsa_exception_fp_ieee_underflow 0
		.amdhsa_exception_fp_ieee_inexact 0
		.amdhsa_exception_int_div_zero 0
	.end_amdhsa_kernel
	.section	.text._ZN7rocprim17ROCPRIM_400000_NS6detail17trampoline_kernelINS0_14default_configENS1_21merge_config_selectorINS0_5tupleIJttEEENS0_10empty_typeEEEZNS1_10merge_implIS3_NS0_12zip_iteratorINS5_IJN6thrust23THRUST_200600_302600_NS6detail15normal_iteratorINSC_10device_ptrIKtEEEESI_EEEEESK_NSA_INS5_IJNSE_INSF_ItEEEESM_EEEEEPS7_SP_SP_NSC_11hip_rocprim7__merge17predicate_wrapperIttNSC_4lessItEEEEEE10hipError_tPvRmT0_T1_T2_T3_T4_T5_mmT6_P12ihipStream_tbEUlT_E_NS1_11comp_targetILNS1_3genE10ELNS1_11target_archE1201ELNS1_3gpuE5ELNS1_3repE0EEENS1_30default_config_static_selectorELNS0_4arch9wavefront6targetE0EEEvS10_,"axG",@progbits,_ZN7rocprim17ROCPRIM_400000_NS6detail17trampoline_kernelINS0_14default_configENS1_21merge_config_selectorINS0_5tupleIJttEEENS0_10empty_typeEEEZNS1_10merge_implIS3_NS0_12zip_iteratorINS5_IJN6thrust23THRUST_200600_302600_NS6detail15normal_iteratorINSC_10device_ptrIKtEEEESI_EEEEESK_NSA_INS5_IJNSE_INSF_ItEEEESM_EEEEEPS7_SP_SP_NSC_11hip_rocprim7__merge17predicate_wrapperIttNSC_4lessItEEEEEE10hipError_tPvRmT0_T1_T2_T3_T4_T5_mmT6_P12ihipStream_tbEUlT_E_NS1_11comp_targetILNS1_3genE10ELNS1_11target_archE1201ELNS1_3gpuE5ELNS1_3repE0EEENS1_30default_config_static_selectorELNS0_4arch9wavefront6targetE0EEEvS10_,comdat
.Lfunc_end175:
	.size	_ZN7rocprim17ROCPRIM_400000_NS6detail17trampoline_kernelINS0_14default_configENS1_21merge_config_selectorINS0_5tupleIJttEEENS0_10empty_typeEEEZNS1_10merge_implIS3_NS0_12zip_iteratorINS5_IJN6thrust23THRUST_200600_302600_NS6detail15normal_iteratorINSC_10device_ptrIKtEEEESI_EEEEESK_NSA_INS5_IJNSE_INSF_ItEEEESM_EEEEEPS7_SP_SP_NSC_11hip_rocprim7__merge17predicate_wrapperIttNSC_4lessItEEEEEE10hipError_tPvRmT0_T1_T2_T3_T4_T5_mmT6_P12ihipStream_tbEUlT_E_NS1_11comp_targetILNS1_3genE10ELNS1_11target_archE1201ELNS1_3gpuE5ELNS1_3repE0EEENS1_30default_config_static_selectorELNS0_4arch9wavefront6targetE0EEEvS10_, .Lfunc_end175-_ZN7rocprim17ROCPRIM_400000_NS6detail17trampoline_kernelINS0_14default_configENS1_21merge_config_selectorINS0_5tupleIJttEEENS0_10empty_typeEEEZNS1_10merge_implIS3_NS0_12zip_iteratorINS5_IJN6thrust23THRUST_200600_302600_NS6detail15normal_iteratorINSC_10device_ptrIKtEEEESI_EEEEESK_NSA_INS5_IJNSE_INSF_ItEEEESM_EEEEEPS7_SP_SP_NSC_11hip_rocprim7__merge17predicate_wrapperIttNSC_4lessItEEEEEE10hipError_tPvRmT0_T1_T2_T3_T4_T5_mmT6_P12ihipStream_tbEUlT_E_NS1_11comp_targetILNS1_3genE10ELNS1_11target_archE1201ELNS1_3gpuE5ELNS1_3repE0EEENS1_30default_config_static_selectorELNS0_4arch9wavefront6targetE0EEEvS10_
                                        ; -- End function
	.set _ZN7rocprim17ROCPRIM_400000_NS6detail17trampoline_kernelINS0_14default_configENS1_21merge_config_selectorINS0_5tupleIJttEEENS0_10empty_typeEEEZNS1_10merge_implIS3_NS0_12zip_iteratorINS5_IJN6thrust23THRUST_200600_302600_NS6detail15normal_iteratorINSC_10device_ptrIKtEEEESI_EEEEESK_NSA_INS5_IJNSE_INSF_ItEEEESM_EEEEEPS7_SP_SP_NSC_11hip_rocprim7__merge17predicate_wrapperIttNSC_4lessItEEEEEE10hipError_tPvRmT0_T1_T2_T3_T4_T5_mmT6_P12ihipStream_tbEUlT_E_NS1_11comp_targetILNS1_3genE10ELNS1_11target_archE1201ELNS1_3gpuE5ELNS1_3repE0EEENS1_30default_config_static_selectorELNS0_4arch9wavefront6targetE0EEEvS10_.num_vgpr, 0
	.set _ZN7rocprim17ROCPRIM_400000_NS6detail17trampoline_kernelINS0_14default_configENS1_21merge_config_selectorINS0_5tupleIJttEEENS0_10empty_typeEEEZNS1_10merge_implIS3_NS0_12zip_iteratorINS5_IJN6thrust23THRUST_200600_302600_NS6detail15normal_iteratorINSC_10device_ptrIKtEEEESI_EEEEESK_NSA_INS5_IJNSE_INSF_ItEEEESM_EEEEEPS7_SP_SP_NSC_11hip_rocprim7__merge17predicate_wrapperIttNSC_4lessItEEEEEE10hipError_tPvRmT0_T1_T2_T3_T4_T5_mmT6_P12ihipStream_tbEUlT_E_NS1_11comp_targetILNS1_3genE10ELNS1_11target_archE1201ELNS1_3gpuE5ELNS1_3repE0EEENS1_30default_config_static_selectorELNS0_4arch9wavefront6targetE0EEEvS10_.num_agpr, 0
	.set _ZN7rocprim17ROCPRIM_400000_NS6detail17trampoline_kernelINS0_14default_configENS1_21merge_config_selectorINS0_5tupleIJttEEENS0_10empty_typeEEEZNS1_10merge_implIS3_NS0_12zip_iteratorINS5_IJN6thrust23THRUST_200600_302600_NS6detail15normal_iteratorINSC_10device_ptrIKtEEEESI_EEEEESK_NSA_INS5_IJNSE_INSF_ItEEEESM_EEEEEPS7_SP_SP_NSC_11hip_rocprim7__merge17predicate_wrapperIttNSC_4lessItEEEEEE10hipError_tPvRmT0_T1_T2_T3_T4_T5_mmT6_P12ihipStream_tbEUlT_E_NS1_11comp_targetILNS1_3genE10ELNS1_11target_archE1201ELNS1_3gpuE5ELNS1_3repE0EEENS1_30default_config_static_selectorELNS0_4arch9wavefront6targetE0EEEvS10_.numbered_sgpr, 0
	.set _ZN7rocprim17ROCPRIM_400000_NS6detail17trampoline_kernelINS0_14default_configENS1_21merge_config_selectorINS0_5tupleIJttEEENS0_10empty_typeEEEZNS1_10merge_implIS3_NS0_12zip_iteratorINS5_IJN6thrust23THRUST_200600_302600_NS6detail15normal_iteratorINSC_10device_ptrIKtEEEESI_EEEEESK_NSA_INS5_IJNSE_INSF_ItEEEESM_EEEEEPS7_SP_SP_NSC_11hip_rocprim7__merge17predicate_wrapperIttNSC_4lessItEEEEEE10hipError_tPvRmT0_T1_T2_T3_T4_T5_mmT6_P12ihipStream_tbEUlT_E_NS1_11comp_targetILNS1_3genE10ELNS1_11target_archE1201ELNS1_3gpuE5ELNS1_3repE0EEENS1_30default_config_static_selectorELNS0_4arch9wavefront6targetE0EEEvS10_.num_named_barrier, 0
	.set _ZN7rocprim17ROCPRIM_400000_NS6detail17trampoline_kernelINS0_14default_configENS1_21merge_config_selectorINS0_5tupleIJttEEENS0_10empty_typeEEEZNS1_10merge_implIS3_NS0_12zip_iteratorINS5_IJN6thrust23THRUST_200600_302600_NS6detail15normal_iteratorINSC_10device_ptrIKtEEEESI_EEEEESK_NSA_INS5_IJNSE_INSF_ItEEEESM_EEEEEPS7_SP_SP_NSC_11hip_rocprim7__merge17predicate_wrapperIttNSC_4lessItEEEEEE10hipError_tPvRmT0_T1_T2_T3_T4_T5_mmT6_P12ihipStream_tbEUlT_E_NS1_11comp_targetILNS1_3genE10ELNS1_11target_archE1201ELNS1_3gpuE5ELNS1_3repE0EEENS1_30default_config_static_selectorELNS0_4arch9wavefront6targetE0EEEvS10_.private_seg_size, 0
	.set _ZN7rocprim17ROCPRIM_400000_NS6detail17trampoline_kernelINS0_14default_configENS1_21merge_config_selectorINS0_5tupleIJttEEENS0_10empty_typeEEEZNS1_10merge_implIS3_NS0_12zip_iteratorINS5_IJN6thrust23THRUST_200600_302600_NS6detail15normal_iteratorINSC_10device_ptrIKtEEEESI_EEEEESK_NSA_INS5_IJNSE_INSF_ItEEEESM_EEEEEPS7_SP_SP_NSC_11hip_rocprim7__merge17predicate_wrapperIttNSC_4lessItEEEEEE10hipError_tPvRmT0_T1_T2_T3_T4_T5_mmT6_P12ihipStream_tbEUlT_E_NS1_11comp_targetILNS1_3genE10ELNS1_11target_archE1201ELNS1_3gpuE5ELNS1_3repE0EEENS1_30default_config_static_selectorELNS0_4arch9wavefront6targetE0EEEvS10_.uses_vcc, 0
	.set _ZN7rocprim17ROCPRIM_400000_NS6detail17trampoline_kernelINS0_14default_configENS1_21merge_config_selectorINS0_5tupleIJttEEENS0_10empty_typeEEEZNS1_10merge_implIS3_NS0_12zip_iteratorINS5_IJN6thrust23THRUST_200600_302600_NS6detail15normal_iteratorINSC_10device_ptrIKtEEEESI_EEEEESK_NSA_INS5_IJNSE_INSF_ItEEEESM_EEEEEPS7_SP_SP_NSC_11hip_rocprim7__merge17predicate_wrapperIttNSC_4lessItEEEEEE10hipError_tPvRmT0_T1_T2_T3_T4_T5_mmT6_P12ihipStream_tbEUlT_E_NS1_11comp_targetILNS1_3genE10ELNS1_11target_archE1201ELNS1_3gpuE5ELNS1_3repE0EEENS1_30default_config_static_selectorELNS0_4arch9wavefront6targetE0EEEvS10_.uses_flat_scratch, 0
	.set _ZN7rocprim17ROCPRIM_400000_NS6detail17trampoline_kernelINS0_14default_configENS1_21merge_config_selectorINS0_5tupleIJttEEENS0_10empty_typeEEEZNS1_10merge_implIS3_NS0_12zip_iteratorINS5_IJN6thrust23THRUST_200600_302600_NS6detail15normal_iteratorINSC_10device_ptrIKtEEEESI_EEEEESK_NSA_INS5_IJNSE_INSF_ItEEEESM_EEEEEPS7_SP_SP_NSC_11hip_rocprim7__merge17predicate_wrapperIttNSC_4lessItEEEEEE10hipError_tPvRmT0_T1_T2_T3_T4_T5_mmT6_P12ihipStream_tbEUlT_E_NS1_11comp_targetILNS1_3genE10ELNS1_11target_archE1201ELNS1_3gpuE5ELNS1_3repE0EEENS1_30default_config_static_selectorELNS0_4arch9wavefront6targetE0EEEvS10_.has_dyn_sized_stack, 0
	.set _ZN7rocprim17ROCPRIM_400000_NS6detail17trampoline_kernelINS0_14default_configENS1_21merge_config_selectorINS0_5tupleIJttEEENS0_10empty_typeEEEZNS1_10merge_implIS3_NS0_12zip_iteratorINS5_IJN6thrust23THRUST_200600_302600_NS6detail15normal_iteratorINSC_10device_ptrIKtEEEESI_EEEEESK_NSA_INS5_IJNSE_INSF_ItEEEESM_EEEEEPS7_SP_SP_NSC_11hip_rocprim7__merge17predicate_wrapperIttNSC_4lessItEEEEEE10hipError_tPvRmT0_T1_T2_T3_T4_T5_mmT6_P12ihipStream_tbEUlT_E_NS1_11comp_targetILNS1_3genE10ELNS1_11target_archE1201ELNS1_3gpuE5ELNS1_3repE0EEENS1_30default_config_static_selectorELNS0_4arch9wavefront6targetE0EEEvS10_.has_recursion, 0
	.set _ZN7rocprim17ROCPRIM_400000_NS6detail17trampoline_kernelINS0_14default_configENS1_21merge_config_selectorINS0_5tupleIJttEEENS0_10empty_typeEEEZNS1_10merge_implIS3_NS0_12zip_iteratorINS5_IJN6thrust23THRUST_200600_302600_NS6detail15normal_iteratorINSC_10device_ptrIKtEEEESI_EEEEESK_NSA_INS5_IJNSE_INSF_ItEEEESM_EEEEEPS7_SP_SP_NSC_11hip_rocprim7__merge17predicate_wrapperIttNSC_4lessItEEEEEE10hipError_tPvRmT0_T1_T2_T3_T4_T5_mmT6_P12ihipStream_tbEUlT_E_NS1_11comp_targetILNS1_3genE10ELNS1_11target_archE1201ELNS1_3gpuE5ELNS1_3repE0EEENS1_30default_config_static_selectorELNS0_4arch9wavefront6targetE0EEEvS10_.has_indirect_call, 0
	.section	.AMDGPU.csdata,"",@progbits
; Kernel info:
; codeLenInByte = 0
; TotalNumSgprs: 0
; NumVgprs: 0
; ScratchSize: 0
; MemoryBound: 0
; FloatMode: 240
; IeeeMode: 1
; LDSByteSize: 0 bytes/workgroup (compile time only)
; SGPRBlocks: 0
; VGPRBlocks: 0
; NumSGPRsForWavesPerEU: 1
; NumVGPRsForWavesPerEU: 1
; Occupancy: 16
; WaveLimiterHint : 0
; COMPUTE_PGM_RSRC2:SCRATCH_EN: 0
; COMPUTE_PGM_RSRC2:USER_SGPR: 6
; COMPUTE_PGM_RSRC2:TRAP_HANDLER: 0
; COMPUTE_PGM_RSRC2:TGID_X_EN: 1
; COMPUTE_PGM_RSRC2:TGID_Y_EN: 0
; COMPUTE_PGM_RSRC2:TGID_Z_EN: 0
; COMPUTE_PGM_RSRC2:TIDIG_COMP_CNT: 0
	.section	.text._ZN7rocprim17ROCPRIM_400000_NS6detail17trampoline_kernelINS0_14default_configENS1_21merge_config_selectorINS0_5tupleIJttEEENS0_10empty_typeEEEZNS1_10merge_implIS3_NS0_12zip_iteratorINS5_IJN6thrust23THRUST_200600_302600_NS6detail15normal_iteratorINSC_10device_ptrIKtEEEESI_EEEEESK_NSA_INS5_IJNSE_INSF_ItEEEESM_EEEEEPS7_SP_SP_NSC_11hip_rocprim7__merge17predicate_wrapperIttNSC_4lessItEEEEEE10hipError_tPvRmT0_T1_T2_T3_T4_T5_mmT6_P12ihipStream_tbEUlT_E_NS1_11comp_targetILNS1_3genE10ELNS1_11target_archE1200ELNS1_3gpuE4ELNS1_3repE0EEENS1_30default_config_static_selectorELNS0_4arch9wavefront6targetE0EEEvS10_,"axG",@progbits,_ZN7rocprim17ROCPRIM_400000_NS6detail17trampoline_kernelINS0_14default_configENS1_21merge_config_selectorINS0_5tupleIJttEEENS0_10empty_typeEEEZNS1_10merge_implIS3_NS0_12zip_iteratorINS5_IJN6thrust23THRUST_200600_302600_NS6detail15normal_iteratorINSC_10device_ptrIKtEEEESI_EEEEESK_NSA_INS5_IJNSE_INSF_ItEEEESM_EEEEEPS7_SP_SP_NSC_11hip_rocprim7__merge17predicate_wrapperIttNSC_4lessItEEEEEE10hipError_tPvRmT0_T1_T2_T3_T4_T5_mmT6_P12ihipStream_tbEUlT_E_NS1_11comp_targetILNS1_3genE10ELNS1_11target_archE1200ELNS1_3gpuE4ELNS1_3repE0EEENS1_30default_config_static_selectorELNS0_4arch9wavefront6targetE0EEEvS10_,comdat
	.protected	_ZN7rocprim17ROCPRIM_400000_NS6detail17trampoline_kernelINS0_14default_configENS1_21merge_config_selectorINS0_5tupleIJttEEENS0_10empty_typeEEEZNS1_10merge_implIS3_NS0_12zip_iteratorINS5_IJN6thrust23THRUST_200600_302600_NS6detail15normal_iteratorINSC_10device_ptrIKtEEEESI_EEEEESK_NSA_INS5_IJNSE_INSF_ItEEEESM_EEEEEPS7_SP_SP_NSC_11hip_rocprim7__merge17predicate_wrapperIttNSC_4lessItEEEEEE10hipError_tPvRmT0_T1_T2_T3_T4_T5_mmT6_P12ihipStream_tbEUlT_E_NS1_11comp_targetILNS1_3genE10ELNS1_11target_archE1200ELNS1_3gpuE4ELNS1_3repE0EEENS1_30default_config_static_selectorELNS0_4arch9wavefront6targetE0EEEvS10_ ; -- Begin function _ZN7rocprim17ROCPRIM_400000_NS6detail17trampoline_kernelINS0_14default_configENS1_21merge_config_selectorINS0_5tupleIJttEEENS0_10empty_typeEEEZNS1_10merge_implIS3_NS0_12zip_iteratorINS5_IJN6thrust23THRUST_200600_302600_NS6detail15normal_iteratorINSC_10device_ptrIKtEEEESI_EEEEESK_NSA_INS5_IJNSE_INSF_ItEEEESM_EEEEEPS7_SP_SP_NSC_11hip_rocprim7__merge17predicate_wrapperIttNSC_4lessItEEEEEE10hipError_tPvRmT0_T1_T2_T3_T4_T5_mmT6_P12ihipStream_tbEUlT_E_NS1_11comp_targetILNS1_3genE10ELNS1_11target_archE1200ELNS1_3gpuE4ELNS1_3repE0EEENS1_30default_config_static_selectorELNS0_4arch9wavefront6targetE0EEEvS10_
	.globl	_ZN7rocprim17ROCPRIM_400000_NS6detail17trampoline_kernelINS0_14default_configENS1_21merge_config_selectorINS0_5tupleIJttEEENS0_10empty_typeEEEZNS1_10merge_implIS3_NS0_12zip_iteratorINS5_IJN6thrust23THRUST_200600_302600_NS6detail15normal_iteratorINSC_10device_ptrIKtEEEESI_EEEEESK_NSA_INS5_IJNSE_INSF_ItEEEESM_EEEEEPS7_SP_SP_NSC_11hip_rocprim7__merge17predicate_wrapperIttNSC_4lessItEEEEEE10hipError_tPvRmT0_T1_T2_T3_T4_T5_mmT6_P12ihipStream_tbEUlT_E_NS1_11comp_targetILNS1_3genE10ELNS1_11target_archE1200ELNS1_3gpuE4ELNS1_3repE0EEENS1_30default_config_static_selectorELNS0_4arch9wavefront6targetE0EEEvS10_
	.p2align	8
	.type	_ZN7rocprim17ROCPRIM_400000_NS6detail17trampoline_kernelINS0_14default_configENS1_21merge_config_selectorINS0_5tupleIJttEEENS0_10empty_typeEEEZNS1_10merge_implIS3_NS0_12zip_iteratorINS5_IJN6thrust23THRUST_200600_302600_NS6detail15normal_iteratorINSC_10device_ptrIKtEEEESI_EEEEESK_NSA_INS5_IJNSE_INSF_ItEEEESM_EEEEEPS7_SP_SP_NSC_11hip_rocprim7__merge17predicate_wrapperIttNSC_4lessItEEEEEE10hipError_tPvRmT0_T1_T2_T3_T4_T5_mmT6_P12ihipStream_tbEUlT_E_NS1_11comp_targetILNS1_3genE10ELNS1_11target_archE1200ELNS1_3gpuE4ELNS1_3repE0EEENS1_30default_config_static_selectorELNS0_4arch9wavefront6targetE0EEEvS10_,@function
_ZN7rocprim17ROCPRIM_400000_NS6detail17trampoline_kernelINS0_14default_configENS1_21merge_config_selectorINS0_5tupleIJttEEENS0_10empty_typeEEEZNS1_10merge_implIS3_NS0_12zip_iteratorINS5_IJN6thrust23THRUST_200600_302600_NS6detail15normal_iteratorINSC_10device_ptrIKtEEEESI_EEEEESK_NSA_INS5_IJNSE_INSF_ItEEEESM_EEEEEPS7_SP_SP_NSC_11hip_rocprim7__merge17predicate_wrapperIttNSC_4lessItEEEEEE10hipError_tPvRmT0_T1_T2_T3_T4_T5_mmT6_P12ihipStream_tbEUlT_E_NS1_11comp_targetILNS1_3genE10ELNS1_11target_archE1200ELNS1_3gpuE4ELNS1_3repE0EEENS1_30default_config_static_selectorELNS0_4arch9wavefront6targetE0EEEvS10_: ; @_ZN7rocprim17ROCPRIM_400000_NS6detail17trampoline_kernelINS0_14default_configENS1_21merge_config_selectorINS0_5tupleIJttEEENS0_10empty_typeEEEZNS1_10merge_implIS3_NS0_12zip_iteratorINS5_IJN6thrust23THRUST_200600_302600_NS6detail15normal_iteratorINSC_10device_ptrIKtEEEESI_EEEEESK_NSA_INS5_IJNSE_INSF_ItEEEESM_EEEEEPS7_SP_SP_NSC_11hip_rocprim7__merge17predicate_wrapperIttNSC_4lessItEEEEEE10hipError_tPvRmT0_T1_T2_T3_T4_T5_mmT6_P12ihipStream_tbEUlT_E_NS1_11comp_targetILNS1_3genE10ELNS1_11target_archE1200ELNS1_3gpuE4ELNS1_3repE0EEENS1_30default_config_static_selectorELNS0_4arch9wavefront6targetE0EEEvS10_
; %bb.0:
	.section	.rodata,"a",@progbits
	.p2align	6, 0x0
	.amdhsa_kernel _ZN7rocprim17ROCPRIM_400000_NS6detail17trampoline_kernelINS0_14default_configENS1_21merge_config_selectorINS0_5tupleIJttEEENS0_10empty_typeEEEZNS1_10merge_implIS3_NS0_12zip_iteratorINS5_IJN6thrust23THRUST_200600_302600_NS6detail15normal_iteratorINSC_10device_ptrIKtEEEESI_EEEEESK_NSA_INS5_IJNSE_INSF_ItEEEESM_EEEEEPS7_SP_SP_NSC_11hip_rocprim7__merge17predicate_wrapperIttNSC_4lessItEEEEEE10hipError_tPvRmT0_T1_T2_T3_T4_T5_mmT6_P12ihipStream_tbEUlT_E_NS1_11comp_targetILNS1_3genE10ELNS1_11target_archE1200ELNS1_3gpuE4ELNS1_3repE0EEENS1_30default_config_static_selectorELNS0_4arch9wavefront6targetE0EEEvS10_
		.amdhsa_group_segment_fixed_size 0
		.amdhsa_private_segment_fixed_size 0
		.amdhsa_kernarg_size 64
		.amdhsa_user_sgpr_count 6
		.amdhsa_user_sgpr_private_segment_buffer 1
		.amdhsa_user_sgpr_dispatch_ptr 0
		.amdhsa_user_sgpr_queue_ptr 0
		.amdhsa_user_sgpr_kernarg_segment_ptr 1
		.amdhsa_user_sgpr_dispatch_id 0
		.amdhsa_user_sgpr_flat_scratch_init 0
		.amdhsa_user_sgpr_private_segment_size 0
		.amdhsa_wavefront_size32 1
		.amdhsa_uses_dynamic_stack 0
		.amdhsa_system_sgpr_private_segment_wavefront_offset 0
		.amdhsa_system_sgpr_workgroup_id_x 1
		.amdhsa_system_sgpr_workgroup_id_y 0
		.amdhsa_system_sgpr_workgroup_id_z 0
		.amdhsa_system_sgpr_workgroup_info 0
		.amdhsa_system_vgpr_workitem_id 0
		.amdhsa_next_free_vgpr 1
		.amdhsa_next_free_sgpr 1
		.amdhsa_reserve_vcc 0
		.amdhsa_reserve_flat_scratch 0
		.amdhsa_float_round_mode_32 0
		.amdhsa_float_round_mode_16_64 0
		.amdhsa_float_denorm_mode_32 3
		.amdhsa_float_denorm_mode_16_64 3
		.amdhsa_dx10_clamp 1
		.amdhsa_ieee_mode 1
		.amdhsa_fp16_overflow 0
		.amdhsa_workgroup_processor_mode 1
		.amdhsa_memory_ordered 1
		.amdhsa_forward_progress 1
		.amdhsa_shared_vgpr_count 0
		.amdhsa_exception_fp_ieee_invalid_op 0
		.amdhsa_exception_fp_denorm_src 0
		.amdhsa_exception_fp_ieee_div_zero 0
		.amdhsa_exception_fp_ieee_overflow 0
		.amdhsa_exception_fp_ieee_underflow 0
		.amdhsa_exception_fp_ieee_inexact 0
		.amdhsa_exception_int_div_zero 0
	.end_amdhsa_kernel
	.section	.text._ZN7rocprim17ROCPRIM_400000_NS6detail17trampoline_kernelINS0_14default_configENS1_21merge_config_selectorINS0_5tupleIJttEEENS0_10empty_typeEEEZNS1_10merge_implIS3_NS0_12zip_iteratorINS5_IJN6thrust23THRUST_200600_302600_NS6detail15normal_iteratorINSC_10device_ptrIKtEEEESI_EEEEESK_NSA_INS5_IJNSE_INSF_ItEEEESM_EEEEEPS7_SP_SP_NSC_11hip_rocprim7__merge17predicate_wrapperIttNSC_4lessItEEEEEE10hipError_tPvRmT0_T1_T2_T3_T4_T5_mmT6_P12ihipStream_tbEUlT_E_NS1_11comp_targetILNS1_3genE10ELNS1_11target_archE1200ELNS1_3gpuE4ELNS1_3repE0EEENS1_30default_config_static_selectorELNS0_4arch9wavefront6targetE0EEEvS10_,"axG",@progbits,_ZN7rocprim17ROCPRIM_400000_NS6detail17trampoline_kernelINS0_14default_configENS1_21merge_config_selectorINS0_5tupleIJttEEENS0_10empty_typeEEEZNS1_10merge_implIS3_NS0_12zip_iteratorINS5_IJN6thrust23THRUST_200600_302600_NS6detail15normal_iteratorINSC_10device_ptrIKtEEEESI_EEEEESK_NSA_INS5_IJNSE_INSF_ItEEEESM_EEEEEPS7_SP_SP_NSC_11hip_rocprim7__merge17predicate_wrapperIttNSC_4lessItEEEEEE10hipError_tPvRmT0_T1_T2_T3_T4_T5_mmT6_P12ihipStream_tbEUlT_E_NS1_11comp_targetILNS1_3genE10ELNS1_11target_archE1200ELNS1_3gpuE4ELNS1_3repE0EEENS1_30default_config_static_selectorELNS0_4arch9wavefront6targetE0EEEvS10_,comdat
.Lfunc_end176:
	.size	_ZN7rocprim17ROCPRIM_400000_NS6detail17trampoline_kernelINS0_14default_configENS1_21merge_config_selectorINS0_5tupleIJttEEENS0_10empty_typeEEEZNS1_10merge_implIS3_NS0_12zip_iteratorINS5_IJN6thrust23THRUST_200600_302600_NS6detail15normal_iteratorINSC_10device_ptrIKtEEEESI_EEEEESK_NSA_INS5_IJNSE_INSF_ItEEEESM_EEEEEPS7_SP_SP_NSC_11hip_rocprim7__merge17predicate_wrapperIttNSC_4lessItEEEEEE10hipError_tPvRmT0_T1_T2_T3_T4_T5_mmT6_P12ihipStream_tbEUlT_E_NS1_11comp_targetILNS1_3genE10ELNS1_11target_archE1200ELNS1_3gpuE4ELNS1_3repE0EEENS1_30default_config_static_selectorELNS0_4arch9wavefront6targetE0EEEvS10_, .Lfunc_end176-_ZN7rocprim17ROCPRIM_400000_NS6detail17trampoline_kernelINS0_14default_configENS1_21merge_config_selectorINS0_5tupleIJttEEENS0_10empty_typeEEEZNS1_10merge_implIS3_NS0_12zip_iteratorINS5_IJN6thrust23THRUST_200600_302600_NS6detail15normal_iteratorINSC_10device_ptrIKtEEEESI_EEEEESK_NSA_INS5_IJNSE_INSF_ItEEEESM_EEEEEPS7_SP_SP_NSC_11hip_rocprim7__merge17predicate_wrapperIttNSC_4lessItEEEEEE10hipError_tPvRmT0_T1_T2_T3_T4_T5_mmT6_P12ihipStream_tbEUlT_E_NS1_11comp_targetILNS1_3genE10ELNS1_11target_archE1200ELNS1_3gpuE4ELNS1_3repE0EEENS1_30default_config_static_selectorELNS0_4arch9wavefront6targetE0EEEvS10_
                                        ; -- End function
	.set _ZN7rocprim17ROCPRIM_400000_NS6detail17trampoline_kernelINS0_14default_configENS1_21merge_config_selectorINS0_5tupleIJttEEENS0_10empty_typeEEEZNS1_10merge_implIS3_NS0_12zip_iteratorINS5_IJN6thrust23THRUST_200600_302600_NS6detail15normal_iteratorINSC_10device_ptrIKtEEEESI_EEEEESK_NSA_INS5_IJNSE_INSF_ItEEEESM_EEEEEPS7_SP_SP_NSC_11hip_rocprim7__merge17predicate_wrapperIttNSC_4lessItEEEEEE10hipError_tPvRmT0_T1_T2_T3_T4_T5_mmT6_P12ihipStream_tbEUlT_E_NS1_11comp_targetILNS1_3genE10ELNS1_11target_archE1200ELNS1_3gpuE4ELNS1_3repE0EEENS1_30default_config_static_selectorELNS0_4arch9wavefront6targetE0EEEvS10_.num_vgpr, 0
	.set _ZN7rocprim17ROCPRIM_400000_NS6detail17trampoline_kernelINS0_14default_configENS1_21merge_config_selectorINS0_5tupleIJttEEENS0_10empty_typeEEEZNS1_10merge_implIS3_NS0_12zip_iteratorINS5_IJN6thrust23THRUST_200600_302600_NS6detail15normal_iteratorINSC_10device_ptrIKtEEEESI_EEEEESK_NSA_INS5_IJNSE_INSF_ItEEEESM_EEEEEPS7_SP_SP_NSC_11hip_rocprim7__merge17predicate_wrapperIttNSC_4lessItEEEEEE10hipError_tPvRmT0_T1_T2_T3_T4_T5_mmT6_P12ihipStream_tbEUlT_E_NS1_11comp_targetILNS1_3genE10ELNS1_11target_archE1200ELNS1_3gpuE4ELNS1_3repE0EEENS1_30default_config_static_selectorELNS0_4arch9wavefront6targetE0EEEvS10_.num_agpr, 0
	.set _ZN7rocprim17ROCPRIM_400000_NS6detail17trampoline_kernelINS0_14default_configENS1_21merge_config_selectorINS0_5tupleIJttEEENS0_10empty_typeEEEZNS1_10merge_implIS3_NS0_12zip_iteratorINS5_IJN6thrust23THRUST_200600_302600_NS6detail15normal_iteratorINSC_10device_ptrIKtEEEESI_EEEEESK_NSA_INS5_IJNSE_INSF_ItEEEESM_EEEEEPS7_SP_SP_NSC_11hip_rocprim7__merge17predicate_wrapperIttNSC_4lessItEEEEEE10hipError_tPvRmT0_T1_T2_T3_T4_T5_mmT6_P12ihipStream_tbEUlT_E_NS1_11comp_targetILNS1_3genE10ELNS1_11target_archE1200ELNS1_3gpuE4ELNS1_3repE0EEENS1_30default_config_static_selectorELNS0_4arch9wavefront6targetE0EEEvS10_.numbered_sgpr, 0
	.set _ZN7rocprim17ROCPRIM_400000_NS6detail17trampoline_kernelINS0_14default_configENS1_21merge_config_selectorINS0_5tupleIJttEEENS0_10empty_typeEEEZNS1_10merge_implIS3_NS0_12zip_iteratorINS5_IJN6thrust23THRUST_200600_302600_NS6detail15normal_iteratorINSC_10device_ptrIKtEEEESI_EEEEESK_NSA_INS5_IJNSE_INSF_ItEEEESM_EEEEEPS7_SP_SP_NSC_11hip_rocprim7__merge17predicate_wrapperIttNSC_4lessItEEEEEE10hipError_tPvRmT0_T1_T2_T3_T4_T5_mmT6_P12ihipStream_tbEUlT_E_NS1_11comp_targetILNS1_3genE10ELNS1_11target_archE1200ELNS1_3gpuE4ELNS1_3repE0EEENS1_30default_config_static_selectorELNS0_4arch9wavefront6targetE0EEEvS10_.num_named_barrier, 0
	.set _ZN7rocprim17ROCPRIM_400000_NS6detail17trampoline_kernelINS0_14default_configENS1_21merge_config_selectorINS0_5tupleIJttEEENS0_10empty_typeEEEZNS1_10merge_implIS3_NS0_12zip_iteratorINS5_IJN6thrust23THRUST_200600_302600_NS6detail15normal_iteratorINSC_10device_ptrIKtEEEESI_EEEEESK_NSA_INS5_IJNSE_INSF_ItEEEESM_EEEEEPS7_SP_SP_NSC_11hip_rocprim7__merge17predicate_wrapperIttNSC_4lessItEEEEEE10hipError_tPvRmT0_T1_T2_T3_T4_T5_mmT6_P12ihipStream_tbEUlT_E_NS1_11comp_targetILNS1_3genE10ELNS1_11target_archE1200ELNS1_3gpuE4ELNS1_3repE0EEENS1_30default_config_static_selectorELNS0_4arch9wavefront6targetE0EEEvS10_.private_seg_size, 0
	.set _ZN7rocprim17ROCPRIM_400000_NS6detail17trampoline_kernelINS0_14default_configENS1_21merge_config_selectorINS0_5tupleIJttEEENS0_10empty_typeEEEZNS1_10merge_implIS3_NS0_12zip_iteratorINS5_IJN6thrust23THRUST_200600_302600_NS6detail15normal_iteratorINSC_10device_ptrIKtEEEESI_EEEEESK_NSA_INS5_IJNSE_INSF_ItEEEESM_EEEEEPS7_SP_SP_NSC_11hip_rocprim7__merge17predicate_wrapperIttNSC_4lessItEEEEEE10hipError_tPvRmT0_T1_T2_T3_T4_T5_mmT6_P12ihipStream_tbEUlT_E_NS1_11comp_targetILNS1_3genE10ELNS1_11target_archE1200ELNS1_3gpuE4ELNS1_3repE0EEENS1_30default_config_static_selectorELNS0_4arch9wavefront6targetE0EEEvS10_.uses_vcc, 0
	.set _ZN7rocprim17ROCPRIM_400000_NS6detail17trampoline_kernelINS0_14default_configENS1_21merge_config_selectorINS0_5tupleIJttEEENS0_10empty_typeEEEZNS1_10merge_implIS3_NS0_12zip_iteratorINS5_IJN6thrust23THRUST_200600_302600_NS6detail15normal_iteratorINSC_10device_ptrIKtEEEESI_EEEEESK_NSA_INS5_IJNSE_INSF_ItEEEESM_EEEEEPS7_SP_SP_NSC_11hip_rocprim7__merge17predicate_wrapperIttNSC_4lessItEEEEEE10hipError_tPvRmT0_T1_T2_T3_T4_T5_mmT6_P12ihipStream_tbEUlT_E_NS1_11comp_targetILNS1_3genE10ELNS1_11target_archE1200ELNS1_3gpuE4ELNS1_3repE0EEENS1_30default_config_static_selectorELNS0_4arch9wavefront6targetE0EEEvS10_.uses_flat_scratch, 0
	.set _ZN7rocprim17ROCPRIM_400000_NS6detail17trampoline_kernelINS0_14default_configENS1_21merge_config_selectorINS0_5tupleIJttEEENS0_10empty_typeEEEZNS1_10merge_implIS3_NS0_12zip_iteratorINS5_IJN6thrust23THRUST_200600_302600_NS6detail15normal_iteratorINSC_10device_ptrIKtEEEESI_EEEEESK_NSA_INS5_IJNSE_INSF_ItEEEESM_EEEEEPS7_SP_SP_NSC_11hip_rocprim7__merge17predicate_wrapperIttNSC_4lessItEEEEEE10hipError_tPvRmT0_T1_T2_T3_T4_T5_mmT6_P12ihipStream_tbEUlT_E_NS1_11comp_targetILNS1_3genE10ELNS1_11target_archE1200ELNS1_3gpuE4ELNS1_3repE0EEENS1_30default_config_static_selectorELNS0_4arch9wavefront6targetE0EEEvS10_.has_dyn_sized_stack, 0
	.set _ZN7rocprim17ROCPRIM_400000_NS6detail17trampoline_kernelINS0_14default_configENS1_21merge_config_selectorINS0_5tupleIJttEEENS0_10empty_typeEEEZNS1_10merge_implIS3_NS0_12zip_iteratorINS5_IJN6thrust23THRUST_200600_302600_NS6detail15normal_iteratorINSC_10device_ptrIKtEEEESI_EEEEESK_NSA_INS5_IJNSE_INSF_ItEEEESM_EEEEEPS7_SP_SP_NSC_11hip_rocprim7__merge17predicate_wrapperIttNSC_4lessItEEEEEE10hipError_tPvRmT0_T1_T2_T3_T4_T5_mmT6_P12ihipStream_tbEUlT_E_NS1_11comp_targetILNS1_3genE10ELNS1_11target_archE1200ELNS1_3gpuE4ELNS1_3repE0EEENS1_30default_config_static_selectorELNS0_4arch9wavefront6targetE0EEEvS10_.has_recursion, 0
	.set _ZN7rocprim17ROCPRIM_400000_NS6detail17trampoline_kernelINS0_14default_configENS1_21merge_config_selectorINS0_5tupleIJttEEENS0_10empty_typeEEEZNS1_10merge_implIS3_NS0_12zip_iteratorINS5_IJN6thrust23THRUST_200600_302600_NS6detail15normal_iteratorINSC_10device_ptrIKtEEEESI_EEEEESK_NSA_INS5_IJNSE_INSF_ItEEEESM_EEEEEPS7_SP_SP_NSC_11hip_rocprim7__merge17predicate_wrapperIttNSC_4lessItEEEEEE10hipError_tPvRmT0_T1_T2_T3_T4_T5_mmT6_P12ihipStream_tbEUlT_E_NS1_11comp_targetILNS1_3genE10ELNS1_11target_archE1200ELNS1_3gpuE4ELNS1_3repE0EEENS1_30default_config_static_selectorELNS0_4arch9wavefront6targetE0EEEvS10_.has_indirect_call, 0
	.section	.AMDGPU.csdata,"",@progbits
; Kernel info:
; codeLenInByte = 0
; TotalNumSgprs: 0
; NumVgprs: 0
; ScratchSize: 0
; MemoryBound: 0
; FloatMode: 240
; IeeeMode: 1
; LDSByteSize: 0 bytes/workgroup (compile time only)
; SGPRBlocks: 0
; VGPRBlocks: 0
; NumSGPRsForWavesPerEU: 1
; NumVGPRsForWavesPerEU: 1
; Occupancy: 16
; WaveLimiterHint : 0
; COMPUTE_PGM_RSRC2:SCRATCH_EN: 0
; COMPUTE_PGM_RSRC2:USER_SGPR: 6
; COMPUTE_PGM_RSRC2:TRAP_HANDLER: 0
; COMPUTE_PGM_RSRC2:TGID_X_EN: 1
; COMPUTE_PGM_RSRC2:TGID_Y_EN: 0
; COMPUTE_PGM_RSRC2:TGID_Z_EN: 0
; COMPUTE_PGM_RSRC2:TIDIG_COMP_CNT: 0
	.section	.text._ZN7rocprim17ROCPRIM_400000_NS6detail17trampoline_kernelINS0_14default_configENS1_21merge_config_selectorINS0_5tupleIJttEEENS0_10empty_typeEEEZNS1_10merge_implIS3_NS0_12zip_iteratorINS5_IJN6thrust23THRUST_200600_302600_NS6detail15normal_iteratorINSC_10device_ptrIKtEEEESI_EEEEESK_NSA_INS5_IJNSE_INSF_ItEEEESM_EEEEEPS7_SP_SP_NSC_11hip_rocprim7__merge17predicate_wrapperIttNSC_4lessItEEEEEE10hipError_tPvRmT0_T1_T2_T3_T4_T5_mmT6_P12ihipStream_tbEUlT_E_NS1_11comp_targetILNS1_3genE9ELNS1_11target_archE1100ELNS1_3gpuE3ELNS1_3repE0EEENS1_30default_config_static_selectorELNS0_4arch9wavefront6targetE0EEEvS10_,"axG",@progbits,_ZN7rocprim17ROCPRIM_400000_NS6detail17trampoline_kernelINS0_14default_configENS1_21merge_config_selectorINS0_5tupleIJttEEENS0_10empty_typeEEEZNS1_10merge_implIS3_NS0_12zip_iteratorINS5_IJN6thrust23THRUST_200600_302600_NS6detail15normal_iteratorINSC_10device_ptrIKtEEEESI_EEEEESK_NSA_INS5_IJNSE_INSF_ItEEEESM_EEEEEPS7_SP_SP_NSC_11hip_rocprim7__merge17predicate_wrapperIttNSC_4lessItEEEEEE10hipError_tPvRmT0_T1_T2_T3_T4_T5_mmT6_P12ihipStream_tbEUlT_E_NS1_11comp_targetILNS1_3genE9ELNS1_11target_archE1100ELNS1_3gpuE3ELNS1_3repE0EEENS1_30default_config_static_selectorELNS0_4arch9wavefront6targetE0EEEvS10_,comdat
	.protected	_ZN7rocprim17ROCPRIM_400000_NS6detail17trampoline_kernelINS0_14default_configENS1_21merge_config_selectorINS0_5tupleIJttEEENS0_10empty_typeEEEZNS1_10merge_implIS3_NS0_12zip_iteratorINS5_IJN6thrust23THRUST_200600_302600_NS6detail15normal_iteratorINSC_10device_ptrIKtEEEESI_EEEEESK_NSA_INS5_IJNSE_INSF_ItEEEESM_EEEEEPS7_SP_SP_NSC_11hip_rocprim7__merge17predicate_wrapperIttNSC_4lessItEEEEEE10hipError_tPvRmT0_T1_T2_T3_T4_T5_mmT6_P12ihipStream_tbEUlT_E_NS1_11comp_targetILNS1_3genE9ELNS1_11target_archE1100ELNS1_3gpuE3ELNS1_3repE0EEENS1_30default_config_static_selectorELNS0_4arch9wavefront6targetE0EEEvS10_ ; -- Begin function _ZN7rocprim17ROCPRIM_400000_NS6detail17trampoline_kernelINS0_14default_configENS1_21merge_config_selectorINS0_5tupleIJttEEENS0_10empty_typeEEEZNS1_10merge_implIS3_NS0_12zip_iteratorINS5_IJN6thrust23THRUST_200600_302600_NS6detail15normal_iteratorINSC_10device_ptrIKtEEEESI_EEEEESK_NSA_INS5_IJNSE_INSF_ItEEEESM_EEEEEPS7_SP_SP_NSC_11hip_rocprim7__merge17predicate_wrapperIttNSC_4lessItEEEEEE10hipError_tPvRmT0_T1_T2_T3_T4_T5_mmT6_P12ihipStream_tbEUlT_E_NS1_11comp_targetILNS1_3genE9ELNS1_11target_archE1100ELNS1_3gpuE3ELNS1_3repE0EEENS1_30default_config_static_selectorELNS0_4arch9wavefront6targetE0EEEvS10_
	.globl	_ZN7rocprim17ROCPRIM_400000_NS6detail17trampoline_kernelINS0_14default_configENS1_21merge_config_selectorINS0_5tupleIJttEEENS0_10empty_typeEEEZNS1_10merge_implIS3_NS0_12zip_iteratorINS5_IJN6thrust23THRUST_200600_302600_NS6detail15normal_iteratorINSC_10device_ptrIKtEEEESI_EEEEESK_NSA_INS5_IJNSE_INSF_ItEEEESM_EEEEEPS7_SP_SP_NSC_11hip_rocprim7__merge17predicate_wrapperIttNSC_4lessItEEEEEE10hipError_tPvRmT0_T1_T2_T3_T4_T5_mmT6_P12ihipStream_tbEUlT_E_NS1_11comp_targetILNS1_3genE9ELNS1_11target_archE1100ELNS1_3gpuE3ELNS1_3repE0EEENS1_30default_config_static_selectorELNS0_4arch9wavefront6targetE0EEEvS10_
	.p2align	8
	.type	_ZN7rocprim17ROCPRIM_400000_NS6detail17trampoline_kernelINS0_14default_configENS1_21merge_config_selectorINS0_5tupleIJttEEENS0_10empty_typeEEEZNS1_10merge_implIS3_NS0_12zip_iteratorINS5_IJN6thrust23THRUST_200600_302600_NS6detail15normal_iteratorINSC_10device_ptrIKtEEEESI_EEEEESK_NSA_INS5_IJNSE_INSF_ItEEEESM_EEEEEPS7_SP_SP_NSC_11hip_rocprim7__merge17predicate_wrapperIttNSC_4lessItEEEEEE10hipError_tPvRmT0_T1_T2_T3_T4_T5_mmT6_P12ihipStream_tbEUlT_E_NS1_11comp_targetILNS1_3genE9ELNS1_11target_archE1100ELNS1_3gpuE3ELNS1_3repE0EEENS1_30default_config_static_selectorELNS0_4arch9wavefront6targetE0EEEvS10_,@function
_ZN7rocprim17ROCPRIM_400000_NS6detail17trampoline_kernelINS0_14default_configENS1_21merge_config_selectorINS0_5tupleIJttEEENS0_10empty_typeEEEZNS1_10merge_implIS3_NS0_12zip_iteratorINS5_IJN6thrust23THRUST_200600_302600_NS6detail15normal_iteratorINSC_10device_ptrIKtEEEESI_EEEEESK_NSA_INS5_IJNSE_INSF_ItEEEESM_EEEEEPS7_SP_SP_NSC_11hip_rocprim7__merge17predicate_wrapperIttNSC_4lessItEEEEEE10hipError_tPvRmT0_T1_T2_T3_T4_T5_mmT6_P12ihipStream_tbEUlT_E_NS1_11comp_targetILNS1_3genE9ELNS1_11target_archE1100ELNS1_3gpuE3ELNS1_3repE0EEENS1_30default_config_static_selectorELNS0_4arch9wavefront6targetE0EEEvS10_: ; @_ZN7rocprim17ROCPRIM_400000_NS6detail17trampoline_kernelINS0_14default_configENS1_21merge_config_selectorINS0_5tupleIJttEEENS0_10empty_typeEEEZNS1_10merge_implIS3_NS0_12zip_iteratorINS5_IJN6thrust23THRUST_200600_302600_NS6detail15normal_iteratorINSC_10device_ptrIKtEEEESI_EEEEESK_NSA_INS5_IJNSE_INSF_ItEEEESM_EEEEEPS7_SP_SP_NSC_11hip_rocprim7__merge17predicate_wrapperIttNSC_4lessItEEEEEE10hipError_tPvRmT0_T1_T2_T3_T4_T5_mmT6_P12ihipStream_tbEUlT_E_NS1_11comp_targetILNS1_3genE9ELNS1_11target_archE1100ELNS1_3gpuE3ELNS1_3repE0EEENS1_30default_config_static_selectorELNS0_4arch9wavefront6targetE0EEEvS10_
; %bb.0:
	.section	.rodata,"a",@progbits
	.p2align	6, 0x0
	.amdhsa_kernel _ZN7rocprim17ROCPRIM_400000_NS6detail17trampoline_kernelINS0_14default_configENS1_21merge_config_selectorINS0_5tupleIJttEEENS0_10empty_typeEEEZNS1_10merge_implIS3_NS0_12zip_iteratorINS5_IJN6thrust23THRUST_200600_302600_NS6detail15normal_iteratorINSC_10device_ptrIKtEEEESI_EEEEESK_NSA_INS5_IJNSE_INSF_ItEEEESM_EEEEEPS7_SP_SP_NSC_11hip_rocprim7__merge17predicate_wrapperIttNSC_4lessItEEEEEE10hipError_tPvRmT0_T1_T2_T3_T4_T5_mmT6_P12ihipStream_tbEUlT_E_NS1_11comp_targetILNS1_3genE9ELNS1_11target_archE1100ELNS1_3gpuE3ELNS1_3repE0EEENS1_30default_config_static_selectorELNS0_4arch9wavefront6targetE0EEEvS10_
		.amdhsa_group_segment_fixed_size 0
		.amdhsa_private_segment_fixed_size 0
		.amdhsa_kernarg_size 64
		.amdhsa_user_sgpr_count 6
		.amdhsa_user_sgpr_private_segment_buffer 1
		.amdhsa_user_sgpr_dispatch_ptr 0
		.amdhsa_user_sgpr_queue_ptr 0
		.amdhsa_user_sgpr_kernarg_segment_ptr 1
		.amdhsa_user_sgpr_dispatch_id 0
		.amdhsa_user_sgpr_flat_scratch_init 0
		.amdhsa_user_sgpr_private_segment_size 0
		.amdhsa_wavefront_size32 1
		.amdhsa_uses_dynamic_stack 0
		.amdhsa_system_sgpr_private_segment_wavefront_offset 0
		.amdhsa_system_sgpr_workgroup_id_x 1
		.amdhsa_system_sgpr_workgroup_id_y 0
		.amdhsa_system_sgpr_workgroup_id_z 0
		.amdhsa_system_sgpr_workgroup_info 0
		.amdhsa_system_vgpr_workitem_id 0
		.amdhsa_next_free_vgpr 1
		.amdhsa_next_free_sgpr 1
		.amdhsa_reserve_vcc 0
		.amdhsa_reserve_flat_scratch 0
		.amdhsa_float_round_mode_32 0
		.amdhsa_float_round_mode_16_64 0
		.amdhsa_float_denorm_mode_32 3
		.amdhsa_float_denorm_mode_16_64 3
		.amdhsa_dx10_clamp 1
		.amdhsa_ieee_mode 1
		.amdhsa_fp16_overflow 0
		.amdhsa_workgroup_processor_mode 1
		.amdhsa_memory_ordered 1
		.amdhsa_forward_progress 1
		.amdhsa_shared_vgpr_count 0
		.amdhsa_exception_fp_ieee_invalid_op 0
		.amdhsa_exception_fp_denorm_src 0
		.amdhsa_exception_fp_ieee_div_zero 0
		.amdhsa_exception_fp_ieee_overflow 0
		.amdhsa_exception_fp_ieee_underflow 0
		.amdhsa_exception_fp_ieee_inexact 0
		.amdhsa_exception_int_div_zero 0
	.end_amdhsa_kernel
	.section	.text._ZN7rocprim17ROCPRIM_400000_NS6detail17trampoline_kernelINS0_14default_configENS1_21merge_config_selectorINS0_5tupleIJttEEENS0_10empty_typeEEEZNS1_10merge_implIS3_NS0_12zip_iteratorINS5_IJN6thrust23THRUST_200600_302600_NS6detail15normal_iteratorINSC_10device_ptrIKtEEEESI_EEEEESK_NSA_INS5_IJNSE_INSF_ItEEEESM_EEEEEPS7_SP_SP_NSC_11hip_rocprim7__merge17predicate_wrapperIttNSC_4lessItEEEEEE10hipError_tPvRmT0_T1_T2_T3_T4_T5_mmT6_P12ihipStream_tbEUlT_E_NS1_11comp_targetILNS1_3genE9ELNS1_11target_archE1100ELNS1_3gpuE3ELNS1_3repE0EEENS1_30default_config_static_selectorELNS0_4arch9wavefront6targetE0EEEvS10_,"axG",@progbits,_ZN7rocprim17ROCPRIM_400000_NS6detail17trampoline_kernelINS0_14default_configENS1_21merge_config_selectorINS0_5tupleIJttEEENS0_10empty_typeEEEZNS1_10merge_implIS3_NS0_12zip_iteratorINS5_IJN6thrust23THRUST_200600_302600_NS6detail15normal_iteratorINSC_10device_ptrIKtEEEESI_EEEEESK_NSA_INS5_IJNSE_INSF_ItEEEESM_EEEEEPS7_SP_SP_NSC_11hip_rocprim7__merge17predicate_wrapperIttNSC_4lessItEEEEEE10hipError_tPvRmT0_T1_T2_T3_T4_T5_mmT6_P12ihipStream_tbEUlT_E_NS1_11comp_targetILNS1_3genE9ELNS1_11target_archE1100ELNS1_3gpuE3ELNS1_3repE0EEENS1_30default_config_static_selectorELNS0_4arch9wavefront6targetE0EEEvS10_,comdat
.Lfunc_end177:
	.size	_ZN7rocprim17ROCPRIM_400000_NS6detail17trampoline_kernelINS0_14default_configENS1_21merge_config_selectorINS0_5tupleIJttEEENS0_10empty_typeEEEZNS1_10merge_implIS3_NS0_12zip_iteratorINS5_IJN6thrust23THRUST_200600_302600_NS6detail15normal_iteratorINSC_10device_ptrIKtEEEESI_EEEEESK_NSA_INS5_IJNSE_INSF_ItEEEESM_EEEEEPS7_SP_SP_NSC_11hip_rocprim7__merge17predicate_wrapperIttNSC_4lessItEEEEEE10hipError_tPvRmT0_T1_T2_T3_T4_T5_mmT6_P12ihipStream_tbEUlT_E_NS1_11comp_targetILNS1_3genE9ELNS1_11target_archE1100ELNS1_3gpuE3ELNS1_3repE0EEENS1_30default_config_static_selectorELNS0_4arch9wavefront6targetE0EEEvS10_, .Lfunc_end177-_ZN7rocprim17ROCPRIM_400000_NS6detail17trampoline_kernelINS0_14default_configENS1_21merge_config_selectorINS0_5tupleIJttEEENS0_10empty_typeEEEZNS1_10merge_implIS3_NS0_12zip_iteratorINS5_IJN6thrust23THRUST_200600_302600_NS6detail15normal_iteratorINSC_10device_ptrIKtEEEESI_EEEEESK_NSA_INS5_IJNSE_INSF_ItEEEESM_EEEEEPS7_SP_SP_NSC_11hip_rocprim7__merge17predicate_wrapperIttNSC_4lessItEEEEEE10hipError_tPvRmT0_T1_T2_T3_T4_T5_mmT6_P12ihipStream_tbEUlT_E_NS1_11comp_targetILNS1_3genE9ELNS1_11target_archE1100ELNS1_3gpuE3ELNS1_3repE0EEENS1_30default_config_static_selectorELNS0_4arch9wavefront6targetE0EEEvS10_
                                        ; -- End function
	.set _ZN7rocprim17ROCPRIM_400000_NS6detail17trampoline_kernelINS0_14default_configENS1_21merge_config_selectorINS0_5tupleIJttEEENS0_10empty_typeEEEZNS1_10merge_implIS3_NS0_12zip_iteratorINS5_IJN6thrust23THRUST_200600_302600_NS6detail15normal_iteratorINSC_10device_ptrIKtEEEESI_EEEEESK_NSA_INS5_IJNSE_INSF_ItEEEESM_EEEEEPS7_SP_SP_NSC_11hip_rocprim7__merge17predicate_wrapperIttNSC_4lessItEEEEEE10hipError_tPvRmT0_T1_T2_T3_T4_T5_mmT6_P12ihipStream_tbEUlT_E_NS1_11comp_targetILNS1_3genE9ELNS1_11target_archE1100ELNS1_3gpuE3ELNS1_3repE0EEENS1_30default_config_static_selectorELNS0_4arch9wavefront6targetE0EEEvS10_.num_vgpr, 0
	.set _ZN7rocprim17ROCPRIM_400000_NS6detail17trampoline_kernelINS0_14default_configENS1_21merge_config_selectorINS0_5tupleIJttEEENS0_10empty_typeEEEZNS1_10merge_implIS3_NS0_12zip_iteratorINS5_IJN6thrust23THRUST_200600_302600_NS6detail15normal_iteratorINSC_10device_ptrIKtEEEESI_EEEEESK_NSA_INS5_IJNSE_INSF_ItEEEESM_EEEEEPS7_SP_SP_NSC_11hip_rocprim7__merge17predicate_wrapperIttNSC_4lessItEEEEEE10hipError_tPvRmT0_T1_T2_T3_T4_T5_mmT6_P12ihipStream_tbEUlT_E_NS1_11comp_targetILNS1_3genE9ELNS1_11target_archE1100ELNS1_3gpuE3ELNS1_3repE0EEENS1_30default_config_static_selectorELNS0_4arch9wavefront6targetE0EEEvS10_.num_agpr, 0
	.set _ZN7rocprim17ROCPRIM_400000_NS6detail17trampoline_kernelINS0_14default_configENS1_21merge_config_selectorINS0_5tupleIJttEEENS0_10empty_typeEEEZNS1_10merge_implIS3_NS0_12zip_iteratorINS5_IJN6thrust23THRUST_200600_302600_NS6detail15normal_iteratorINSC_10device_ptrIKtEEEESI_EEEEESK_NSA_INS5_IJNSE_INSF_ItEEEESM_EEEEEPS7_SP_SP_NSC_11hip_rocprim7__merge17predicate_wrapperIttNSC_4lessItEEEEEE10hipError_tPvRmT0_T1_T2_T3_T4_T5_mmT6_P12ihipStream_tbEUlT_E_NS1_11comp_targetILNS1_3genE9ELNS1_11target_archE1100ELNS1_3gpuE3ELNS1_3repE0EEENS1_30default_config_static_selectorELNS0_4arch9wavefront6targetE0EEEvS10_.numbered_sgpr, 0
	.set _ZN7rocprim17ROCPRIM_400000_NS6detail17trampoline_kernelINS0_14default_configENS1_21merge_config_selectorINS0_5tupleIJttEEENS0_10empty_typeEEEZNS1_10merge_implIS3_NS0_12zip_iteratorINS5_IJN6thrust23THRUST_200600_302600_NS6detail15normal_iteratorINSC_10device_ptrIKtEEEESI_EEEEESK_NSA_INS5_IJNSE_INSF_ItEEEESM_EEEEEPS7_SP_SP_NSC_11hip_rocprim7__merge17predicate_wrapperIttNSC_4lessItEEEEEE10hipError_tPvRmT0_T1_T2_T3_T4_T5_mmT6_P12ihipStream_tbEUlT_E_NS1_11comp_targetILNS1_3genE9ELNS1_11target_archE1100ELNS1_3gpuE3ELNS1_3repE0EEENS1_30default_config_static_selectorELNS0_4arch9wavefront6targetE0EEEvS10_.num_named_barrier, 0
	.set _ZN7rocprim17ROCPRIM_400000_NS6detail17trampoline_kernelINS0_14default_configENS1_21merge_config_selectorINS0_5tupleIJttEEENS0_10empty_typeEEEZNS1_10merge_implIS3_NS0_12zip_iteratorINS5_IJN6thrust23THRUST_200600_302600_NS6detail15normal_iteratorINSC_10device_ptrIKtEEEESI_EEEEESK_NSA_INS5_IJNSE_INSF_ItEEEESM_EEEEEPS7_SP_SP_NSC_11hip_rocprim7__merge17predicate_wrapperIttNSC_4lessItEEEEEE10hipError_tPvRmT0_T1_T2_T3_T4_T5_mmT6_P12ihipStream_tbEUlT_E_NS1_11comp_targetILNS1_3genE9ELNS1_11target_archE1100ELNS1_3gpuE3ELNS1_3repE0EEENS1_30default_config_static_selectorELNS0_4arch9wavefront6targetE0EEEvS10_.private_seg_size, 0
	.set _ZN7rocprim17ROCPRIM_400000_NS6detail17trampoline_kernelINS0_14default_configENS1_21merge_config_selectorINS0_5tupleIJttEEENS0_10empty_typeEEEZNS1_10merge_implIS3_NS0_12zip_iteratorINS5_IJN6thrust23THRUST_200600_302600_NS6detail15normal_iteratorINSC_10device_ptrIKtEEEESI_EEEEESK_NSA_INS5_IJNSE_INSF_ItEEEESM_EEEEEPS7_SP_SP_NSC_11hip_rocprim7__merge17predicate_wrapperIttNSC_4lessItEEEEEE10hipError_tPvRmT0_T1_T2_T3_T4_T5_mmT6_P12ihipStream_tbEUlT_E_NS1_11comp_targetILNS1_3genE9ELNS1_11target_archE1100ELNS1_3gpuE3ELNS1_3repE0EEENS1_30default_config_static_selectorELNS0_4arch9wavefront6targetE0EEEvS10_.uses_vcc, 0
	.set _ZN7rocprim17ROCPRIM_400000_NS6detail17trampoline_kernelINS0_14default_configENS1_21merge_config_selectorINS0_5tupleIJttEEENS0_10empty_typeEEEZNS1_10merge_implIS3_NS0_12zip_iteratorINS5_IJN6thrust23THRUST_200600_302600_NS6detail15normal_iteratorINSC_10device_ptrIKtEEEESI_EEEEESK_NSA_INS5_IJNSE_INSF_ItEEEESM_EEEEEPS7_SP_SP_NSC_11hip_rocprim7__merge17predicate_wrapperIttNSC_4lessItEEEEEE10hipError_tPvRmT0_T1_T2_T3_T4_T5_mmT6_P12ihipStream_tbEUlT_E_NS1_11comp_targetILNS1_3genE9ELNS1_11target_archE1100ELNS1_3gpuE3ELNS1_3repE0EEENS1_30default_config_static_selectorELNS0_4arch9wavefront6targetE0EEEvS10_.uses_flat_scratch, 0
	.set _ZN7rocprim17ROCPRIM_400000_NS6detail17trampoline_kernelINS0_14default_configENS1_21merge_config_selectorINS0_5tupleIJttEEENS0_10empty_typeEEEZNS1_10merge_implIS3_NS0_12zip_iteratorINS5_IJN6thrust23THRUST_200600_302600_NS6detail15normal_iteratorINSC_10device_ptrIKtEEEESI_EEEEESK_NSA_INS5_IJNSE_INSF_ItEEEESM_EEEEEPS7_SP_SP_NSC_11hip_rocprim7__merge17predicate_wrapperIttNSC_4lessItEEEEEE10hipError_tPvRmT0_T1_T2_T3_T4_T5_mmT6_P12ihipStream_tbEUlT_E_NS1_11comp_targetILNS1_3genE9ELNS1_11target_archE1100ELNS1_3gpuE3ELNS1_3repE0EEENS1_30default_config_static_selectorELNS0_4arch9wavefront6targetE0EEEvS10_.has_dyn_sized_stack, 0
	.set _ZN7rocprim17ROCPRIM_400000_NS6detail17trampoline_kernelINS0_14default_configENS1_21merge_config_selectorINS0_5tupleIJttEEENS0_10empty_typeEEEZNS1_10merge_implIS3_NS0_12zip_iteratorINS5_IJN6thrust23THRUST_200600_302600_NS6detail15normal_iteratorINSC_10device_ptrIKtEEEESI_EEEEESK_NSA_INS5_IJNSE_INSF_ItEEEESM_EEEEEPS7_SP_SP_NSC_11hip_rocprim7__merge17predicate_wrapperIttNSC_4lessItEEEEEE10hipError_tPvRmT0_T1_T2_T3_T4_T5_mmT6_P12ihipStream_tbEUlT_E_NS1_11comp_targetILNS1_3genE9ELNS1_11target_archE1100ELNS1_3gpuE3ELNS1_3repE0EEENS1_30default_config_static_selectorELNS0_4arch9wavefront6targetE0EEEvS10_.has_recursion, 0
	.set _ZN7rocprim17ROCPRIM_400000_NS6detail17trampoline_kernelINS0_14default_configENS1_21merge_config_selectorINS0_5tupleIJttEEENS0_10empty_typeEEEZNS1_10merge_implIS3_NS0_12zip_iteratorINS5_IJN6thrust23THRUST_200600_302600_NS6detail15normal_iteratorINSC_10device_ptrIKtEEEESI_EEEEESK_NSA_INS5_IJNSE_INSF_ItEEEESM_EEEEEPS7_SP_SP_NSC_11hip_rocprim7__merge17predicate_wrapperIttNSC_4lessItEEEEEE10hipError_tPvRmT0_T1_T2_T3_T4_T5_mmT6_P12ihipStream_tbEUlT_E_NS1_11comp_targetILNS1_3genE9ELNS1_11target_archE1100ELNS1_3gpuE3ELNS1_3repE0EEENS1_30default_config_static_selectorELNS0_4arch9wavefront6targetE0EEEvS10_.has_indirect_call, 0
	.section	.AMDGPU.csdata,"",@progbits
; Kernel info:
; codeLenInByte = 0
; TotalNumSgprs: 0
; NumVgprs: 0
; ScratchSize: 0
; MemoryBound: 0
; FloatMode: 240
; IeeeMode: 1
; LDSByteSize: 0 bytes/workgroup (compile time only)
; SGPRBlocks: 0
; VGPRBlocks: 0
; NumSGPRsForWavesPerEU: 1
; NumVGPRsForWavesPerEU: 1
; Occupancy: 16
; WaveLimiterHint : 0
; COMPUTE_PGM_RSRC2:SCRATCH_EN: 0
; COMPUTE_PGM_RSRC2:USER_SGPR: 6
; COMPUTE_PGM_RSRC2:TRAP_HANDLER: 0
; COMPUTE_PGM_RSRC2:TGID_X_EN: 1
; COMPUTE_PGM_RSRC2:TGID_Y_EN: 0
; COMPUTE_PGM_RSRC2:TGID_Z_EN: 0
; COMPUTE_PGM_RSRC2:TIDIG_COMP_CNT: 0
	.section	.text._ZN7rocprim17ROCPRIM_400000_NS6detail17trampoline_kernelINS0_14default_configENS1_21merge_config_selectorINS0_5tupleIJttEEENS0_10empty_typeEEEZNS1_10merge_implIS3_NS0_12zip_iteratorINS5_IJN6thrust23THRUST_200600_302600_NS6detail15normal_iteratorINSC_10device_ptrIKtEEEESI_EEEEESK_NSA_INS5_IJNSE_INSF_ItEEEESM_EEEEEPS7_SP_SP_NSC_11hip_rocprim7__merge17predicate_wrapperIttNSC_4lessItEEEEEE10hipError_tPvRmT0_T1_T2_T3_T4_T5_mmT6_P12ihipStream_tbEUlT_E_NS1_11comp_targetILNS1_3genE8ELNS1_11target_archE1030ELNS1_3gpuE2ELNS1_3repE0EEENS1_30default_config_static_selectorELNS0_4arch9wavefront6targetE0EEEvS10_,"axG",@progbits,_ZN7rocprim17ROCPRIM_400000_NS6detail17trampoline_kernelINS0_14default_configENS1_21merge_config_selectorINS0_5tupleIJttEEENS0_10empty_typeEEEZNS1_10merge_implIS3_NS0_12zip_iteratorINS5_IJN6thrust23THRUST_200600_302600_NS6detail15normal_iteratorINSC_10device_ptrIKtEEEESI_EEEEESK_NSA_INS5_IJNSE_INSF_ItEEEESM_EEEEEPS7_SP_SP_NSC_11hip_rocprim7__merge17predicate_wrapperIttNSC_4lessItEEEEEE10hipError_tPvRmT0_T1_T2_T3_T4_T5_mmT6_P12ihipStream_tbEUlT_E_NS1_11comp_targetILNS1_3genE8ELNS1_11target_archE1030ELNS1_3gpuE2ELNS1_3repE0EEENS1_30default_config_static_selectorELNS0_4arch9wavefront6targetE0EEEvS10_,comdat
	.protected	_ZN7rocprim17ROCPRIM_400000_NS6detail17trampoline_kernelINS0_14default_configENS1_21merge_config_selectorINS0_5tupleIJttEEENS0_10empty_typeEEEZNS1_10merge_implIS3_NS0_12zip_iteratorINS5_IJN6thrust23THRUST_200600_302600_NS6detail15normal_iteratorINSC_10device_ptrIKtEEEESI_EEEEESK_NSA_INS5_IJNSE_INSF_ItEEEESM_EEEEEPS7_SP_SP_NSC_11hip_rocprim7__merge17predicate_wrapperIttNSC_4lessItEEEEEE10hipError_tPvRmT0_T1_T2_T3_T4_T5_mmT6_P12ihipStream_tbEUlT_E_NS1_11comp_targetILNS1_3genE8ELNS1_11target_archE1030ELNS1_3gpuE2ELNS1_3repE0EEENS1_30default_config_static_selectorELNS0_4arch9wavefront6targetE0EEEvS10_ ; -- Begin function _ZN7rocprim17ROCPRIM_400000_NS6detail17trampoline_kernelINS0_14default_configENS1_21merge_config_selectorINS0_5tupleIJttEEENS0_10empty_typeEEEZNS1_10merge_implIS3_NS0_12zip_iteratorINS5_IJN6thrust23THRUST_200600_302600_NS6detail15normal_iteratorINSC_10device_ptrIKtEEEESI_EEEEESK_NSA_INS5_IJNSE_INSF_ItEEEESM_EEEEEPS7_SP_SP_NSC_11hip_rocprim7__merge17predicate_wrapperIttNSC_4lessItEEEEEE10hipError_tPvRmT0_T1_T2_T3_T4_T5_mmT6_P12ihipStream_tbEUlT_E_NS1_11comp_targetILNS1_3genE8ELNS1_11target_archE1030ELNS1_3gpuE2ELNS1_3repE0EEENS1_30default_config_static_selectorELNS0_4arch9wavefront6targetE0EEEvS10_
	.globl	_ZN7rocprim17ROCPRIM_400000_NS6detail17trampoline_kernelINS0_14default_configENS1_21merge_config_selectorINS0_5tupleIJttEEENS0_10empty_typeEEEZNS1_10merge_implIS3_NS0_12zip_iteratorINS5_IJN6thrust23THRUST_200600_302600_NS6detail15normal_iteratorINSC_10device_ptrIKtEEEESI_EEEEESK_NSA_INS5_IJNSE_INSF_ItEEEESM_EEEEEPS7_SP_SP_NSC_11hip_rocprim7__merge17predicate_wrapperIttNSC_4lessItEEEEEE10hipError_tPvRmT0_T1_T2_T3_T4_T5_mmT6_P12ihipStream_tbEUlT_E_NS1_11comp_targetILNS1_3genE8ELNS1_11target_archE1030ELNS1_3gpuE2ELNS1_3repE0EEENS1_30default_config_static_selectorELNS0_4arch9wavefront6targetE0EEEvS10_
	.p2align	8
	.type	_ZN7rocprim17ROCPRIM_400000_NS6detail17trampoline_kernelINS0_14default_configENS1_21merge_config_selectorINS0_5tupleIJttEEENS0_10empty_typeEEEZNS1_10merge_implIS3_NS0_12zip_iteratorINS5_IJN6thrust23THRUST_200600_302600_NS6detail15normal_iteratorINSC_10device_ptrIKtEEEESI_EEEEESK_NSA_INS5_IJNSE_INSF_ItEEEESM_EEEEEPS7_SP_SP_NSC_11hip_rocprim7__merge17predicate_wrapperIttNSC_4lessItEEEEEE10hipError_tPvRmT0_T1_T2_T3_T4_T5_mmT6_P12ihipStream_tbEUlT_E_NS1_11comp_targetILNS1_3genE8ELNS1_11target_archE1030ELNS1_3gpuE2ELNS1_3repE0EEENS1_30default_config_static_selectorELNS0_4arch9wavefront6targetE0EEEvS10_,@function
_ZN7rocprim17ROCPRIM_400000_NS6detail17trampoline_kernelINS0_14default_configENS1_21merge_config_selectorINS0_5tupleIJttEEENS0_10empty_typeEEEZNS1_10merge_implIS3_NS0_12zip_iteratorINS5_IJN6thrust23THRUST_200600_302600_NS6detail15normal_iteratorINSC_10device_ptrIKtEEEESI_EEEEESK_NSA_INS5_IJNSE_INSF_ItEEEESM_EEEEEPS7_SP_SP_NSC_11hip_rocprim7__merge17predicate_wrapperIttNSC_4lessItEEEEEE10hipError_tPvRmT0_T1_T2_T3_T4_T5_mmT6_P12ihipStream_tbEUlT_E_NS1_11comp_targetILNS1_3genE8ELNS1_11target_archE1030ELNS1_3gpuE2ELNS1_3repE0EEENS1_30default_config_static_selectorELNS0_4arch9wavefront6targetE0EEEvS10_: ; @_ZN7rocprim17ROCPRIM_400000_NS6detail17trampoline_kernelINS0_14default_configENS1_21merge_config_selectorINS0_5tupleIJttEEENS0_10empty_typeEEEZNS1_10merge_implIS3_NS0_12zip_iteratorINS5_IJN6thrust23THRUST_200600_302600_NS6detail15normal_iteratorINSC_10device_ptrIKtEEEESI_EEEEESK_NSA_INS5_IJNSE_INSF_ItEEEESM_EEEEEPS7_SP_SP_NSC_11hip_rocprim7__merge17predicate_wrapperIttNSC_4lessItEEEEEE10hipError_tPvRmT0_T1_T2_T3_T4_T5_mmT6_P12ihipStream_tbEUlT_E_NS1_11comp_targetILNS1_3genE8ELNS1_11target_archE1030ELNS1_3gpuE2ELNS1_3repE0EEENS1_30default_config_static_selectorELNS0_4arch9wavefront6targetE0EEEvS10_
; %bb.0:
	s_clause 0x2
	s_load_dword s2, s[4:5], 0x38
	s_load_dword s0, s[4:5], 0x4c
	s_load_dwordx4 s[12:15], s[4:5], 0x28
	s_waitcnt lgkmcnt(0)
	v_cvt_f32_u32_e32 v1, s2
	s_and_b32 s3, s0, 0xffff
	s_add_u32 s0, s14, s12
	s_addc_u32 s1, s15, s13
	s_sub_i32 s8, 0, s2
	v_rcp_iflag_f32_e32 v1, v1
	s_add_i32 s9, s2, s0
	s_add_i32 s9, s9, -1
	v_mul_f32_e32 v1, 0x4f7ffffe, v1
	v_cvt_u32_f32_e32 v1, v1
	v_readfirstlane_b32 s7, v1
	v_mad_u64_u32 v[0:1], null, s6, s3, v[0:1]
	s_mul_i32 s8, s8, s7
	s_mul_hi_u32 s8, s7, s8
	s_add_i32 s7, s7, s8
	s_mul_hi_u32 s7, s9, s7
	s_mul_i32 s8, s7, s2
	s_sub_i32 s8, s9, s8
	s_add_i32 s9, s7, 1
	s_sub_i32 s10, s8, s2
	s_cmp_ge_u32 s8, s2
	s_cselect_b32 s3, s9, s7
	s_cselect_b32 s6, s10, s8
	s_add_i32 s7, s3, 1
	s_cmp_ge_u32 s6, s2
	s_cselect_b32 s3, s7, s3
	v_cmp_ge_u32_e32 vcc_lo, s3, v0
	s_and_saveexec_b32 s3, vcc_lo
	s_cbranch_execz .LBB178_6
; %bb.1:
	v_mul_lo_u32 v1, v0, s2
	v_mov_b32_e32 v2, 0
	s_load_dwordx4 s[8:11], s[4:5], 0x0
	v_cmp_gt_u64_e32 vcc_lo, s[0:1], v[1:2]
	v_cndmask_b32_e32 v6, s0, v1, vcc_lo
	v_cndmask_b32_e64 v7, s1, 0, vcc_lo
	v_sub_co_u32 v1, vcc_lo, v6, s14
	v_subrev_co_ci_u32_e64 v2, null, s15, v7, vcc_lo
	v_cmp_gt_u64_e64 s0, s[12:13], v[6:7]
	v_cmp_gt_u64_e32 vcc_lo, v[1:2], v[6:7]
	v_cndmask_b32_e64 v5, s13, v7, s0
	v_cndmask_b32_e64 v4, s12, v6, s0
	s_mov_b32 s0, exec_lo
	v_cndmask_b32_e64 v3, v2, 0, vcc_lo
	v_cndmask_b32_e64 v2, v1, 0, vcc_lo
	v_cmpx_lt_u64_e64 v[2:3], v[4:5]
	s_cbranch_execz .LBB178_5
; %bb.2:
	s_load_dwordx2 s[2:3], s[4:5], 0x18
	v_lshlrev_b64 v[6:7], 1, v[6:7]
	s_mov_b32 s1, 0
	s_waitcnt lgkmcnt(0)
	v_add_co_u32 v1, vcc_lo, s2, v6
	v_add_co_ci_u32_e64 v6, null, s3, v7, vcc_lo
	s_inst_prefetch 0x1
	.p2align	6
.LBB178_3:                              ; =>This Inner Loop Header: Depth=1
	v_add_co_u32 v7, vcc_lo, v4, v2
	v_add_co_ci_u32_e64 v8, null, v5, v3, vcc_lo
	v_and_b32_e32 v9, -2, v7
	v_xor_b32_e32 v12, -1, v8
	v_xor_b32_e32 v11, -2, v9
	v_add_co_u32 v9, vcc_lo, s10, v9
	v_add_co_ci_u32_e64 v10, null, s11, v8, vcc_lo
	v_add_co_u32 v11, vcc_lo, v1, v11
	v_add_co_ci_u32_e64 v12, null, v6, v12, vcc_lo
	v_lshrrev_b64 v[7:8], 1, v[7:8]
	global_load_ushort v9, v[9:10], off
	global_load_ushort v10, v[11:12], off
	v_add_co_u32 v11, vcc_lo, v7, 1
	v_add_co_ci_u32_e64 v12, null, 0, v8, vcc_lo
	s_waitcnt vmcnt(0)
	v_cmp_lt_u16_e32 vcc_lo, v10, v9
	v_cndmask_b32_e32 v5, v5, v8, vcc_lo
	v_cndmask_b32_e32 v4, v4, v7, vcc_lo
	;; [unrolled: 1-line block ×4, first 2 shown]
	v_cmp_ge_u64_e32 vcc_lo, v[2:3], v[4:5]
	s_or_b32 s1, vcc_lo, s1
	s_andn2_b32 exec_lo, exec_lo, s1
	s_cbranch_execnz .LBB178_3
; %bb.4:
	s_inst_prefetch 0x2
	s_or_b32 exec_lo, exec_lo, s1
.LBB178_5:
	s_or_b32 exec_lo, exec_lo, s0
	v_mov_b32_e32 v1, 0
	v_lshlrev_b64 v[0:1], 2, v[0:1]
	s_waitcnt lgkmcnt(0)
	v_add_co_u32 v0, vcc_lo, s8, v0
	v_add_co_ci_u32_e64 v1, null, s9, v1, vcc_lo
	global_store_dword v[0:1], v2, off
.LBB178_6:
	s_endpgm
	.section	.rodata,"a",@progbits
	.p2align	6, 0x0
	.amdhsa_kernel _ZN7rocprim17ROCPRIM_400000_NS6detail17trampoline_kernelINS0_14default_configENS1_21merge_config_selectorINS0_5tupleIJttEEENS0_10empty_typeEEEZNS1_10merge_implIS3_NS0_12zip_iteratorINS5_IJN6thrust23THRUST_200600_302600_NS6detail15normal_iteratorINSC_10device_ptrIKtEEEESI_EEEEESK_NSA_INS5_IJNSE_INSF_ItEEEESM_EEEEEPS7_SP_SP_NSC_11hip_rocprim7__merge17predicate_wrapperIttNSC_4lessItEEEEEE10hipError_tPvRmT0_T1_T2_T3_T4_T5_mmT6_P12ihipStream_tbEUlT_E_NS1_11comp_targetILNS1_3genE8ELNS1_11target_archE1030ELNS1_3gpuE2ELNS1_3repE0EEENS1_30default_config_static_selectorELNS0_4arch9wavefront6targetE0EEEvS10_
		.amdhsa_group_segment_fixed_size 0
		.amdhsa_private_segment_fixed_size 0
		.amdhsa_kernarg_size 320
		.amdhsa_user_sgpr_count 6
		.amdhsa_user_sgpr_private_segment_buffer 1
		.amdhsa_user_sgpr_dispatch_ptr 0
		.amdhsa_user_sgpr_queue_ptr 0
		.amdhsa_user_sgpr_kernarg_segment_ptr 1
		.amdhsa_user_sgpr_dispatch_id 0
		.amdhsa_user_sgpr_flat_scratch_init 0
		.amdhsa_user_sgpr_private_segment_size 0
		.amdhsa_wavefront_size32 1
		.amdhsa_uses_dynamic_stack 0
		.amdhsa_system_sgpr_private_segment_wavefront_offset 0
		.amdhsa_system_sgpr_workgroup_id_x 1
		.amdhsa_system_sgpr_workgroup_id_y 0
		.amdhsa_system_sgpr_workgroup_id_z 0
		.amdhsa_system_sgpr_workgroup_info 0
		.amdhsa_system_vgpr_workitem_id 0
		.amdhsa_next_free_vgpr 13
		.amdhsa_next_free_sgpr 16
		.amdhsa_reserve_vcc 1
		.amdhsa_reserve_flat_scratch 0
		.amdhsa_float_round_mode_32 0
		.amdhsa_float_round_mode_16_64 0
		.amdhsa_float_denorm_mode_32 3
		.amdhsa_float_denorm_mode_16_64 3
		.amdhsa_dx10_clamp 1
		.amdhsa_ieee_mode 1
		.amdhsa_fp16_overflow 0
		.amdhsa_workgroup_processor_mode 1
		.amdhsa_memory_ordered 1
		.amdhsa_forward_progress 1
		.amdhsa_shared_vgpr_count 0
		.amdhsa_exception_fp_ieee_invalid_op 0
		.amdhsa_exception_fp_denorm_src 0
		.amdhsa_exception_fp_ieee_div_zero 0
		.amdhsa_exception_fp_ieee_overflow 0
		.amdhsa_exception_fp_ieee_underflow 0
		.amdhsa_exception_fp_ieee_inexact 0
		.amdhsa_exception_int_div_zero 0
	.end_amdhsa_kernel
	.section	.text._ZN7rocprim17ROCPRIM_400000_NS6detail17trampoline_kernelINS0_14default_configENS1_21merge_config_selectorINS0_5tupleIJttEEENS0_10empty_typeEEEZNS1_10merge_implIS3_NS0_12zip_iteratorINS5_IJN6thrust23THRUST_200600_302600_NS6detail15normal_iteratorINSC_10device_ptrIKtEEEESI_EEEEESK_NSA_INS5_IJNSE_INSF_ItEEEESM_EEEEEPS7_SP_SP_NSC_11hip_rocprim7__merge17predicate_wrapperIttNSC_4lessItEEEEEE10hipError_tPvRmT0_T1_T2_T3_T4_T5_mmT6_P12ihipStream_tbEUlT_E_NS1_11comp_targetILNS1_3genE8ELNS1_11target_archE1030ELNS1_3gpuE2ELNS1_3repE0EEENS1_30default_config_static_selectorELNS0_4arch9wavefront6targetE0EEEvS10_,"axG",@progbits,_ZN7rocprim17ROCPRIM_400000_NS6detail17trampoline_kernelINS0_14default_configENS1_21merge_config_selectorINS0_5tupleIJttEEENS0_10empty_typeEEEZNS1_10merge_implIS3_NS0_12zip_iteratorINS5_IJN6thrust23THRUST_200600_302600_NS6detail15normal_iteratorINSC_10device_ptrIKtEEEESI_EEEEESK_NSA_INS5_IJNSE_INSF_ItEEEESM_EEEEEPS7_SP_SP_NSC_11hip_rocprim7__merge17predicate_wrapperIttNSC_4lessItEEEEEE10hipError_tPvRmT0_T1_T2_T3_T4_T5_mmT6_P12ihipStream_tbEUlT_E_NS1_11comp_targetILNS1_3genE8ELNS1_11target_archE1030ELNS1_3gpuE2ELNS1_3repE0EEENS1_30default_config_static_selectorELNS0_4arch9wavefront6targetE0EEEvS10_,comdat
.Lfunc_end178:
	.size	_ZN7rocprim17ROCPRIM_400000_NS6detail17trampoline_kernelINS0_14default_configENS1_21merge_config_selectorINS0_5tupleIJttEEENS0_10empty_typeEEEZNS1_10merge_implIS3_NS0_12zip_iteratorINS5_IJN6thrust23THRUST_200600_302600_NS6detail15normal_iteratorINSC_10device_ptrIKtEEEESI_EEEEESK_NSA_INS5_IJNSE_INSF_ItEEEESM_EEEEEPS7_SP_SP_NSC_11hip_rocprim7__merge17predicate_wrapperIttNSC_4lessItEEEEEE10hipError_tPvRmT0_T1_T2_T3_T4_T5_mmT6_P12ihipStream_tbEUlT_E_NS1_11comp_targetILNS1_3genE8ELNS1_11target_archE1030ELNS1_3gpuE2ELNS1_3repE0EEENS1_30default_config_static_selectorELNS0_4arch9wavefront6targetE0EEEvS10_, .Lfunc_end178-_ZN7rocprim17ROCPRIM_400000_NS6detail17trampoline_kernelINS0_14default_configENS1_21merge_config_selectorINS0_5tupleIJttEEENS0_10empty_typeEEEZNS1_10merge_implIS3_NS0_12zip_iteratorINS5_IJN6thrust23THRUST_200600_302600_NS6detail15normal_iteratorINSC_10device_ptrIKtEEEESI_EEEEESK_NSA_INS5_IJNSE_INSF_ItEEEESM_EEEEEPS7_SP_SP_NSC_11hip_rocprim7__merge17predicate_wrapperIttNSC_4lessItEEEEEE10hipError_tPvRmT0_T1_T2_T3_T4_T5_mmT6_P12ihipStream_tbEUlT_E_NS1_11comp_targetILNS1_3genE8ELNS1_11target_archE1030ELNS1_3gpuE2ELNS1_3repE0EEENS1_30default_config_static_selectorELNS0_4arch9wavefront6targetE0EEEvS10_
                                        ; -- End function
	.set _ZN7rocprim17ROCPRIM_400000_NS6detail17trampoline_kernelINS0_14default_configENS1_21merge_config_selectorINS0_5tupleIJttEEENS0_10empty_typeEEEZNS1_10merge_implIS3_NS0_12zip_iteratorINS5_IJN6thrust23THRUST_200600_302600_NS6detail15normal_iteratorINSC_10device_ptrIKtEEEESI_EEEEESK_NSA_INS5_IJNSE_INSF_ItEEEESM_EEEEEPS7_SP_SP_NSC_11hip_rocprim7__merge17predicate_wrapperIttNSC_4lessItEEEEEE10hipError_tPvRmT0_T1_T2_T3_T4_T5_mmT6_P12ihipStream_tbEUlT_E_NS1_11comp_targetILNS1_3genE8ELNS1_11target_archE1030ELNS1_3gpuE2ELNS1_3repE0EEENS1_30default_config_static_selectorELNS0_4arch9wavefront6targetE0EEEvS10_.num_vgpr, 13
	.set _ZN7rocprim17ROCPRIM_400000_NS6detail17trampoline_kernelINS0_14default_configENS1_21merge_config_selectorINS0_5tupleIJttEEENS0_10empty_typeEEEZNS1_10merge_implIS3_NS0_12zip_iteratorINS5_IJN6thrust23THRUST_200600_302600_NS6detail15normal_iteratorINSC_10device_ptrIKtEEEESI_EEEEESK_NSA_INS5_IJNSE_INSF_ItEEEESM_EEEEEPS7_SP_SP_NSC_11hip_rocprim7__merge17predicate_wrapperIttNSC_4lessItEEEEEE10hipError_tPvRmT0_T1_T2_T3_T4_T5_mmT6_P12ihipStream_tbEUlT_E_NS1_11comp_targetILNS1_3genE8ELNS1_11target_archE1030ELNS1_3gpuE2ELNS1_3repE0EEENS1_30default_config_static_selectorELNS0_4arch9wavefront6targetE0EEEvS10_.num_agpr, 0
	.set _ZN7rocprim17ROCPRIM_400000_NS6detail17trampoline_kernelINS0_14default_configENS1_21merge_config_selectorINS0_5tupleIJttEEENS0_10empty_typeEEEZNS1_10merge_implIS3_NS0_12zip_iteratorINS5_IJN6thrust23THRUST_200600_302600_NS6detail15normal_iteratorINSC_10device_ptrIKtEEEESI_EEEEESK_NSA_INS5_IJNSE_INSF_ItEEEESM_EEEEEPS7_SP_SP_NSC_11hip_rocprim7__merge17predicate_wrapperIttNSC_4lessItEEEEEE10hipError_tPvRmT0_T1_T2_T3_T4_T5_mmT6_P12ihipStream_tbEUlT_E_NS1_11comp_targetILNS1_3genE8ELNS1_11target_archE1030ELNS1_3gpuE2ELNS1_3repE0EEENS1_30default_config_static_selectorELNS0_4arch9wavefront6targetE0EEEvS10_.numbered_sgpr, 16
	.set _ZN7rocprim17ROCPRIM_400000_NS6detail17trampoline_kernelINS0_14default_configENS1_21merge_config_selectorINS0_5tupleIJttEEENS0_10empty_typeEEEZNS1_10merge_implIS3_NS0_12zip_iteratorINS5_IJN6thrust23THRUST_200600_302600_NS6detail15normal_iteratorINSC_10device_ptrIKtEEEESI_EEEEESK_NSA_INS5_IJNSE_INSF_ItEEEESM_EEEEEPS7_SP_SP_NSC_11hip_rocprim7__merge17predicate_wrapperIttNSC_4lessItEEEEEE10hipError_tPvRmT0_T1_T2_T3_T4_T5_mmT6_P12ihipStream_tbEUlT_E_NS1_11comp_targetILNS1_3genE8ELNS1_11target_archE1030ELNS1_3gpuE2ELNS1_3repE0EEENS1_30default_config_static_selectorELNS0_4arch9wavefront6targetE0EEEvS10_.num_named_barrier, 0
	.set _ZN7rocprim17ROCPRIM_400000_NS6detail17trampoline_kernelINS0_14default_configENS1_21merge_config_selectorINS0_5tupleIJttEEENS0_10empty_typeEEEZNS1_10merge_implIS3_NS0_12zip_iteratorINS5_IJN6thrust23THRUST_200600_302600_NS6detail15normal_iteratorINSC_10device_ptrIKtEEEESI_EEEEESK_NSA_INS5_IJNSE_INSF_ItEEEESM_EEEEEPS7_SP_SP_NSC_11hip_rocprim7__merge17predicate_wrapperIttNSC_4lessItEEEEEE10hipError_tPvRmT0_T1_T2_T3_T4_T5_mmT6_P12ihipStream_tbEUlT_E_NS1_11comp_targetILNS1_3genE8ELNS1_11target_archE1030ELNS1_3gpuE2ELNS1_3repE0EEENS1_30default_config_static_selectorELNS0_4arch9wavefront6targetE0EEEvS10_.private_seg_size, 0
	.set _ZN7rocprim17ROCPRIM_400000_NS6detail17trampoline_kernelINS0_14default_configENS1_21merge_config_selectorINS0_5tupleIJttEEENS0_10empty_typeEEEZNS1_10merge_implIS3_NS0_12zip_iteratorINS5_IJN6thrust23THRUST_200600_302600_NS6detail15normal_iteratorINSC_10device_ptrIKtEEEESI_EEEEESK_NSA_INS5_IJNSE_INSF_ItEEEESM_EEEEEPS7_SP_SP_NSC_11hip_rocprim7__merge17predicate_wrapperIttNSC_4lessItEEEEEE10hipError_tPvRmT0_T1_T2_T3_T4_T5_mmT6_P12ihipStream_tbEUlT_E_NS1_11comp_targetILNS1_3genE8ELNS1_11target_archE1030ELNS1_3gpuE2ELNS1_3repE0EEENS1_30default_config_static_selectorELNS0_4arch9wavefront6targetE0EEEvS10_.uses_vcc, 1
	.set _ZN7rocprim17ROCPRIM_400000_NS6detail17trampoline_kernelINS0_14default_configENS1_21merge_config_selectorINS0_5tupleIJttEEENS0_10empty_typeEEEZNS1_10merge_implIS3_NS0_12zip_iteratorINS5_IJN6thrust23THRUST_200600_302600_NS6detail15normal_iteratorINSC_10device_ptrIKtEEEESI_EEEEESK_NSA_INS5_IJNSE_INSF_ItEEEESM_EEEEEPS7_SP_SP_NSC_11hip_rocprim7__merge17predicate_wrapperIttNSC_4lessItEEEEEE10hipError_tPvRmT0_T1_T2_T3_T4_T5_mmT6_P12ihipStream_tbEUlT_E_NS1_11comp_targetILNS1_3genE8ELNS1_11target_archE1030ELNS1_3gpuE2ELNS1_3repE0EEENS1_30default_config_static_selectorELNS0_4arch9wavefront6targetE0EEEvS10_.uses_flat_scratch, 0
	.set _ZN7rocprim17ROCPRIM_400000_NS6detail17trampoline_kernelINS0_14default_configENS1_21merge_config_selectorINS0_5tupleIJttEEENS0_10empty_typeEEEZNS1_10merge_implIS3_NS0_12zip_iteratorINS5_IJN6thrust23THRUST_200600_302600_NS6detail15normal_iteratorINSC_10device_ptrIKtEEEESI_EEEEESK_NSA_INS5_IJNSE_INSF_ItEEEESM_EEEEEPS7_SP_SP_NSC_11hip_rocprim7__merge17predicate_wrapperIttNSC_4lessItEEEEEE10hipError_tPvRmT0_T1_T2_T3_T4_T5_mmT6_P12ihipStream_tbEUlT_E_NS1_11comp_targetILNS1_3genE8ELNS1_11target_archE1030ELNS1_3gpuE2ELNS1_3repE0EEENS1_30default_config_static_selectorELNS0_4arch9wavefront6targetE0EEEvS10_.has_dyn_sized_stack, 0
	.set _ZN7rocprim17ROCPRIM_400000_NS6detail17trampoline_kernelINS0_14default_configENS1_21merge_config_selectorINS0_5tupleIJttEEENS0_10empty_typeEEEZNS1_10merge_implIS3_NS0_12zip_iteratorINS5_IJN6thrust23THRUST_200600_302600_NS6detail15normal_iteratorINSC_10device_ptrIKtEEEESI_EEEEESK_NSA_INS5_IJNSE_INSF_ItEEEESM_EEEEEPS7_SP_SP_NSC_11hip_rocprim7__merge17predicate_wrapperIttNSC_4lessItEEEEEE10hipError_tPvRmT0_T1_T2_T3_T4_T5_mmT6_P12ihipStream_tbEUlT_E_NS1_11comp_targetILNS1_3genE8ELNS1_11target_archE1030ELNS1_3gpuE2ELNS1_3repE0EEENS1_30default_config_static_selectorELNS0_4arch9wavefront6targetE0EEEvS10_.has_recursion, 0
	.set _ZN7rocprim17ROCPRIM_400000_NS6detail17trampoline_kernelINS0_14default_configENS1_21merge_config_selectorINS0_5tupleIJttEEENS0_10empty_typeEEEZNS1_10merge_implIS3_NS0_12zip_iteratorINS5_IJN6thrust23THRUST_200600_302600_NS6detail15normal_iteratorINSC_10device_ptrIKtEEEESI_EEEEESK_NSA_INS5_IJNSE_INSF_ItEEEESM_EEEEEPS7_SP_SP_NSC_11hip_rocprim7__merge17predicate_wrapperIttNSC_4lessItEEEEEE10hipError_tPvRmT0_T1_T2_T3_T4_T5_mmT6_P12ihipStream_tbEUlT_E_NS1_11comp_targetILNS1_3genE8ELNS1_11target_archE1030ELNS1_3gpuE2ELNS1_3repE0EEENS1_30default_config_static_selectorELNS0_4arch9wavefront6targetE0EEEvS10_.has_indirect_call, 0
	.section	.AMDGPU.csdata,"",@progbits
; Kernel info:
; codeLenInByte = 516
; TotalNumSgprs: 18
; NumVgprs: 13
; ScratchSize: 0
; MemoryBound: 0
; FloatMode: 240
; IeeeMode: 1
; LDSByteSize: 0 bytes/workgroup (compile time only)
; SGPRBlocks: 0
; VGPRBlocks: 1
; NumSGPRsForWavesPerEU: 18
; NumVGPRsForWavesPerEU: 13
; Occupancy: 16
; WaveLimiterHint : 0
; COMPUTE_PGM_RSRC2:SCRATCH_EN: 0
; COMPUTE_PGM_RSRC2:USER_SGPR: 6
; COMPUTE_PGM_RSRC2:TRAP_HANDLER: 0
; COMPUTE_PGM_RSRC2:TGID_X_EN: 1
; COMPUTE_PGM_RSRC2:TGID_Y_EN: 0
; COMPUTE_PGM_RSRC2:TGID_Z_EN: 0
; COMPUTE_PGM_RSRC2:TIDIG_COMP_CNT: 0
	.section	.text._ZN7rocprim17ROCPRIM_400000_NS6detail17trampoline_kernelINS0_14default_configENS1_21merge_config_selectorINS0_5tupleIJttEEENS0_10empty_typeEEEZNS1_10merge_implIS3_NS0_12zip_iteratorINS5_IJN6thrust23THRUST_200600_302600_NS6detail15normal_iteratorINSC_10device_ptrIKtEEEESI_EEEEESK_NSA_INS5_IJNSE_INSF_ItEEEESM_EEEEEPS7_SP_SP_NSC_11hip_rocprim7__merge17predicate_wrapperIttNSC_4lessItEEEEEE10hipError_tPvRmT0_T1_T2_T3_T4_T5_mmT6_P12ihipStream_tbEUlT_E0_NS1_11comp_targetILNS1_3genE0ELNS1_11target_archE4294967295ELNS1_3gpuE0ELNS1_3repE0EEENS1_30default_config_static_selectorELNS0_4arch9wavefront6targetE0EEEvS10_,"axG",@progbits,_ZN7rocprim17ROCPRIM_400000_NS6detail17trampoline_kernelINS0_14default_configENS1_21merge_config_selectorINS0_5tupleIJttEEENS0_10empty_typeEEEZNS1_10merge_implIS3_NS0_12zip_iteratorINS5_IJN6thrust23THRUST_200600_302600_NS6detail15normal_iteratorINSC_10device_ptrIKtEEEESI_EEEEESK_NSA_INS5_IJNSE_INSF_ItEEEESM_EEEEEPS7_SP_SP_NSC_11hip_rocprim7__merge17predicate_wrapperIttNSC_4lessItEEEEEE10hipError_tPvRmT0_T1_T2_T3_T4_T5_mmT6_P12ihipStream_tbEUlT_E0_NS1_11comp_targetILNS1_3genE0ELNS1_11target_archE4294967295ELNS1_3gpuE0ELNS1_3repE0EEENS1_30default_config_static_selectorELNS0_4arch9wavefront6targetE0EEEvS10_,comdat
	.protected	_ZN7rocprim17ROCPRIM_400000_NS6detail17trampoline_kernelINS0_14default_configENS1_21merge_config_selectorINS0_5tupleIJttEEENS0_10empty_typeEEEZNS1_10merge_implIS3_NS0_12zip_iteratorINS5_IJN6thrust23THRUST_200600_302600_NS6detail15normal_iteratorINSC_10device_ptrIKtEEEESI_EEEEESK_NSA_INS5_IJNSE_INSF_ItEEEESM_EEEEEPS7_SP_SP_NSC_11hip_rocprim7__merge17predicate_wrapperIttNSC_4lessItEEEEEE10hipError_tPvRmT0_T1_T2_T3_T4_T5_mmT6_P12ihipStream_tbEUlT_E0_NS1_11comp_targetILNS1_3genE0ELNS1_11target_archE4294967295ELNS1_3gpuE0ELNS1_3repE0EEENS1_30default_config_static_selectorELNS0_4arch9wavefront6targetE0EEEvS10_ ; -- Begin function _ZN7rocprim17ROCPRIM_400000_NS6detail17trampoline_kernelINS0_14default_configENS1_21merge_config_selectorINS0_5tupleIJttEEENS0_10empty_typeEEEZNS1_10merge_implIS3_NS0_12zip_iteratorINS5_IJN6thrust23THRUST_200600_302600_NS6detail15normal_iteratorINSC_10device_ptrIKtEEEESI_EEEEESK_NSA_INS5_IJNSE_INSF_ItEEEESM_EEEEEPS7_SP_SP_NSC_11hip_rocprim7__merge17predicate_wrapperIttNSC_4lessItEEEEEE10hipError_tPvRmT0_T1_T2_T3_T4_T5_mmT6_P12ihipStream_tbEUlT_E0_NS1_11comp_targetILNS1_3genE0ELNS1_11target_archE4294967295ELNS1_3gpuE0ELNS1_3repE0EEENS1_30default_config_static_selectorELNS0_4arch9wavefront6targetE0EEEvS10_
	.globl	_ZN7rocprim17ROCPRIM_400000_NS6detail17trampoline_kernelINS0_14default_configENS1_21merge_config_selectorINS0_5tupleIJttEEENS0_10empty_typeEEEZNS1_10merge_implIS3_NS0_12zip_iteratorINS5_IJN6thrust23THRUST_200600_302600_NS6detail15normal_iteratorINSC_10device_ptrIKtEEEESI_EEEEESK_NSA_INS5_IJNSE_INSF_ItEEEESM_EEEEEPS7_SP_SP_NSC_11hip_rocprim7__merge17predicate_wrapperIttNSC_4lessItEEEEEE10hipError_tPvRmT0_T1_T2_T3_T4_T5_mmT6_P12ihipStream_tbEUlT_E0_NS1_11comp_targetILNS1_3genE0ELNS1_11target_archE4294967295ELNS1_3gpuE0ELNS1_3repE0EEENS1_30default_config_static_selectorELNS0_4arch9wavefront6targetE0EEEvS10_
	.p2align	8
	.type	_ZN7rocprim17ROCPRIM_400000_NS6detail17trampoline_kernelINS0_14default_configENS1_21merge_config_selectorINS0_5tupleIJttEEENS0_10empty_typeEEEZNS1_10merge_implIS3_NS0_12zip_iteratorINS5_IJN6thrust23THRUST_200600_302600_NS6detail15normal_iteratorINSC_10device_ptrIKtEEEESI_EEEEESK_NSA_INS5_IJNSE_INSF_ItEEEESM_EEEEEPS7_SP_SP_NSC_11hip_rocprim7__merge17predicate_wrapperIttNSC_4lessItEEEEEE10hipError_tPvRmT0_T1_T2_T3_T4_T5_mmT6_P12ihipStream_tbEUlT_E0_NS1_11comp_targetILNS1_3genE0ELNS1_11target_archE4294967295ELNS1_3gpuE0ELNS1_3repE0EEENS1_30default_config_static_selectorELNS0_4arch9wavefront6targetE0EEEvS10_,@function
_ZN7rocprim17ROCPRIM_400000_NS6detail17trampoline_kernelINS0_14default_configENS1_21merge_config_selectorINS0_5tupleIJttEEENS0_10empty_typeEEEZNS1_10merge_implIS3_NS0_12zip_iteratorINS5_IJN6thrust23THRUST_200600_302600_NS6detail15normal_iteratorINSC_10device_ptrIKtEEEESI_EEEEESK_NSA_INS5_IJNSE_INSF_ItEEEESM_EEEEEPS7_SP_SP_NSC_11hip_rocprim7__merge17predicate_wrapperIttNSC_4lessItEEEEEE10hipError_tPvRmT0_T1_T2_T3_T4_T5_mmT6_P12ihipStream_tbEUlT_E0_NS1_11comp_targetILNS1_3genE0ELNS1_11target_archE4294967295ELNS1_3gpuE0ELNS1_3repE0EEENS1_30default_config_static_selectorELNS0_4arch9wavefront6targetE0EEEvS10_: ; @_ZN7rocprim17ROCPRIM_400000_NS6detail17trampoline_kernelINS0_14default_configENS1_21merge_config_selectorINS0_5tupleIJttEEENS0_10empty_typeEEEZNS1_10merge_implIS3_NS0_12zip_iteratorINS5_IJN6thrust23THRUST_200600_302600_NS6detail15normal_iteratorINSC_10device_ptrIKtEEEESI_EEEEESK_NSA_INS5_IJNSE_INSF_ItEEEESM_EEEEEPS7_SP_SP_NSC_11hip_rocprim7__merge17predicate_wrapperIttNSC_4lessItEEEEEE10hipError_tPvRmT0_T1_T2_T3_T4_T5_mmT6_P12ihipStream_tbEUlT_E0_NS1_11comp_targetILNS1_3genE0ELNS1_11target_archE4294967295ELNS1_3gpuE0ELNS1_3repE0EEENS1_30default_config_static_selectorELNS0_4arch9wavefront6targetE0EEEvS10_
; %bb.0:
	.section	.rodata,"a",@progbits
	.p2align	6, 0x0
	.amdhsa_kernel _ZN7rocprim17ROCPRIM_400000_NS6detail17trampoline_kernelINS0_14default_configENS1_21merge_config_selectorINS0_5tupleIJttEEENS0_10empty_typeEEEZNS1_10merge_implIS3_NS0_12zip_iteratorINS5_IJN6thrust23THRUST_200600_302600_NS6detail15normal_iteratorINSC_10device_ptrIKtEEEESI_EEEEESK_NSA_INS5_IJNSE_INSF_ItEEEESM_EEEEEPS7_SP_SP_NSC_11hip_rocprim7__merge17predicate_wrapperIttNSC_4lessItEEEEEE10hipError_tPvRmT0_T1_T2_T3_T4_T5_mmT6_P12ihipStream_tbEUlT_E0_NS1_11comp_targetILNS1_3genE0ELNS1_11target_archE4294967295ELNS1_3gpuE0ELNS1_3repE0EEENS1_30default_config_static_selectorELNS0_4arch9wavefront6targetE0EEEvS10_
		.amdhsa_group_segment_fixed_size 0
		.amdhsa_private_segment_fixed_size 0
		.amdhsa_kernarg_size 112
		.amdhsa_user_sgpr_count 6
		.amdhsa_user_sgpr_private_segment_buffer 1
		.amdhsa_user_sgpr_dispatch_ptr 0
		.amdhsa_user_sgpr_queue_ptr 0
		.amdhsa_user_sgpr_kernarg_segment_ptr 1
		.amdhsa_user_sgpr_dispatch_id 0
		.amdhsa_user_sgpr_flat_scratch_init 0
		.amdhsa_user_sgpr_private_segment_size 0
		.amdhsa_wavefront_size32 1
		.amdhsa_uses_dynamic_stack 0
		.amdhsa_system_sgpr_private_segment_wavefront_offset 0
		.amdhsa_system_sgpr_workgroup_id_x 1
		.amdhsa_system_sgpr_workgroup_id_y 0
		.amdhsa_system_sgpr_workgroup_id_z 0
		.amdhsa_system_sgpr_workgroup_info 0
		.amdhsa_system_vgpr_workitem_id 0
		.amdhsa_next_free_vgpr 1
		.amdhsa_next_free_sgpr 1
		.amdhsa_reserve_vcc 0
		.amdhsa_reserve_flat_scratch 0
		.amdhsa_float_round_mode_32 0
		.amdhsa_float_round_mode_16_64 0
		.amdhsa_float_denorm_mode_32 3
		.amdhsa_float_denorm_mode_16_64 3
		.amdhsa_dx10_clamp 1
		.amdhsa_ieee_mode 1
		.amdhsa_fp16_overflow 0
		.amdhsa_workgroup_processor_mode 1
		.amdhsa_memory_ordered 1
		.amdhsa_forward_progress 1
		.amdhsa_shared_vgpr_count 0
		.amdhsa_exception_fp_ieee_invalid_op 0
		.amdhsa_exception_fp_denorm_src 0
		.amdhsa_exception_fp_ieee_div_zero 0
		.amdhsa_exception_fp_ieee_overflow 0
		.amdhsa_exception_fp_ieee_underflow 0
		.amdhsa_exception_fp_ieee_inexact 0
		.amdhsa_exception_int_div_zero 0
	.end_amdhsa_kernel
	.section	.text._ZN7rocprim17ROCPRIM_400000_NS6detail17trampoline_kernelINS0_14default_configENS1_21merge_config_selectorINS0_5tupleIJttEEENS0_10empty_typeEEEZNS1_10merge_implIS3_NS0_12zip_iteratorINS5_IJN6thrust23THRUST_200600_302600_NS6detail15normal_iteratorINSC_10device_ptrIKtEEEESI_EEEEESK_NSA_INS5_IJNSE_INSF_ItEEEESM_EEEEEPS7_SP_SP_NSC_11hip_rocprim7__merge17predicate_wrapperIttNSC_4lessItEEEEEE10hipError_tPvRmT0_T1_T2_T3_T4_T5_mmT6_P12ihipStream_tbEUlT_E0_NS1_11comp_targetILNS1_3genE0ELNS1_11target_archE4294967295ELNS1_3gpuE0ELNS1_3repE0EEENS1_30default_config_static_selectorELNS0_4arch9wavefront6targetE0EEEvS10_,"axG",@progbits,_ZN7rocprim17ROCPRIM_400000_NS6detail17trampoline_kernelINS0_14default_configENS1_21merge_config_selectorINS0_5tupleIJttEEENS0_10empty_typeEEEZNS1_10merge_implIS3_NS0_12zip_iteratorINS5_IJN6thrust23THRUST_200600_302600_NS6detail15normal_iteratorINSC_10device_ptrIKtEEEESI_EEEEESK_NSA_INS5_IJNSE_INSF_ItEEEESM_EEEEEPS7_SP_SP_NSC_11hip_rocprim7__merge17predicate_wrapperIttNSC_4lessItEEEEEE10hipError_tPvRmT0_T1_T2_T3_T4_T5_mmT6_P12ihipStream_tbEUlT_E0_NS1_11comp_targetILNS1_3genE0ELNS1_11target_archE4294967295ELNS1_3gpuE0ELNS1_3repE0EEENS1_30default_config_static_selectorELNS0_4arch9wavefront6targetE0EEEvS10_,comdat
.Lfunc_end179:
	.size	_ZN7rocprim17ROCPRIM_400000_NS6detail17trampoline_kernelINS0_14default_configENS1_21merge_config_selectorINS0_5tupleIJttEEENS0_10empty_typeEEEZNS1_10merge_implIS3_NS0_12zip_iteratorINS5_IJN6thrust23THRUST_200600_302600_NS6detail15normal_iteratorINSC_10device_ptrIKtEEEESI_EEEEESK_NSA_INS5_IJNSE_INSF_ItEEEESM_EEEEEPS7_SP_SP_NSC_11hip_rocprim7__merge17predicate_wrapperIttNSC_4lessItEEEEEE10hipError_tPvRmT0_T1_T2_T3_T4_T5_mmT6_P12ihipStream_tbEUlT_E0_NS1_11comp_targetILNS1_3genE0ELNS1_11target_archE4294967295ELNS1_3gpuE0ELNS1_3repE0EEENS1_30default_config_static_selectorELNS0_4arch9wavefront6targetE0EEEvS10_, .Lfunc_end179-_ZN7rocprim17ROCPRIM_400000_NS6detail17trampoline_kernelINS0_14default_configENS1_21merge_config_selectorINS0_5tupleIJttEEENS0_10empty_typeEEEZNS1_10merge_implIS3_NS0_12zip_iteratorINS5_IJN6thrust23THRUST_200600_302600_NS6detail15normal_iteratorINSC_10device_ptrIKtEEEESI_EEEEESK_NSA_INS5_IJNSE_INSF_ItEEEESM_EEEEEPS7_SP_SP_NSC_11hip_rocprim7__merge17predicate_wrapperIttNSC_4lessItEEEEEE10hipError_tPvRmT0_T1_T2_T3_T4_T5_mmT6_P12ihipStream_tbEUlT_E0_NS1_11comp_targetILNS1_3genE0ELNS1_11target_archE4294967295ELNS1_3gpuE0ELNS1_3repE0EEENS1_30default_config_static_selectorELNS0_4arch9wavefront6targetE0EEEvS10_
                                        ; -- End function
	.set _ZN7rocprim17ROCPRIM_400000_NS6detail17trampoline_kernelINS0_14default_configENS1_21merge_config_selectorINS0_5tupleIJttEEENS0_10empty_typeEEEZNS1_10merge_implIS3_NS0_12zip_iteratorINS5_IJN6thrust23THRUST_200600_302600_NS6detail15normal_iteratorINSC_10device_ptrIKtEEEESI_EEEEESK_NSA_INS5_IJNSE_INSF_ItEEEESM_EEEEEPS7_SP_SP_NSC_11hip_rocprim7__merge17predicate_wrapperIttNSC_4lessItEEEEEE10hipError_tPvRmT0_T1_T2_T3_T4_T5_mmT6_P12ihipStream_tbEUlT_E0_NS1_11comp_targetILNS1_3genE0ELNS1_11target_archE4294967295ELNS1_3gpuE0ELNS1_3repE0EEENS1_30default_config_static_selectorELNS0_4arch9wavefront6targetE0EEEvS10_.num_vgpr, 0
	.set _ZN7rocprim17ROCPRIM_400000_NS6detail17trampoline_kernelINS0_14default_configENS1_21merge_config_selectorINS0_5tupleIJttEEENS0_10empty_typeEEEZNS1_10merge_implIS3_NS0_12zip_iteratorINS5_IJN6thrust23THRUST_200600_302600_NS6detail15normal_iteratorINSC_10device_ptrIKtEEEESI_EEEEESK_NSA_INS5_IJNSE_INSF_ItEEEESM_EEEEEPS7_SP_SP_NSC_11hip_rocprim7__merge17predicate_wrapperIttNSC_4lessItEEEEEE10hipError_tPvRmT0_T1_T2_T3_T4_T5_mmT6_P12ihipStream_tbEUlT_E0_NS1_11comp_targetILNS1_3genE0ELNS1_11target_archE4294967295ELNS1_3gpuE0ELNS1_3repE0EEENS1_30default_config_static_selectorELNS0_4arch9wavefront6targetE0EEEvS10_.num_agpr, 0
	.set _ZN7rocprim17ROCPRIM_400000_NS6detail17trampoline_kernelINS0_14default_configENS1_21merge_config_selectorINS0_5tupleIJttEEENS0_10empty_typeEEEZNS1_10merge_implIS3_NS0_12zip_iteratorINS5_IJN6thrust23THRUST_200600_302600_NS6detail15normal_iteratorINSC_10device_ptrIKtEEEESI_EEEEESK_NSA_INS5_IJNSE_INSF_ItEEEESM_EEEEEPS7_SP_SP_NSC_11hip_rocprim7__merge17predicate_wrapperIttNSC_4lessItEEEEEE10hipError_tPvRmT0_T1_T2_T3_T4_T5_mmT6_P12ihipStream_tbEUlT_E0_NS1_11comp_targetILNS1_3genE0ELNS1_11target_archE4294967295ELNS1_3gpuE0ELNS1_3repE0EEENS1_30default_config_static_selectorELNS0_4arch9wavefront6targetE0EEEvS10_.numbered_sgpr, 0
	.set _ZN7rocprim17ROCPRIM_400000_NS6detail17trampoline_kernelINS0_14default_configENS1_21merge_config_selectorINS0_5tupleIJttEEENS0_10empty_typeEEEZNS1_10merge_implIS3_NS0_12zip_iteratorINS5_IJN6thrust23THRUST_200600_302600_NS6detail15normal_iteratorINSC_10device_ptrIKtEEEESI_EEEEESK_NSA_INS5_IJNSE_INSF_ItEEEESM_EEEEEPS7_SP_SP_NSC_11hip_rocprim7__merge17predicate_wrapperIttNSC_4lessItEEEEEE10hipError_tPvRmT0_T1_T2_T3_T4_T5_mmT6_P12ihipStream_tbEUlT_E0_NS1_11comp_targetILNS1_3genE0ELNS1_11target_archE4294967295ELNS1_3gpuE0ELNS1_3repE0EEENS1_30default_config_static_selectorELNS0_4arch9wavefront6targetE0EEEvS10_.num_named_barrier, 0
	.set _ZN7rocprim17ROCPRIM_400000_NS6detail17trampoline_kernelINS0_14default_configENS1_21merge_config_selectorINS0_5tupleIJttEEENS0_10empty_typeEEEZNS1_10merge_implIS3_NS0_12zip_iteratorINS5_IJN6thrust23THRUST_200600_302600_NS6detail15normal_iteratorINSC_10device_ptrIKtEEEESI_EEEEESK_NSA_INS5_IJNSE_INSF_ItEEEESM_EEEEEPS7_SP_SP_NSC_11hip_rocprim7__merge17predicate_wrapperIttNSC_4lessItEEEEEE10hipError_tPvRmT0_T1_T2_T3_T4_T5_mmT6_P12ihipStream_tbEUlT_E0_NS1_11comp_targetILNS1_3genE0ELNS1_11target_archE4294967295ELNS1_3gpuE0ELNS1_3repE0EEENS1_30default_config_static_selectorELNS0_4arch9wavefront6targetE0EEEvS10_.private_seg_size, 0
	.set _ZN7rocprim17ROCPRIM_400000_NS6detail17trampoline_kernelINS0_14default_configENS1_21merge_config_selectorINS0_5tupleIJttEEENS0_10empty_typeEEEZNS1_10merge_implIS3_NS0_12zip_iteratorINS5_IJN6thrust23THRUST_200600_302600_NS6detail15normal_iteratorINSC_10device_ptrIKtEEEESI_EEEEESK_NSA_INS5_IJNSE_INSF_ItEEEESM_EEEEEPS7_SP_SP_NSC_11hip_rocprim7__merge17predicate_wrapperIttNSC_4lessItEEEEEE10hipError_tPvRmT0_T1_T2_T3_T4_T5_mmT6_P12ihipStream_tbEUlT_E0_NS1_11comp_targetILNS1_3genE0ELNS1_11target_archE4294967295ELNS1_3gpuE0ELNS1_3repE0EEENS1_30default_config_static_selectorELNS0_4arch9wavefront6targetE0EEEvS10_.uses_vcc, 0
	.set _ZN7rocprim17ROCPRIM_400000_NS6detail17trampoline_kernelINS0_14default_configENS1_21merge_config_selectorINS0_5tupleIJttEEENS0_10empty_typeEEEZNS1_10merge_implIS3_NS0_12zip_iteratorINS5_IJN6thrust23THRUST_200600_302600_NS6detail15normal_iteratorINSC_10device_ptrIKtEEEESI_EEEEESK_NSA_INS5_IJNSE_INSF_ItEEEESM_EEEEEPS7_SP_SP_NSC_11hip_rocprim7__merge17predicate_wrapperIttNSC_4lessItEEEEEE10hipError_tPvRmT0_T1_T2_T3_T4_T5_mmT6_P12ihipStream_tbEUlT_E0_NS1_11comp_targetILNS1_3genE0ELNS1_11target_archE4294967295ELNS1_3gpuE0ELNS1_3repE0EEENS1_30default_config_static_selectorELNS0_4arch9wavefront6targetE0EEEvS10_.uses_flat_scratch, 0
	.set _ZN7rocprim17ROCPRIM_400000_NS6detail17trampoline_kernelINS0_14default_configENS1_21merge_config_selectorINS0_5tupleIJttEEENS0_10empty_typeEEEZNS1_10merge_implIS3_NS0_12zip_iteratorINS5_IJN6thrust23THRUST_200600_302600_NS6detail15normal_iteratorINSC_10device_ptrIKtEEEESI_EEEEESK_NSA_INS5_IJNSE_INSF_ItEEEESM_EEEEEPS7_SP_SP_NSC_11hip_rocprim7__merge17predicate_wrapperIttNSC_4lessItEEEEEE10hipError_tPvRmT0_T1_T2_T3_T4_T5_mmT6_P12ihipStream_tbEUlT_E0_NS1_11comp_targetILNS1_3genE0ELNS1_11target_archE4294967295ELNS1_3gpuE0ELNS1_3repE0EEENS1_30default_config_static_selectorELNS0_4arch9wavefront6targetE0EEEvS10_.has_dyn_sized_stack, 0
	.set _ZN7rocprim17ROCPRIM_400000_NS6detail17trampoline_kernelINS0_14default_configENS1_21merge_config_selectorINS0_5tupleIJttEEENS0_10empty_typeEEEZNS1_10merge_implIS3_NS0_12zip_iteratorINS5_IJN6thrust23THRUST_200600_302600_NS6detail15normal_iteratorINSC_10device_ptrIKtEEEESI_EEEEESK_NSA_INS5_IJNSE_INSF_ItEEEESM_EEEEEPS7_SP_SP_NSC_11hip_rocprim7__merge17predicate_wrapperIttNSC_4lessItEEEEEE10hipError_tPvRmT0_T1_T2_T3_T4_T5_mmT6_P12ihipStream_tbEUlT_E0_NS1_11comp_targetILNS1_3genE0ELNS1_11target_archE4294967295ELNS1_3gpuE0ELNS1_3repE0EEENS1_30default_config_static_selectorELNS0_4arch9wavefront6targetE0EEEvS10_.has_recursion, 0
	.set _ZN7rocprim17ROCPRIM_400000_NS6detail17trampoline_kernelINS0_14default_configENS1_21merge_config_selectorINS0_5tupleIJttEEENS0_10empty_typeEEEZNS1_10merge_implIS3_NS0_12zip_iteratorINS5_IJN6thrust23THRUST_200600_302600_NS6detail15normal_iteratorINSC_10device_ptrIKtEEEESI_EEEEESK_NSA_INS5_IJNSE_INSF_ItEEEESM_EEEEEPS7_SP_SP_NSC_11hip_rocprim7__merge17predicate_wrapperIttNSC_4lessItEEEEEE10hipError_tPvRmT0_T1_T2_T3_T4_T5_mmT6_P12ihipStream_tbEUlT_E0_NS1_11comp_targetILNS1_3genE0ELNS1_11target_archE4294967295ELNS1_3gpuE0ELNS1_3repE0EEENS1_30default_config_static_selectorELNS0_4arch9wavefront6targetE0EEEvS10_.has_indirect_call, 0
	.section	.AMDGPU.csdata,"",@progbits
; Kernel info:
; codeLenInByte = 0
; TotalNumSgprs: 0
; NumVgprs: 0
; ScratchSize: 0
; MemoryBound: 0
; FloatMode: 240
; IeeeMode: 1
; LDSByteSize: 0 bytes/workgroup (compile time only)
; SGPRBlocks: 0
; VGPRBlocks: 0
; NumSGPRsForWavesPerEU: 1
; NumVGPRsForWavesPerEU: 1
; Occupancy: 16
; WaveLimiterHint : 0
; COMPUTE_PGM_RSRC2:SCRATCH_EN: 0
; COMPUTE_PGM_RSRC2:USER_SGPR: 6
; COMPUTE_PGM_RSRC2:TRAP_HANDLER: 0
; COMPUTE_PGM_RSRC2:TGID_X_EN: 1
; COMPUTE_PGM_RSRC2:TGID_Y_EN: 0
; COMPUTE_PGM_RSRC2:TGID_Z_EN: 0
; COMPUTE_PGM_RSRC2:TIDIG_COMP_CNT: 0
	.section	.text._ZN7rocprim17ROCPRIM_400000_NS6detail17trampoline_kernelINS0_14default_configENS1_21merge_config_selectorINS0_5tupleIJttEEENS0_10empty_typeEEEZNS1_10merge_implIS3_NS0_12zip_iteratorINS5_IJN6thrust23THRUST_200600_302600_NS6detail15normal_iteratorINSC_10device_ptrIKtEEEESI_EEEEESK_NSA_INS5_IJNSE_INSF_ItEEEESM_EEEEEPS7_SP_SP_NSC_11hip_rocprim7__merge17predicate_wrapperIttNSC_4lessItEEEEEE10hipError_tPvRmT0_T1_T2_T3_T4_T5_mmT6_P12ihipStream_tbEUlT_E0_NS1_11comp_targetILNS1_3genE5ELNS1_11target_archE942ELNS1_3gpuE9ELNS1_3repE0EEENS1_30default_config_static_selectorELNS0_4arch9wavefront6targetE0EEEvS10_,"axG",@progbits,_ZN7rocprim17ROCPRIM_400000_NS6detail17trampoline_kernelINS0_14default_configENS1_21merge_config_selectorINS0_5tupleIJttEEENS0_10empty_typeEEEZNS1_10merge_implIS3_NS0_12zip_iteratorINS5_IJN6thrust23THRUST_200600_302600_NS6detail15normal_iteratorINSC_10device_ptrIKtEEEESI_EEEEESK_NSA_INS5_IJNSE_INSF_ItEEEESM_EEEEEPS7_SP_SP_NSC_11hip_rocprim7__merge17predicate_wrapperIttNSC_4lessItEEEEEE10hipError_tPvRmT0_T1_T2_T3_T4_T5_mmT6_P12ihipStream_tbEUlT_E0_NS1_11comp_targetILNS1_3genE5ELNS1_11target_archE942ELNS1_3gpuE9ELNS1_3repE0EEENS1_30default_config_static_selectorELNS0_4arch9wavefront6targetE0EEEvS10_,comdat
	.protected	_ZN7rocprim17ROCPRIM_400000_NS6detail17trampoline_kernelINS0_14default_configENS1_21merge_config_selectorINS0_5tupleIJttEEENS0_10empty_typeEEEZNS1_10merge_implIS3_NS0_12zip_iteratorINS5_IJN6thrust23THRUST_200600_302600_NS6detail15normal_iteratorINSC_10device_ptrIKtEEEESI_EEEEESK_NSA_INS5_IJNSE_INSF_ItEEEESM_EEEEEPS7_SP_SP_NSC_11hip_rocprim7__merge17predicate_wrapperIttNSC_4lessItEEEEEE10hipError_tPvRmT0_T1_T2_T3_T4_T5_mmT6_P12ihipStream_tbEUlT_E0_NS1_11comp_targetILNS1_3genE5ELNS1_11target_archE942ELNS1_3gpuE9ELNS1_3repE0EEENS1_30default_config_static_selectorELNS0_4arch9wavefront6targetE0EEEvS10_ ; -- Begin function _ZN7rocprim17ROCPRIM_400000_NS6detail17trampoline_kernelINS0_14default_configENS1_21merge_config_selectorINS0_5tupleIJttEEENS0_10empty_typeEEEZNS1_10merge_implIS3_NS0_12zip_iteratorINS5_IJN6thrust23THRUST_200600_302600_NS6detail15normal_iteratorINSC_10device_ptrIKtEEEESI_EEEEESK_NSA_INS5_IJNSE_INSF_ItEEEESM_EEEEEPS7_SP_SP_NSC_11hip_rocprim7__merge17predicate_wrapperIttNSC_4lessItEEEEEE10hipError_tPvRmT0_T1_T2_T3_T4_T5_mmT6_P12ihipStream_tbEUlT_E0_NS1_11comp_targetILNS1_3genE5ELNS1_11target_archE942ELNS1_3gpuE9ELNS1_3repE0EEENS1_30default_config_static_selectorELNS0_4arch9wavefront6targetE0EEEvS10_
	.globl	_ZN7rocprim17ROCPRIM_400000_NS6detail17trampoline_kernelINS0_14default_configENS1_21merge_config_selectorINS0_5tupleIJttEEENS0_10empty_typeEEEZNS1_10merge_implIS3_NS0_12zip_iteratorINS5_IJN6thrust23THRUST_200600_302600_NS6detail15normal_iteratorINSC_10device_ptrIKtEEEESI_EEEEESK_NSA_INS5_IJNSE_INSF_ItEEEESM_EEEEEPS7_SP_SP_NSC_11hip_rocprim7__merge17predicate_wrapperIttNSC_4lessItEEEEEE10hipError_tPvRmT0_T1_T2_T3_T4_T5_mmT6_P12ihipStream_tbEUlT_E0_NS1_11comp_targetILNS1_3genE5ELNS1_11target_archE942ELNS1_3gpuE9ELNS1_3repE0EEENS1_30default_config_static_selectorELNS0_4arch9wavefront6targetE0EEEvS10_
	.p2align	8
	.type	_ZN7rocprim17ROCPRIM_400000_NS6detail17trampoline_kernelINS0_14default_configENS1_21merge_config_selectorINS0_5tupleIJttEEENS0_10empty_typeEEEZNS1_10merge_implIS3_NS0_12zip_iteratorINS5_IJN6thrust23THRUST_200600_302600_NS6detail15normal_iteratorINSC_10device_ptrIKtEEEESI_EEEEESK_NSA_INS5_IJNSE_INSF_ItEEEESM_EEEEEPS7_SP_SP_NSC_11hip_rocprim7__merge17predicate_wrapperIttNSC_4lessItEEEEEE10hipError_tPvRmT0_T1_T2_T3_T4_T5_mmT6_P12ihipStream_tbEUlT_E0_NS1_11comp_targetILNS1_3genE5ELNS1_11target_archE942ELNS1_3gpuE9ELNS1_3repE0EEENS1_30default_config_static_selectorELNS0_4arch9wavefront6targetE0EEEvS10_,@function
_ZN7rocprim17ROCPRIM_400000_NS6detail17trampoline_kernelINS0_14default_configENS1_21merge_config_selectorINS0_5tupleIJttEEENS0_10empty_typeEEEZNS1_10merge_implIS3_NS0_12zip_iteratorINS5_IJN6thrust23THRUST_200600_302600_NS6detail15normal_iteratorINSC_10device_ptrIKtEEEESI_EEEEESK_NSA_INS5_IJNSE_INSF_ItEEEESM_EEEEEPS7_SP_SP_NSC_11hip_rocprim7__merge17predicate_wrapperIttNSC_4lessItEEEEEE10hipError_tPvRmT0_T1_T2_T3_T4_T5_mmT6_P12ihipStream_tbEUlT_E0_NS1_11comp_targetILNS1_3genE5ELNS1_11target_archE942ELNS1_3gpuE9ELNS1_3repE0EEENS1_30default_config_static_selectorELNS0_4arch9wavefront6targetE0EEEvS10_: ; @_ZN7rocprim17ROCPRIM_400000_NS6detail17trampoline_kernelINS0_14default_configENS1_21merge_config_selectorINS0_5tupleIJttEEENS0_10empty_typeEEEZNS1_10merge_implIS3_NS0_12zip_iteratorINS5_IJN6thrust23THRUST_200600_302600_NS6detail15normal_iteratorINSC_10device_ptrIKtEEEESI_EEEEESK_NSA_INS5_IJNSE_INSF_ItEEEESM_EEEEEPS7_SP_SP_NSC_11hip_rocprim7__merge17predicate_wrapperIttNSC_4lessItEEEEEE10hipError_tPvRmT0_T1_T2_T3_T4_T5_mmT6_P12ihipStream_tbEUlT_E0_NS1_11comp_targetILNS1_3genE5ELNS1_11target_archE942ELNS1_3gpuE9ELNS1_3repE0EEENS1_30default_config_static_selectorELNS0_4arch9wavefront6targetE0EEEvS10_
; %bb.0:
	.section	.rodata,"a",@progbits
	.p2align	6, 0x0
	.amdhsa_kernel _ZN7rocprim17ROCPRIM_400000_NS6detail17trampoline_kernelINS0_14default_configENS1_21merge_config_selectorINS0_5tupleIJttEEENS0_10empty_typeEEEZNS1_10merge_implIS3_NS0_12zip_iteratorINS5_IJN6thrust23THRUST_200600_302600_NS6detail15normal_iteratorINSC_10device_ptrIKtEEEESI_EEEEESK_NSA_INS5_IJNSE_INSF_ItEEEESM_EEEEEPS7_SP_SP_NSC_11hip_rocprim7__merge17predicate_wrapperIttNSC_4lessItEEEEEE10hipError_tPvRmT0_T1_T2_T3_T4_T5_mmT6_P12ihipStream_tbEUlT_E0_NS1_11comp_targetILNS1_3genE5ELNS1_11target_archE942ELNS1_3gpuE9ELNS1_3repE0EEENS1_30default_config_static_selectorELNS0_4arch9wavefront6targetE0EEEvS10_
		.amdhsa_group_segment_fixed_size 0
		.amdhsa_private_segment_fixed_size 0
		.amdhsa_kernarg_size 112
		.amdhsa_user_sgpr_count 6
		.amdhsa_user_sgpr_private_segment_buffer 1
		.amdhsa_user_sgpr_dispatch_ptr 0
		.amdhsa_user_sgpr_queue_ptr 0
		.amdhsa_user_sgpr_kernarg_segment_ptr 1
		.amdhsa_user_sgpr_dispatch_id 0
		.amdhsa_user_sgpr_flat_scratch_init 0
		.amdhsa_user_sgpr_private_segment_size 0
		.amdhsa_wavefront_size32 1
		.amdhsa_uses_dynamic_stack 0
		.amdhsa_system_sgpr_private_segment_wavefront_offset 0
		.amdhsa_system_sgpr_workgroup_id_x 1
		.amdhsa_system_sgpr_workgroup_id_y 0
		.amdhsa_system_sgpr_workgroup_id_z 0
		.amdhsa_system_sgpr_workgroup_info 0
		.amdhsa_system_vgpr_workitem_id 0
		.amdhsa_next_free_vgpr 1
		.amdhsa_next_free_sgpr 1
		.amdhsa_reserve_vcc 0
		.amdhsa_reserve_flat_scratch 0
		.amdhsa_float_round_mode_32 0
		.amdhsa_float_round_mode_16_64 0
		.amdhsa_float_denorm_mode_32 3
		.amdhsa_float_denorm_mode_16_64 3
		.amdhsa_dx10_clamp 1
		.amdhsa_ieee_mode 1
		.amdhsa_fp16_overflow 0
		.amdhsa_workgroup_processor_mode 1
		.amdhsa_memory_ordered 1
		.amdhsa_forward_progress 1
		.amdhsa_shared_vgpr_count 0
		.amdhsa_exception_fp_ieee_invalid_op 0
		.amdhsa_exception_fp_denorm_src 0
		.amdhsa_exception_fp_ieee_div_zero 0
		.amdhsa_exception_fp_ieee_overflow 0
		.amdhsa_exception_fp_ieee_underflow 0
		.amdhsa_exception_fp_ieee_inexact 0
		.amdhsa_exception_int_div_zero 0
	.end_amdhsa_kernel
	.section	.text._ZN7rocprim17ROCPRIM_400000_NS6detail17trampoline_kernelINS0_14default_configENS1_21merge_config_selectorINS0_5tupleIJttEEENS0_10empty_typeEEEZNS1_10merge_implIS3_NS0_12zip_iteratorINS5_IJN6thrust23THRUST_200600_302600_NS6detail15normal_iteratorINSC_10device_ptrIKtEEEESI_EEEEESK_NSA_INS5_IJNSE_INSF_ItEEEESM_EEEEEPS7_SP_SP_NSC_11hip_rocprim7__merge17predicate_wrapperIttNSC_4lessItEEEEEE10hipError_tPvRmT0_T1_T2_T3_T4_T5_mmT6_P12ihipStream_tbEUlT_E0_NS1_11comp_targetILNS1_3genE5ELNS1_11target_archE942ELNS1_3gpuE9ELNS1_3repE0EEENS1_30default_config_static_selectorELNS0_4arch9wavefront6targetE0EEEvS10_,"axG",@progbits,_ZN7rocprim17ROCPRIM_400000_NS6detail17trampoline_kernelINS0_14default_configENS1_21merge_config_selectorINS0_5tupleIJttEEENS0_10empty_typeEEEZNS1_10merge_implIS3_NS0_12zip_iteratorINS5_IJN6thrust23THRUST_200600_302600_NS6detail15normal_iteratorINSC_10device_ptrIKtEEEESI_EEEEESK_NSA_INS5_IJNSE_INSF_ItEEEESM_EEEEEPS7_SP_SP_NSC_11hip_rocprim7__merge17predicate_wrapperIttNSC_4lessItEEEEEE10hipError_tPvRmT0_T1_T2_T3_T4_T5_mmT6_P12ihipStream_tbEUlT_E0_NS1_11comp_targetILNS1_3genE5ELNS1_11target_archE942ELNS1_3gpuE9ELNS1_3repE0EEENS1_30default_config_static_selectorELNS0_4arch9wavefront6targetE0EEEvS10_,comdat
.Lfunc_end180:
	.size	_ZN7rocprim17ROCPRIM_400000_NS6detail17trampoline_kernelINS0_14default_configENS1_21merge_config_selectorINS0_5tupleIJttEEENS0_10empty_typeEEEZNS1_10merge_implIS3_NS0_12zip_iteratorINS5_IJN6thrust23THRUST_200600_302600_NS6detail15normal_iteratorINSC_10device_ptrIKtEEEESI_EEEEESK_NSA_INS5_IJNSE_INSF_ItEEEESM_EEEEEPS7_SP_SP_NSC_11hip_rocprim7__merge17predicate_wrapperIttNSC_4lessItEEEEEE10hipError_tPvRmT0_T1_T2_T3_T4_T5_mmT6_P12ihipStream_tbEUlT_E0_NS1_11comp_targetILNS1_3genE5ELNS1_11target_archE942ELNS1_3gpuE9ELNS1_3repE0EEENS1_30default_config_static_selectorELNS0_4arch9wavefront6targetE0EEEvS10_, .Lfunc_end180-_ZN7rocprim17ROCPRIM_400000_NS6detail17trampoline_kernelINS0_14default_configENS1_21merge_config_selectorINS0_5tupleIJttEEENS0_10empty_typeEEEZNS1_10merge_implIS3_NS0_12zip_iteratorINS5_IJN6thrust23THRUST_200600_302600_NS6detail15normal_iteratorINSC_10device_ptrIKtEEEESI_EEEEESK_NSA_INS5_IJNSE_INSF_ItEEEESM_EEEEEPS7_SP_SP_NSC_11hip_rocprim7__merge17predicate_wrapperIttNSC_4lessItEEEEEE10hipError_tPvRmT0_T1_T2_T3_T4_T5_mmT6_P12ihipStream_tbEUlT_E0_NS1_11comp_targetILNS1_3genE5ELNS1_11target_archE942ELNS1_3gpuE9ELNS1_3repE0EEENS1_30default_config_static_selectorELNS0_4arch9wavefront6targetE0EEEvS10_
                                        ; -- End function
	.set _ZN7rocprim17ROCPRIM_400000_NS6detail17trampoline_kernelINS0_14default_configENS1_21merge_config_selectorINS0_5tupleIJttEEENS0_10empty_typeEEEZNS1_10merge_implIS3_NS0_12zip_iteratorINS5_IJN6thrust23THRUST_200600_302600_NS6detail15normal_iteratorINSC_10device_ptrIKtEEEESI_EEEEESK_NSA_INS5_IJNSE_INSF_ItEEEESM_EEEEEPS7_SP_SP_NSC_11hip_rocprim7__merge17predicate_wrapperIttNSC_4lessItEEEEEE10hipError_tPvRmT0_T1_T2_T3_T4_T5_mmT6_P12ihipStream_tbEUlT_E0_NS1_11comp_targetILNS1_3genE5ELNS1_11target_archE942ELNS1_3gpuE9ELNS1_3repE0EEENS1_30default_config_static_selectorELNS0_4arch9wavefront6targetE0EEEvS10_.num_vgpr, 0
	.set _ZN7rocprim17ROCPRIM_400000_NS6detail17trampoline_kernelINS0_14default_configENS1_21merge_config_selectorINS0_5tupleIJttEEENS0_10empty_typeEEEZNS1_10merge_implIS3_NS0_12zip_iteratorINS5_IJN6thrust23THRUST_200600_302600_NS6detail15normal_iteratorINSC_10device_ptrIKtEEEESI_EEEEESK_NSA_INS5_IJNSE_INSF_ItEEEESM_EEEEEPS7_SP_SP_NSC_11hip_rocprim7__merge17predicate_wrapperIttNSC_4lessItEEEEEE10hipError_tPvRmT0_T1_T2_T3_T4_T5_mmT6_P12ihipStream_tbEUlT_E0_NS1_11comp_targetILNS1_3genE5ELNS1_11target_archE942ELNS1_3gpuE9ELNS1_3repE0EEENS1_30default_config_static_selectorELNS0_4arch9wavefront6targetE0EEEvS10_.num_agpr, 0
	.set _ZN7rocprim17ROCPRIM_400000_NS6detail17trampoline_kernelINS0_14default_configENS1_21merge_config_selectorINS0_5tupleIJttEEENS0_10empty_typeEEEZNS1_10merge_implIS3_NS0_12zip_iteratorINS5_IJN6thrust23THRUST_200600_302600_NS6detail15normal_iteratorINSC_10device_ptrIKtEEEESI_EEEEESK_NSA_INS5_IJNSE_INSF_ItEEEESM_EEEEEPS7_SP_SP_NSC_11hip_rocprim7__merge17predicate_wrapperIttNSC_4lessItEEEEEE10hipError_tPvRmT0_T1_T2_T3_T4_T5_mmT6_P12ihipStream_tbEUlT_E0_NS1_11comp_targetILNS1_3genE5ELNS1_11target_archE942ELNS1_3gpuE9ELNS1_3repE0EEENS1_30default_config_static_selectorELNS0_4arch9wavefront6targetE0EEEvS10_.numbered_sgpr, 0
	.set _ZN7rocprim17ROCPRIM_400000_NS6detail17trampoline_kernelINS0_14default_configENS1_21merge_config_selectorINS0_5tupleIJttEEENS0_10empty_typeEEEZNS1_10merge_implIS3_NS0_12zip_iteratorINS5_IJN6thrust23THRUST_200600_302600_NS6detail15normal_iteratorINSC_10device_ptrIKtEEEESI_EEEEESK_NSA_INS5_IJNSE_INSF_ItEEEESM_EEEEEPS7_SP_SP_NSC_11hip_rocprim7__merge17predicate_wrapperIttNSC_4lessItEEEEEE10hipError_tPvRmT0_T1_T2_T3_T4_T5_mmT6_P12ihipStream_tbEUlT_E0_NS1_11comp_targetILNS1_3genE5ELNS1_11target_archE942ELNS1_3gpuE9ELNS1_3repE0EEENS1_30default_config_static_selectorELNS0_4arch9wavefront6targetE0EEEvS10_.num_named_barrier, 0
	.set _ZN7rocprim17ROCPRIM_400000_NS6detail17trampoline_kernelINS0_14default_configENS1_21merge_config_selectorINS0_5tupleIJttEEENS0_10empty_typeEEEZNS1_10merge_implIS3_NS0_12zip_iteratorINS5_IJN6thrust23THRUST_200600_302600_NS6detail15normal_iteratorINSC_10device_ptrIKtEEEESI_EEEEESK_NSA_INS5_IJNSE_INSF_ItEEEESM_EEEEEPS7_SP_SP_NSC_11hip_rocprim7__merge17predicate_wrapperIttNSC_4lessItEEEEEE10hipError_tPvRmT0_T1_T2_T3_T4_T5_mmT6_P12ihipStream_tbEUlT_E0_NS1_11comp_targetILNS1_3genE5ELNS1_11target_archE942ELNS1_3gpuE9ELNS1_3repE0EEENS1_30default_config_static_selectorELNS0_4arch9wavefront6targetE0EEEvS10_.private_seg_size, 0
	.set _ZN7rocprim17ROCPRIM_400000_NS6detail17trampoline_kernelINS0_14default_configENS1_21merge_config_selectorINS0_5tupleIJttEEENS0_10empty_typeEEEZNS1_10merge_implIS3_NS0_12zip_iteratorINS5_IJN6thrust23THRUST_200600_302600_NS6detail15normal_iteratorINSC_10device_ptrIKtEEEESI_EEEEESK_NSA_INS5_IJNSE_INSF_ItEEEESM_EEEEEPS7_SP_SP_NSC_11hip_rocprim7__merge17predicate_wrapperIttNSC_4lessItEEEEEE10hipError_tPvRmT0_T1_T2_T3_T4_T5_mmT6_P12ihipStream_tbEUlT_E0_NS1_11comp_targetILNS1_3genE5ELNS1_11target_archE942ELNS1_3gpuE9ELNS1_3repE0EEENS1_30default_config_static_selectorELNS0_4arch9wavefront6targetE0EEEvS10_.uses_vcc, 0
	.set _ZN7rocprim17ROCPRIM_400000_NS6detail17trampoline_kernelINS0_14default_configENS1_21merge_config_selectorINS0_5tupleIJttEEENS0_10empty_typeEEEZNS1_10merge_implIS3_NS0_12zip_iteratorINS5_IJN6thrust23THRUST_200600_302600_NS6detail15normal_iteratorINSC_10device_ptrIKtEEEESI_EEEEESK_NSA_INS5_IJNSE_INSF_ItEEEESM_EEEEEPS7_SP_SP_NSC_11hip_rocprim7__merge17predicate_wrapperIttNSC_4lessItEEEEEE10hipError_tPvRmT0_T1_T2_T3_T4_T5_mmT6_P12ihipStream_tbEUlT_E0_NS1_11comp_targetILNS1_3genE5ELNS1_11target_archE942ELNS1_3gpuE9ELNS1_3repE0EEENS1_30default_config_static_selectorELNS0_4arch9wavefront6targetE0EEEvS10_.uses_flat_scratch, 0
	.set _ZN7rocprim17ROCPRIM_400000_NS6detail17trampoline_kernelINS0_14default_configENS1_21merge_config_selectorINS0_5tupleIJttEEENS0_10empty_typeEEEZNS1_10merge_implIS3_NS0_12zip_iteratorINS5_IJN6thrust23THRUST_200600_302600_NS6detail15normal_iteratorINSC_10device_ptrIKtEEEESI_EEEEESK_NSA_INS5_IJNSE_INSF_ItEEEESM_EEEEEPS7_SP_SP_NSC_11hip_rocprim7__merge17predicate_wrapperIttNSC_4lessItEEEEEE10hipError_tPvRmT0_T1_T2_T3_T4_T5_mmT6_P12ihipStream_tbEUlT_E0_NS1_11comp_targetILNS1_3genE5ELNS1_11target_archE942ELNS1_3gpuE9ELNS1_3repE0EEENS1_30default_config_static_selectorELNS0_4arch9wavefront6targetE0EEEvS10_.has_dyn_sized_stack, 0
	.set _ZN7rocprim17ROCPRIM_400000_NS6detail17trampoline_kernelINS0_14default_configENS1_21merge_config_selectorINS0_5tupleIJttEEENS0_10empty_typeEEEZNS1_10merge_implIS3_NS0_12zip_iteratorINS5_IJN6thrust23THRUST_200600_302600_NS6detail15normal_iteratorINSC_10device_ptrIKtEEEESI_EEEEESK_NSA_INS5_IJNSE_INSF_ItEEEESM_EEEEEPS7_SP_SP_NSC_11hip_rocprim7__merge17predicate_wrapperIttNSC_4lessItEEEEEE10hipError_tPvRmT0_T1_T2_T3_T4_T5_mmT6_P12ihipStream_tbEUlT_E0_NS1_11comp_targetILNS1_3genE5ELNS1_11target_archE942ELNS1_3gpuE9ELNS1_3repE0EEENS1_30default_config_static_selectorELNS0_4arch9wavefront6targetE0EEEvS10_.has_recursion, 0
	.set _ZN7rocprim17ROCPRIM_400000_NS6detail17trampoline_kernelINS0_14default_configENS1_21merge_config_selectorINS0_5tupleIJttEEENS0_10empty_typeEEEZNS1_10merge_implIS3_NS0_12zip_iteratorINS5_IJN6thrust23THRUST_200600_302600_NS6detail15normal_iteratorINSC_10device_ptrIKtEEEESI_EEEEESK_NSA_INS5_IJNSE_INSF_ItEEEESM_EEEEEPS7_SP_SP_NSC_11hip_rocprim7__merge17predicate_wrapperIttNSC_4lessItEEEEEE10hipError_tPvRmT0_T1_T2_T3_T4_T5_mmT6_P12ihipStream_tbEUlT_E0_NS1_11comp_targetILNS1_3genE5ELNS1_11target_archE942ELNS1_3gpuE9ELNS1_3repE0EEENS1_30default_config_static_selectorELNS0_4arch9wavefront6targetE0EEEvS10_.has_indirect_call, 0
	.section	.AMDGPU.csdata,"",@progbits
; Kernel info:
; codeLenInByte = 0
; TotalNumSgprs: 0
; NumVgprs: 0
; ScratchSize: 0
; MemoryBound: 0
; FloatMode: 240
; IeeeMode: 1
; LDSByteSize: 0 bytes/workgroup (compile time only)
; SGPRBlocks: 0
; VGPRBlocks: 0
; NumSGPRsForWavesPerEU: 1
; NumVGPRsForWavesPerEU: 1
; Occupancy: 16
; WaveLimiterHint : 0
; COMPUTE_PGM_RSRC2:SCRATCH_EN: 0
; COMPUTE_PGM_RSRC2:USER_SGPR: 6
; COMPUTE_PGM_RSRC2:TRAP_HANDLER: 0
; COMPUTE_PGM_RSRC2:TGID_X_EN: 1
; COMPUTE_PGM_RSRC2:TGID_Y_EN: 0
; COMPUTE_PGM_RSRC2:TGID_Z_EN: 0
; COMPUTE_PGM_RSRC2:TIDIG_COMP_CNT: 0
	.section	.text._ZN7rocprim17ROCPRIM_400000_NS6detail17trampoline_kernelINS0_14default_configENS1_21merge_config_selectorINS0_5tupleIJttEEENS0_10empty_typeEEEZNS1_10merge_implIS3_NS0_12zip_iteratorINS5_IJN6thrust23THRUST_200600_302600_NS6detail15normal_iteratorINSC_10device_ptrIKtEEEESI_EEEEESK_NSA_INS5_IJNSE_INSF_ItEEEESM_EEEEEPS7_SP_SP_NSC_11hip_rocprim7__merge17predicate_wrapperIttNSC_4lessItEEEEEE10hipError_tPvRmT0_T1_T2_T3_T4_T5_mmT6_P12ihipStream_tbEUlT_E0_NS1_11comp_targetILNS1_3genE4ELNS1_11target_archE910ELNS1_3gpuE8ELNS1_3repE0EEENS1_30default_config_static_selectorELNS0_4arch9wavefront6targetE0EEEvS10_,"axG",@progbits,_ZN7rocprim17ROCPRIM_400000_NS6detail17trampoline_kernelINS0_14default_configENS1_21merge_config_selectorINS0_5tupleIJttEEENS0_10empty_typeEEEZNS1_10merge_implIS3_NS0_12zip_iteratorINS5_IJN6thrust23THRUST_200600_302600_NS6detail15normal_iteratorINSC_10device_ptrIKtEEEESI_EEEEESK_NSA_INS5_IJNSE_INSF_ItEEEESM_EEEEEPS7_SP_SP_NSC_11hip_rocprim7__merge17predicate_wrapperIttNSC_4lessItEEEEEE10hipError_tPvRmT0_T1_T2_T3_T4_T5_mmT6_P12ihipStream_tbEUlT_E0_NS1_11comp_targetILNS1_3genE4ELNS1_11target_archE910ELNS1_3gpuE8ELNS1_3repE0EEENS1_30default_config_static_selectorELNS0_4arch9wavefront6targetE0EEEvS10_,comdat
	.protected	_ZN7rocprim17ROCPRIM_400000_NS6detail17trampoline_kernelINS0_14default_configENS1_21merge_config_selectorINS0_5tupleIJttEEENS0_10empty_typeEEEZNS1_10merge_implIS3_NS0_12zip_iteratorINS5_IJN6thrust23THRUST_200600_302600_NS6detail15normal_iteratorINSC_10device_ptrIKtEEEESI_EEEEESK_NSA_INS5_IJNSE_INSF_ItEEEESM_EEEEEPS7_SP_SP_NSC_11hip_rocprim7__merge17predicate_wrapperIttNSC_4lessItEEEEEE10hipError_tPvRmT0_T1_T2_T3_T4_T5_mmT6_P12ihipStream_tbEUlT_E0_NS1_11comp_targetILNS1_3genE4ELNS1_11target_archE910ELNS1_3gpuE8ELNS1_3repE0EEENS1_30default_config_static_selectorELNS0_4arch9wavefront6targetE0EEEvS10_ ; -- Begin function _ZN7rocprim17ROCPRIM_400000_NS6detail17trampoline_kernelINS0_14default_configENS1_21merge_config_selectorINS0_5tupleIJttEEENS0_10empty_typeEEEZNS1_10merge_implIS3_NS0_12zip_iteratorINS5_IJN6thrust23THRUST_200600_302600_NS6detail15normal_iteratorINSC_10device_ptrIKtEEEESI_EEEEESK_NSA_INS5_IJNSE_INSF_ItEEEESM_EEEEEPS7_SP_SP_NSC_11hip_rocprim7__merge17predicate_wrapperIttNSC_4lessItEEEEEE10hipError_tPvRmT0_T1_T2_T3_T4_T5_mmT6_P12ihipStream_tbEUlT_E0_NS1_11comp_targetILNS1_3genE4ELNS1_11target_archE910ELNS1_3gpuE8ELNS1_3repE0EEENS1_30default_config_static_selectorELNS0_4arch9wavefront6targetE0EEEvS10_
	.globl	_ZN7rocprim17ROCPRIM_400000_NS6detail17trampoline_kernelINS0_14default_configENS1_21merge_config_selectorINS0_5tupleIJttEEENS0_10empty_typeEEEZNS1_10merge_implIS3_NS0_12zip_iteratorINS5_IJN6thrust23THRUST_200600_302600_NS6detail15normal_iteratorINSC_10device_ptrIKtEEEESI_EEEEESK_NSA_INS5_IJNSE_INSF_ItEEEESM_EEEEEPS7_SP_SP_NSC_11hip_rocprim7__merge17predicate_wrapperIttNSC_4lessItEEEEEE10hipError_tPvRmT0_T1_T2_T3_T4_T5_mmT6_P12ihipStream_tbEUlT_E0_NS1_11comp_targetILNS1_3genE4ELNS1_11target_archE910ELNS1_3gpuE8ELNS1_3repE0EEENS1_30default_config_static_selectorELNS0_4arch9wavefront6targetE0EEEvS10_
	.p2align	8
	.type	_ZN7rocprim17ROCPRIM_400000_NS6detail17trampoline_kernelINS0_14default_configENS1_21merge_config_selectorINS0_5tupleIJttEEENS0_10empty_typeEEEZNS1_10merge_implIS3_NS0_12zip_iteratorINS5_IJN6thrust23THRUST_200600_302600_NS6detail15normal_iteratorINSC_10device_ptrIKtEEEESI_EEEEESK_NSA_INS5_IJNSE_INSF_ItEEEESM_EEEEEPS7_SP_SP_NSC_11hip_rocprim7__merge17predicate_wrapperIttNSC_4lessItEEEEEE10hipError_tPvRmT0_T1_T2_T3_T4_T5_mmT6_P12ihipStream_tbEUlT_E0_NS1_11comp_targetILNS1_3genE4ELNS1_11target_archE910ELNS1_3gpuE8ELNS1_3repE0EEENS1_30default_config_static_selectorELNS0_4arch9wavefront6targetE0EEEvS10_,@function
_ZN7rocprim17ROCPRIM_400000_NS6detail17trampoline_kernelINS0_14default_configENS1_21merge_config_selectorINS0_5tupleIJttEEENS0_10empty_typeEEEZNS1_10merge_implIS3_NS0_12zip_iteratorINS5_IJN6thrust23THRUST_200600_302600_NS6detail15normal_iteratorINSC_10device_ptrIKtEEEESI_EEEEESK_NSA_INS5_IJNSE_INSF_ItEEEESM_EEEEEPS7_SP_SP_NSC_11hip_rocprim7__merge17predicate_wrapperIttNSC_4lessItEEEEEE10hipError_tPvRmT0_T1_T2_T3_T4_T5_mmT6_P12ihipStream_tbEUlT_E0_NS1_11comp_targetILNS1_3genE4ELNS1_11target_archE910ELNS1_3gpuE8ELNS1_3repE0EEENS1_30default_config_static_selectorELNS0_4arch9wavefront6targetE0EEEvS10_: ; @_ZN7rocprim17ROCPRIM_400000_NS6detail17trampoline_kernelINS0_14default_configENS1_21merge_config_selectorINS0_5tupleIJttEEENS0_10empty_typeEEEZNS1_10merge_implIS3_NS0_12zip_iteratorINS5_IJN6thrust23THRUST_200600_302600_NS6detail15normal_iteratorINSC_10device_ptrIKtEEEESI_EEEEESK_NSA_INS5_IJNSE_INSF_ItEEEESM_EEEEEPS7_SP_SP_NSC_11hip_rocprim7__merge17predicate_wrapperIttNSC_4lessItEEEEEE10hipError_tPvRmT0_T1_T2_T3_T4_T5_mmT6_P12ihipStream_tbEUlT_E0_NS1_11comp_targetILNS1_3genE4ELNS1_11target_archE910ELNS1_3gpuE8ELNS1_3repE0EEENS1_30default_config_static_selectorELNS0_4arch9wavefront6targetE0EEEvS10_
; %bb.0:
	.section	.rodata,"a",@progbits
	.p2align	6, 0x0
	.amdhsa_kernel _ZN7rocprim17ROCPRIM_400000_NS6detail17trampoline_kernelINS0_14default_configENS1_21merge_config_selectorINS0_5tupleIJttEEENS0_10empty_typeEEEZNS1_10merge_implIS3_NS0_12zip_iteratorINS5_IJN6thrust23THRUST_200600_302600_NS6detail15normal_iteratorINSC_10device_ptrIKtEEEESI_EEEEESK_NSA_INS5_IJNSE_INSF_ItEEEESM_EEEEEPS7_SP_SP_NSC_11hip_rocprim7__merge17predicate_wrapperIttNSC_4lessItEEEEEE10hipError_tPvRmT0_T1_T2_T3_T4_T5_mmT6_P12ihipStream_tbEUlT_E0_NS1_11comp_targetILNS1_3genE4ELNS1_11target_archE910ELNS1_3gpuE8ELNS1_3repE0EEENS1_30default_config_static_selectorELNS0_4arch9wavefront6targetE0EEEvS10_
		.amdhsa_group_segment_fixed_size 0
		.amdhsa_private_segment_fixed_size 0
		.amdhsa_kernarg_size 112
		.amdhsa_user_sgpr_count 6
		.amdhsa_user_sgpr_private_segment_buffer 1
		.amdhsa_user_sgpr_dispatch_ptr 0
		.amdhsa_user_sgpr_queue_ptr 0
		.amdhsa_user_sgpr_kernarg_segment_ptr 1
		.amdhsa_user_sgpr_dispatch_id 0
		.amdhsa_user_sgpr_flat_scratch_init 0
		.amdhsa_user_sgpr_private_segment_size 0
		.amdhsa_wavefront_size32 1
		.amdhsa_uses_dynamic_stack 0
		.amdhsa_system_sgpr_private_segment_wavefront_offset 0
		.amdhsa_system_sgpr_workgroup_id_x 1
		.amdhsa_system_sgpr_workgroup_id_y 0
		.amdhsa_system_sgpr_workgroup_id_z 0
		.amdhsa_system_sgpr_workgroup_info 0
		.amdhsa_system_vgpr_workitem_id 0
		.amdhsa_next_free_vgpr 1
		.amdhsa_next_free_sgpr 1
		.amdhsa_reserve_vcc 0
		.amdhsa_reserve_flat_scratch 0
		.amdhsa_float_round_mode_32 0
		.amdhsa_float_round_mode_16_64 0
		.amdhsa_float_denorm_mode_32 3
		.amdhsa_float_denorm_mode_16_64 3
		.amdhsa_dx10_clamp 1
		.amdhsa_ieee_mode 1
		.amdhsa_fp16_overflow 0
		.amdhsa_workgroup_processor_mode 1
		.amdhsa_memory_ordered 1
		.amdhsa_forward_progress 1
		.amdhsa_shared_vgpr_count 0
		.amdhsa_exception_fp_ieee_invalid_op 0
		.amdhsa_exception_fp_denorm_src 0
		.amdhsa_exception_fp_ieee_div_zero 0
		.amdhsa_exception_fp_ieee_overflow 0
		.amdhsa_exception_fp_ieee_underflow 0
		.amdhsa_exception_fp_ieee_inexact 0
		.amdhsa_exception_int_div_zero 0
	.end_amdhsa_kernel
	.section	.text._ZN7rocprim17ROCPRIM_400000_NS6detail17trampoline_kernelINS0_14default_configENS1_21merge_config_selectorINS0_5tupleIJttEEENS0_10empty_typeEEEZNS1_10merge_implIS3_NS0_12zip_iteratorINS5_IJN6thrust23THRUST_200600_302600_NS6detail15normal_iteratorINSC_10device_ptrIKtEEEESI_EEEEESK_NSA_INS5_IJNSE_INSF_ItEEEESM_EEEEEPS7_SP_SP_NSC_11hip_rocprim7__merge17predicate_wrapperIttNSC_4lessItEEEEEE10hipError_tPvRmT0_T1_T2_T3_T4_T5_mmT6_P12ihipStream_tbEUlT_E0_NS1_11comp_targetILNS1_3genE4ELNS1_11target_archE910ELNS1_3gpuE8ELNS1_3repE0EEENS1_30default_config_static_selectorELNS0_4arch9wavefront6targetE0EEEvS10_,"axG",@progbits,_ZN7rocprim17ROCPRIM_400000_NS6detail17trampoline_kernelINS0_14default_configENS1_21merge_config_selectorINS0_5tupleIJttEEENS0_10empty_typeEEEZNS1_10merge_implIS3_NS0_12zip_iteratorINS5_IJN6thrust23THRUST_200600_302600_NS6detail15normal_iteratorINSC_10device_ptrIKtEEEESI_EEEEESK_NSA_INS5_IJNSE_INSF_ItEEEESM_EEEEEPS7_SP_SP_NSC_11hip_rocprim7__merge17predicate_wrapperIttNSC_4lessItEEEEEE10hipError_tPvRmT0_T1_T2_T3_T4_T5_mmT6_P12ihipStream_tbEUlT_E0_NS1_11comp_targetILNS1_3genE4ELNS1_11target_archE910ELNS1_3gpuE8ELNS1_3repE0EEENS1_30default_config_static_selectorELNS0_4arch9wavefront6targetE0EEEvS10_,comdat
.Lfunc_end181:
	.size	_ZN7rocprim17ROCPRIM_400000_NS6detail17trampoline_kernelINS0_14default_configENS1_21merge_config_selectorINS0_5tupleIJttEEENS0_10empty_typeEEEZNS1_10merge_implIS3_NS0_12zip_iteratorINS5_IJN6thrust23THRUST_200600_302600_NS6detail15normal_iteratorINSC_10device_ptrIKtEEEESI_EEEEESK_NSA_INS5_IJNSE_INSF_ItEEEESM_EEEEEPS7_SP_SP_NSC_11hip_rocprim7__merge17predicate_wrapperIttNSC_4lessItEEEEEE10hipError_tPvRmT0_T1_T2_T3_T4_T5_mmT6_P12ihipStream_tbEUlT_E0_NS1_11comp_targetILNS1_3genE4ELNS1_11target_archE910ELNS1_3gpuE8ELNS1_3repE0EEENS1_30default_config_static_selectorELNS0_4arch9wavefront6targetE0EEEvS10_, .Lfunc_end181-_ZN7rocprim17ROCPRIM_400000_NS6detail17trampoline_kernelINS0_14default_configENS1_21merge_config_selectorINS0_5tupleIJttEEENS0_10empty_typeEEEZNS1_10merge_implIS3_NS0_12zip_iteratorINS5_IJN6thrust23THRUST_200600_302600_NS6detail15normal_iteratorINSC_10device_ptrIKtEEEESI_EEEEESK_NSA_INS5_IJNSE_INSF_ItEEEESM_EEEEEPS7_SP_SP_NSC_11hip_rocprim7__merge17predicate_wrapperIttNSC_4lessItEEEEEE10hipError_tPvRmT0_T1_T2_T3_T4_T5_mmT6_P12ihipStream_tbEUlT_E0_NS1_11comp_targetILNS1_3genE4ELNS1_11target_archE910ELNS1_3gpuE8ELNS1_3repE0EEENS1_30default_config_static_selectorELNS0_4arch9wavefront6targetE0EEEvS10_
                                        ; -- End function
	.set _ZN7rocprim17ROCPRIM_400000_NS6detail17trampoline_kernelINS0_14default_configENS1_21merge_config_selectorINS0_5tupleIJttEEENS0_10empty_typeEEEZNS1_10merge_implIS3_NS0_12zip_iteratorINS5_IJN6thrust23THRUST_200600_302600_NS6detail15normal_iteratorINSC_10device_ptrIKtEEEESI_EEEEESK_NSA_INS5_IJNSE_INSF_ItEEEESM_EEEEEPS7_SP_SP_NSC_11hip_rocprim7__merge17predicate_wrapperIttNSC_4lessItEEEEEE10hipError_tPvRmT0_T1_T2_T3_T4_T5_mmT6_P12ihipStream_tbEUlT_E0_NS1_11comp_targetILNS1_3genE4ELNS1_11target_archE910ELNS1_3gpuE8ELNS1_3repE0EEENS1_30default_config_static_selectorELNS0_4arch9wavefront6targetE0EEEvS10_.num_vgpr, 0
	.set _ZN7rocprim17ROCPRIM_400000_NS6detail17trampoline_kernelINS0_14default_configENS1_21merge_config_selectorINS0_5tupleIJttEEENS0_10empty_typeEEEZNS1_10merge_implIS3_NS0_12zip_iteratorINS5_IJN6thrust23THRUST_200600_302600_NS6detail15normal_iteratorINSC_10device_ptrIKtEEEESI_EEEEESK_NSA_INS5_IJNSE_INSF_ItEEEESM_EEEEEPS7_SP_SP_NSC_11hip_rocprim7__merge17predicate_wrapperIttNSC_4lessItEEEEEE10hipError_tPvRmT0_T1_T2_T3_T4_T5_mmT6_P12ihipStream_tbEUlT_E0_NS1_11comp_targetILNS1_3genE4ELNS1_11target_archE910ELNS1_3gpuE8ELNS1_3repE0EEENS1_30default_config_static_selectorELNS0_4arch9wavefront6targetE0EEEvS10_.num_agpr, 0
	.set _ZN7rocprim17ROCPRIM_400000_NS6detail17trampoline_kernelINS0_14default_configENS1_21merge_config_selectorINS0_5tupleIJttEEENS0_10empty_typeEEEZNS1_10merge_implIS3_NS0_12zip_iteratorINS5_IJN6thrust23THRUST_200600_302600_NS6detail15normal_iteratorINSC_10device_ptrIKtEEEESI_EEEEESK_NSA_INS5_IJNSE_INSF_ItEEEESM_EEEEEPS7_SP_SP_NSC_11hip_rocprim7__merge17predicate_wrapperIttNSC_4lessItEEEEEE10hipError_tPvRmT0_T1_T2_T3_T4_T5_mmT6_P12ihipStream_tbEUlT_E0_NS1_11comp_targetILNS1_3genE4ELNS1_11target_archE910ELNS1_3gpuE8ELNS1_3repE0EEENS1_30default_config_static_selectorELNS0_4arch9wavefront6targetE0EEEvS10_.numbered_sgpr, 0
	.set _ZN7rocprim17ROCPRIM_400000_NS6detail17trampoline_kernelINS0_14default_configENS1_21merge_config_selectorINS0_5tupleIJttEEENS0_10empty_typeEEEZNS1_10merge_implIS3_NS0_12zip_iteratorINS5_IJN6thrust23THRUST_200600_302600_NS6detail15normal_iteratorINSC_10device_ptrIKtEEEESI_EEEEESK_NSA_INS5_IJNSE_INSF_ItEEEESM_EEEEEPS7_SP_SP_NSC_11hip_rocprim7__merge17predicate_wrapperIttNSC_4lessItEEEEEE10hipError_tPvRmT0_T1_T2_T3_T4_T5_mmT6_P12ihipStream_tbEUlT_E0_NS1_11comp_targetILNS1_3genE4ELNS1_11target_archE910ELNS1_3gpuE8ELNS1_3repE0EEENS1_30default_config_static_selectorELNS0_4arch9wavefront6targetE0EEEvS10_.num_named_barrier, 0
	.set _ZN7rocprim17ROCPRIM_400000_NS6detail17trampoline_kernelINS0_14default_configENS1_21merge_config_selectorINS0_5tupleIJttEEENS0_10empty_typeEEEZNS1_10merge_implIS3_NS0_12zip_iteratorINS5_IJN6thrust23THRUST_200600_302600_NS6detail15normal_iteratorINSC_10device_ptrIKtEEEESI_EEEEESK_NSA_INS5_IJNSE_INSF_ItEEEESM_EEEEEPS7_SP_SP_NSC_11hip_rocprim7__merge17predicate_wrapperIttNSC_4lessItEEEEEE10hipError_tPvRmT0_T1_T2_T3_T4_T5_mmT6_P12ihipStream_tbEUlT_E0_NS1_11comp_targetILNS1_3genE4ELNS1_11target_archE910ELNS1_3gpuE8ELNS1_3repE0EEENS1_30default_config_static_selectorELNS0_4arch9wavefront6targetE0EEEvS10_.private_seg_size, 0
	.set _ZN7rocprim17ROCPRIM_400000_NS6detail17trampoline_kernelINS0_14default_configENS1_21merge_config_selectorINS0_5tupleIJttEEENS0_10empty_typeEEEZNS1_10merge_implIS3_NS0_12zip_iteratorINS5_IJN6thrust23THRUST_200600_302600_NS6detail15normal_iteratorINSC_10device_ptrIKtEEEESI_EEEEESK_NSA_INS5_IJNSE_INSF_ItEEEESM_EEEEEPS7_SP_SP_NSC_11hip_rocprim7__merge17predicate_wrapperIttNSC_4lessItEEEEEE10hipError_tPvRmT0_T1_T2_T3_T4_T5_mmT6_P12ihipStream_tbEUlT_E0_NS1_11comp_targetILNS1_3genE4ELNS1_11target_archE910ELNS1_3gpuE8ELNS1_3repE0EEENS1_30default_config_static_selectorELNS0_4arch9wavefront6targetE0EEEvS10_.uses_vcc, 0
	.set _ZN7rocprim17ROCPRIM_400000_NS6detail17trampoline_kernelINS0_14default_configENS1_21merge_config_selectorINS0_5tupleIJttEEENS0_10empty_typeEEEZNS1_10merge_implIS3_NS0_12zip_iteratorINS5_IJN6thrust23THRUST_200600_302600_NS6detail15normal_iteratorINSC_10device_ptrIKtEEEESI_EEEEESK_NSA_INS5_IJNSE_INSF_ItEEEESM_EEEEEPS7_SP_SP_NSC_11hip_rocprim7__merge17predicate_wrapperIttNSC_4lessItEEEEEE10hipError_tPvRmT0_T1_T2_T3_T4_T5_mmT6_P12ihipStream_tbEUlT_E0_NS1_11comp_targetILNS1_3genE4ELNS1_11target_archE910ELNS1_3gpuE8ELNS1_3repE0EEENS1_30default_config_static_selectorELNS0_4arch9wavefront6targetE0EEEvS10_.uses_flat_scratch, 0
	.set _ZN7rocprim17ROCPRIM_400000_NS6detail17trampoline_kernelINS0_14default_configENS1_21merge_config_selectorINS0_5tupleIJttEEENS0_10empty_typeEEEZNS1_10merge_implIS3_NS0_12zip_iteratorINS5_IJN6thrust23THRUST_200600_302600_NS6detail15normal_iteratorINSC_10device_ptrIKtEEEESI_EEEEESK_NSA_INS5_IJNSE_INSF_ItEEEESM_EEEEEPS7_SP_SP_NSC_11hip_rocprim7__merge17predicate_wrapperIttNSC_4lessItEEEEEE10hipError_tPvRmT0_T1_T2_T3_T4_T5_mmT6_P12ihipStream_tbEUlT_E0_NS1_11comp_targetILNS1_3genE4ELNS1_11target_archE910ELNS1_3gpuE8ELNS1_3repE0EEENS1_30default_config_static_selectorELNS0_4arch9wavefront6targetE0EEEvS10_.has_dyn_sized_stack, 0
	.set _ZN7rocprim17ROCPRIM_400000_NS6detail17trampoline_kernelINS0_14default_configENS1_21merge_config_selectorINS0_5tupleIJttEEENS0_10empty_typeEEEZNS1_10merge_implIS3_NS0_12zip_iteratorINS5_IJN6thrust23THRUST_200600_302600_NS6detail15normal_iteratorINSC_10device_ptrIKtEEEESI_EEEEESK_NSA_INS5_IJNSE_INSF_ItEEEESM_EEEEEPS7_SP_SP_NSC_11hip_rocprim7__merge17predicate_wrapperIttNSC_4lessItEEEEEE10hipError_tPvRmT0_T1_T2_T3_T4_T5_mmT6_P12ihipStream_tbEUlT_E0_NS1_11comp_targetILNS1_3genE4ELNS1_11target_archE910ELNS1_3gpuE8ELNS1_3repE0EEENS1_30default_config_static_selectorELNS0_4arch9wavefront6targetE0EEEvS10_.has_recursion, 0
	.set _ZN7rocprim17ROCPRIM_400000_NS6detail17trampoline_kernelINS0_14default_configENS1_21merge_config_selectorINS0_5tupleIJttEEENS0_10empty_typeEEEZNS1_10merge_implIS3_NS0_12zip_iteratorINS5_IJN6thrust23THRUST_200600_302600_NS6detail15normal_iteratorINSC_10device_ptrIKtEEEESI_EEEEESK_NSA_INS5_IJNSE_INSF_ItEEEESM_EEEEEPS7_SP_SP_NSC_11hip_rocprim7__merge17predicate_wrapperIttNSC_4lessItEEEEEE10hipError_tPvRmT0_T1_T2_T3_T4_T5_mmT6_P12ihipStream_tbEUlT_E0_NS1_11comp_targetILNS1_3genE4ELNS1_11target_archE910ELNS1_3gpuE8ELNS1_3repE0EEENS1_30default_config_static_selectorELNS0_4arch9wavefront6targetE0EEEvS10_.has_indirect_call, 0
	.section	.AMDGPU.csdata,"",@progbits
; Kernel info:
; codeLenInByte = 0
; TotalNumSgprs: 0
; NumVgprs: 0
; ScratchSize: 0
; MemoryBound: 0
; FloatMode: 240
; IeeeMode: 1
; LDSByteSize: 0 bytes/workgroup (compile time only)
; SGPRBlocks: 0
; VGPRBlocks: 0
; NumSGPRsForWavesPerEU: 1
; NumVGPRsForWavesPerEU: 1
; Occupancy: 16
; WaveLimiterHint : 0
; COMPUTE_PGM_RSRC2:SCRATCH_EN: 0
; COMPUTE_PGM_RSRC2:USER_SGPR: 6
; COMPUTE_PGM_RSRC2:TRAP_HANDLER: 0
; COMPUTE_PGM_RSRC2:TGID_X_EN: 1
; COMPUTE_PGM_RSRC2:TGID_Y_EN: 0
; COMPUTE_PGM_RSRC2:TGID_Z_EN: 0
; COMPUTE_PGM_RSRC2:TIDIG_COMP_CNT: 0
	.section	.text._ZN7rocprim17ROCPRIM_400000_NS6detail17trampoline_kernelINS0_14default_configENS1_21merge_config_selectorINS0_5tupleIJttEEENS0_10empty_typeEEEZNS1_10merge_implIS3_NS0_12zip_iteratorINS5_IJN6thrust23THRUST_200600_302600_NS6detail15normal_iteratorINSC_10device_ptrIKtEEEESI_EEEEESK_NSA_INS5_IJNSE_INSF_ItEEEESM_EEEEEPS7_SP_SP_NSC_11hip_rocprim7__merge17predicate_wrapperIttNSC_4lessItEEEEEE10hipError_tPvRmT0_T1_T2_T3_T4_T5_mmT6_P12ihipStream_tbEUlT_E0_NS1_11comp_targetILNS1_3genE3ELNS1_11target_archE908ELNS1_3gpuE7ELNS1_3repE0EEENS1_30default_config_static_selectorELNS0_4arch9wavefront6targetE0EEEvS10_,"axG",@progbits,_ZN7rocprim17ROCPRIM_400000_NS6detail17trampoline_kernelINS0_14default_configENS1_21merge_config_selectorINS0_5tupleIJttEEENS0_10empty_typeEEEZNS1_10merge_implIS3_NS0_12zip_iteratorINS5_IJN6thrust23THRUST_200600_302600_NS6detail15normal_iteratorINSC_10device_ptrIKtEEEESI_EEEEESK_NSA_INS5_IJNSE_INSF_ItEEEESM_EEEEEPS7_SP_SP_NSC_11hip_rocprim7__merge17predicate_wrapperIttNSC_4lessItEEEEEE10hipError_tPvRmT0_T1_T2_T3_T4_T5_mmT6_P12ihipStream_tbEUlT_E0_NS1_11comp_targetILNS1_3genE3ELNS1_11target_archE908ELNS1_3gpuE7ELNS1_3repE0EEENS1_30default_config_static_selectorELNS0_4arch9wavefront6targetE0EEEvS10_,comdat
	.protected	_ZN7rocprim17ROCPRIM_400000_NS6detail17trampoline_kernelINS0_14default_configENS1_21merge_config_selectorINS0_5tupleIJttEEENS0_10empty_typeEEEZNS1_10merge_implIS3_NS0_12zip_iteratorINS5_IJN6thrust23THRUST_200600_302600_NS6detail15normal_iteratorINSC_10device_ptrIKtEEEESI_EEEEESK_NSA_INS5_IJNSE_INSF_ItEEEESM_EEEEEPS7_SP_SP_NSC_11hip_rocprim7__merge17predicate_wrapperIttNSC_4lessItEEEEEE10hipError_tPvRmT0_T1_T2_T3_T4_T5_mmT6_P12ihipStream_tbEUlT_E0_NS1_11comp_targetILNS1_3genE3ELNS1_11target_archE908ELNS1_3gpuE7ELNS1_3repE0EEENS1_30default_config_static_selectorELNS0_4arch9wavefront6targetE0EEEvS10_ ; -- Begin function _ZN7rocprim17ROCPRIM_400000_NS6detail17trampoline_kernelINS0_14default_configENS1_21merge_config_selectorINS0_5tupleIJttEEENS0_10empty_typeEEEZNS1_10merge_implIS3_NS0_12zip_iteratorINS5_IJN6thrust23THRUST_200600_302600_NS6detail15normal_iteratorINSC_10device_ptrIKtEEEESI_EEEEESK_NSA_INS5_IJNSE_INSF_ItEEEESM_EEEEEPS7_SP_SP_NSC_11hip_rocprim7__merge17predicate_wrapperIttNSC_4lessItEEEEEE10hipError_tPvRmT0_T1_T2_T3_T4_T5_mmT6_P12ihipStream_tbEUlT_E0_NS1_11comp_targetILNS1_3genE3ELNS1_11target_archE908ELNS1_3gpuE7ELNS1_3repE0EEENS1_30default_config_static_selectorELNS0_4arch9wavefront6targetE0EEEvS10_
	.globl	_ZN7rocprim17ROCPRIM_400000_NS6detail17trampoline_kernelINS0_14default_configENS1_21merge_config_selectorINS0_5tupleIJttEEENS0_10empty_typeEEEZNS1_10merge_implIS3_NS0_12zip_iteratorINS5_IJN6thrust23THRUST_200600_302600_NS6detail15normal_iteratorINSC_10device_ptrIKtEEEESI_EEEEESK_NSA_INS5_IJNSE_INSF_ItEEEESM_EEEEEPS7_SP_SP_NSC_11hip_rocprim7__merge17predicate_wrapperIttNSC_4lessItEEEEEE10hipError_tPvRmT0_T1_T2_T3_T4_T5_mmT6_P12ihipStream_tbEUlT_E0_NS1_11comp_targetILNS1_3genE3ELNS1_11target_archE908ELNS1_3gpuE7ELNS1_3repE0EEENS1_30default_config_static_selectorELNS0_4arch9wavefront6targetE0EEEvS10_
	.p2align	8
	.type	_ZN7rocprim17ROCPRIM_400000_NS6detail17trampoline_kernelINS0_14default_configENS1_21merge_config_selectorINS0_5tupleIJttEEENS0_10empty_typeEEEZNS1_10merge_implIS3_NS0_12zip_iteratorINS5_IJN6thrust23THRUST_200600_302600_NS6detail15normal_iteratorINSC_10device_ptrIKtEEEESI_EEEEESK_NSA_INS5_IJNSE_INSF_ItEEEESM_EEEEEPS7_SP_SP_NSC_11hip_rocprim7__merge17predicate_wrapperIttNSC_4lessItEEEEEE10hipError_tPvRmT0_T1_T2_T3_T4_T5_mmT6_P12ihipStream_tbEUlT_E0_NS1_11comp_targetILNS1_3genE3ELNS1_11target_archE908ELNS1_3gpuE7ELNS1_3repE0EEENS1_30default_config_static_selectorELNS0_4arch9wavefront6targetE0EEEvS10_,@function
_ZN7rocprim17ROCPRIM_400000_NS6detail17trampoline_kernelINS0_14default_configENS1_21merge_config_selectorINS0_5tupleIJttEEENS0_10empty_typeEEEZNS1_10merge_implIS3_NS0_12zip_iteratorINS5_IJN6thrust23THRUST_200600_302600_NS6detail15normal_iteratorINSC_10device_ptrIKtEEEESI_EEEEESK_NSA_INS5_IJNSE_INSF_ItEEEESM_EEEEEPS7_SP_SP_NSC_11hip_rocprim7__merge17predicate_wrapperIttNSC_4lessItEEEEEE10hipError_tPvRmT0_T1_T2_T3_T4_T5_mmT6_P12ihipStream_tbEUlT_E0_NS1_11comp_targetILNS1_3genE3ELNS1_11target_archE908ELNS1_3gpuE7ELNS1_3repE0EEENS1_30default_config_static_selectorELNS0_4arch9wavefront6targetE0EEEvS10_: ; @_ZN7rocprim17ROCPRIM_400000_NS6detail17trampoline_kernelINS0_14default_configENS1_21merge_config_selectorINS0_5tupleIJttEEENS0_10empty_typeEEEZNS1_10merge_implIS3_NS0_12zip_iteratorINS5_IJN6thrust23THRUST_200600_302600_NS6detail15normal_iteratorINSC_10device_ptrIKtEEEESI_EEEEESK_NSA_INS5_IJNSE_INSF_ItEEEESM_EEEEEPS7_SP_SP_NSC_11hip_rocprim7__merge17predicate_wrapperIttNSC_4lessItEEEEEE10hipError_tPvRmT0_T1_T2_T3_T4_T5_mmT6_P12ihipStream_tbEUlT_E0_NS1_11comp_targetILNS1_3genE3ELNS1_11target_archE908ELNS1_3gpuE7ELNS1_3repE0EEENS1_30default_config_static_selectorELNS0_4arch9wavefront6targetE0EEEvS10_
; %bb.0:
	.section	.rodata,"a",@progbits
	.p2align	6, 0x0
	.amdhsa_kernel _ZN7rocprim17ROCPRIM_400000_NS6detail17trampoline_kernelINS0_14default_configENS1_21merge_config_selectorINS0_5tupleIJttEEENS0_10empty_typeEEEZNS1_10merge_implIS3_NS0_12zip_iteratorINS5_IJN6thrust23THRUST_200600_302600_NS6detail15normal_iteratorINSC_10device_ptrIKtEEEESI_EEEEESK_NSA_INS5_IJNSE_INSF_ItEEEESM_EEEEEPS7_SP_SP_NSC_11hip_rocprim7__merge17predicate_wrapperIttNSC_4lessItEEEEEE10hipError_tPvRmT0_T1_T2_T3_T4_T5_mmT6_P12ihipStream_tbEUlT_E0_NS1_11comp_targetILNS1_3genE3ELNS1_11target_archE908ELNS1_3gpuE7ELNS1_3repE0EEENS1_30default_config_static_selectorELNS0_4arch9wavefront6targetE0EEEvS10_
		.amdhsa_group_segment_fixed_size 0
		.amdhsa_private_segment_fixed_size 0
		.amdhsa_kernarg_size 112
		.amdhsa_user_sgpr_count 6
		.amdhsa_user_sgpr_private_segment_buffer 1
		.amdhsa_user_sgpr_dispatch_ptr 0
		.amdhsa_user_sgpr_queue_ptr 0
		.amdhsa_user_sgpr_kernarg_segment_ptr 1
		.amdhsa_user_sgpr_dispatch_id 0
		.amdhsa_user_sgpr_flat_scratch_init 0
		.amdhsa_user_sgpr_private_segment_size 0
		.amdhsa_wavefront_size32 1
		.amdhsa_uses_dynamic_stack 0
		.amdhsa_system_sgpr_private_segment_wavefront_offset 0
		.amdhsa_system_sgpr_workgroup_id_x 1
		.amdhsa_system_sgpr_workgroup_id_y 0
		.amdhsa_system_sgpr_workgroup_id_z 0
		.amdhsa_system_sgpr_workgroup_info 0
		.amdhsa_system_vgpr_workitem_id 0
		.amdhsa_next_free_vgpr 1
		.amdhsa_next_free_sgpr 1
		.amdhsa_reserve_vcc 0
		.amdhsa_reserve_flat_scratch 0
		.amdhsa_float_round_mode_32 0
		.amdhsa_float_round_mode_16_64 0
		.amdhsa_float_denorm_mode_32 3
		.amdhsa_float_denorm_mode_16_64 3
		.amdhsa_dx10_clamp 1
		.amdhsa_ieee_mode 1
		.amdhsa_fp16_overflow 0
		.amdhsa_workgroup_processor_mode 1
		.amdhsa_memory_ordered 1
		.amdhsa_forward_progress 1
		.amdhsa_shared_vgpr_count 0
		.amdhsa_exception_fp_ieee_invalid_op 0
		.amdhsa_exception_fp_denorm_src 0
		.amdhsa_exception_fp_ieee_div_zero 0
		.amdhsa_exception_fp_ieee_overflow 0
		.amdhsa_exception_fp_ieee_underflow 0
		.amdhsa_exception_fp_ieee_inexact 0
		.amdhsa_exception_int_div_zero 0
	.end_amdhsa_kernel
	.section	.text._ZN7rocprim17ROCPRIM_400000_NS6detail17trampoline_kernelINS0_14default_configENS1_21merge_config_selectorINS0_5tupleIJttEEENS0_10empty_typeEEEZNS1_10merge_implIS3_NS0_12zip_iteratorINS5_IJN6thrust23THRUST_200600_302600_NS6detail15normal_iteratorINSC_10device_ptrIKtEEEESI_EEEEESK_NSA_INS5_IJNSE_INSF_ItEEEESM_EEEEEPS7_SP_SP_NSC_11hip_rocprim7__merge17predicate_wrapperIttNSC_4lessItEEEEEE10hipError_tPvRmT0_T1_T2_T3_T4_T5_mmT6_P12ihipStream_tbEUlT_E0_NS1_11comp_targetILNS1_3genE3ELNS1_11target_archE908ELNS1_3gpuE7ELNS1_3repE0EEENS1_30default_config_static_selectorELNS0_4arch9wavefront6targetE0EEEvS10_,"axG",@progbits,_ZN7rocprim17ROCPRIM_400000_NS6detail17trampoline_kernelINS0_14default_configENS1_21merge_config_selectorINS0_5tupleIJttEEENS0_10empty_typeEEEZNS1_10merge_implIS3_NS0_12zip_iteratorINS5_IJN6thrust23THRUST_200600_302600_NS6detail15normal_iteratorINSC_10device_ptrIKtEEEESI_EEEEESK_NSA_INS5_IJNSE_INSF_ItEEEESM_EEEEEPS7_SP_SP_NSC_11hip_rocprim7__merge17predicate_wrapperIttNSC_4lessItEEEEEE10hipError_tPvRmT0_T1_T2_T3_T4_T5_mmT6_P12ihipStream_tbEUlT_E0_NS1_11comp_targetILNS1_3genE3ELNS1_11target_archE908ELNS1_3gpuE7ELNS1_3repE0EEENS1_30default_config_static_selectorELNS0_4arch9wavefront6targetE0EEEvS10_,comdat
.Lfunc_end182:
	.size	_ZN7rocprim17ROCPRIM_400000_NS6detail17trampoline_kernelINS0_14default_configENS1_21merge_config_selectorINS0_5tupleIJttEEENS0_10empty_typeEEEZNS1_10merge_implIS3_NS0_12zip_iteratorINS5_IJN6thrust23THRUST_200600_302600_NS6detail15normal_iteratorINSC_10device_ptrIKtEEEESI_EEEEESK_NSA_INS5_IJNSE_INSF_ItEEEESM_EEEEEPS7_SP_SP_NSC_11hip_rocprim7__merge17predicate_wrapperIttNSC_4lessItEEEEEE10hipError_tPvRmT0_T1_T2_T3_T4_T5_mmT6_P12ihipStream_tbEUlT_E0_NS1_11comp_targetILNS1_3genE3ELNS1_11target_archE908ELNS1_3gpuE7ELNS1_3repE0EEENS1_30default_config_static_selectorELNS0_4arch9wavefront6targetE0EEEvS10_, .Lfunc_end182-_ZN7rocprim17ROCPRIM_400000_NS6detail17trampoline_kernelINS0_14default_configENS1_21merge_config_selectorINS0_5tupleIJttEEENS0_10empty_typeEEEZNS1_10merge_implIS3_NS0_12zip_iteratorINS5_IJN6thrust23THRUST_200600_302600_NS6detail15normal_iteratorINSC_10device_ptrIKtEEEESI_EEEEESK_NSA_INS5_IJNSE_INSF_ItEEEESM_EEEEEPS7_SP_SP_NSC_11hip_rocprim7__merge17predicate_wrapperIttNSC_4lessItEEEEEE10hipError_tPvRmT0_T1_T2_T3_T4_T5_mmT6_P12ihipStream_tbEUlT_E0_NS1_11comp_targetILNS1_3genE3ELNS1_11target_archE908ELNS1_3gpuE7ELNS1_3repE0EEENS1_30default_config_static_selectorELNS0_4arch9wavefront6targetE0EEEvS10_
                                        ; -- End function
	.set _ZN7rocprim17ROCPRIM_400000_NS6detail17trampoline_kernelINS0_14default_configENS1_21merge_config_selectorINS0_5tupleIJttEEENS0_10empty_typeEEEZNS1_10merge_implIS3_NS0_12zip_iteratorINS5_IJN6thrust23THRUST_200600_302600_NS6detail15normal_iteratorINSC_10device_ptrIKtEEEESI_EEEEESK_NSA_INS5_IJNSE_INSF_ItEEEESM_EEEEEPS7_SP_SP_NSC_11hip_rocprim7__merge17predicate_wrapperIttNSC_4lessItEEEEEE10hipError_tPvRmT0_T1_T2_T3_T4_T5_mmT6_P12ihipStream_tbEUlT_E0_NS1_11comp_targetILNS1_3genE3ELNS1_11target_archE908ELNS1_3gpuE7ELNS1_3repE0EEENS1_30default_config_static_selectorELNS0_4arch9wavefront6targetE0EEEvS10_.num_vgpr, 0
	.set _ZN7rocprim17ROCPRIM_400000_NS6detail17trampoline_kernelINS0_14default_configENS1_21merge_config_selectorINS0_5tupleIJttEEENS0_10empty_typeEEEZNS1_10merge_implIS3_NS0_12zip_iteratorINS5_IJN6thrust23THRUST_200600_302600_NS6detail15normal_iteratorINSC_10device_ptrIKtEEEESI_EEEEESK_NSA_INS5_IJNSE_INSF_ItEEEESM_EEEEEPS7_SP_SP_NSC_11hip_rocprim7__merge17predicate_wrapperIttNSC_4lessItEEEEEE10hipError_tPvRmT0_T1_T2_T3_T4_T5_mmT6_P12ihipStream_tbEUlT_E0_NS1_11comp_targetILNS1_3genE3ELNS1_11target_archE908ELNS1_3gpuE7ELNS1_3repE0EEENS1_30default_config_static_selectorELNS0_4arch9wavefront6targetE0EEEvS10_.num_agpr, 0
	.set _ZN7rocprim17ROCPRIM_400000_NS6detail17trampoline_kernelINS0_14default_configENS1_21merge_config_selectorINS0_5tupleIJttEEENS0_10empty_typeEEEZNS1_10merge_implIS3_NS0_12zip_iteratorINS5_IJN6thrust23THRUST_200600_302600_NS6detail15normal_iteratorINSC_10device_ptrIKtEEEESI_EEEEESK_NSA_INS5_IJNSE_INSF_ItEEEESM_EEEEEPS7_SP_SP_NSC_11hip_rocprim7__merge17predicate_wrapperIttNSC_4lessItEEEEEE10hipError_tPvRmT0_T1_T2_T3_T4_T5_mmT6_P12ihipStream_tbEUlT_E0_NS1_11comp_targetILNS1_3genE3ELNS1_11target_archE908ELNS1_3gpuE7ELNS1_3repE0EEENS1_30default_config_static_selectorELNS0_4arch9wavefront6targetE0EEEvS10_.numbered_sgpr, 0
	.set _ZN7rocprim17ROCPRIM_400000_NS6detail17trampoline_kernelINS0_14default_configENS1_21merge_config_selectorINS0_5tupleIJttEEENS0_10empty_typeEEEZNS1_10merge_implIS3_NS0_12zip_iteratorINS5_IJN6thrust23THRUST_200600_302600_NS6detail15normal_iteratorINSC_10device_ptrIKtEEEESI_EEEEESK_NSA_INS5_IJNSE_INSF_ItEEEESM_EEEEEPS7_SP_SP_NSC_11hip_rocprim7__merge17predicate_wrapperIttNSC_4lessItEEEEEE10hipError_tPvRmT0_T1_T2_T3_T4_T5_mmT6_P12ihipStream_tbEUlT_E0_NS1_11comp_targetILNS1_3genE3ELNS1_11target_archE908ELNS1_3gpuE7ELNS1_3repE0EEENS1_30default_config_static_selectorELNS0_4arch9wavefront6targetE0EEEvS10_.num_named_barrier, 0
	.set _ZN7rocprim17ROCPRIM_400000_NS6detail17trampoline_kernelINS0_14default_configENS1_21merge_config_selectorINS0_5tupleIJttEEENS0_10empty_typeEEEZNS1_10merge_implIS3_NS0_12zip_iteratorINS5_IJN6thrust23THRUST_200600_302600_NS6detail15normal_iteratorINSC_10device_ptrIKtEEEESI_EEEEESK_NSA_INS5_IJNSE_INSF_ItEEEESM_EEEEEPS7_SP_SP_NSC_11hip_rocprim7__merge17predicate_wrapperIttNSC_4lessItEEEEEE10hipError_tPvRmT0_T1_T2_T3_T4_T5_mmT6_P12ihipStream_tbEUlT_E0_NS1_11comp_targetILNS1_3genE3ELNS1_11target_archE908ELNS1_3gpuE7ELNS1_3repE0EEENS1_30default_config_static_selectorELNS0_4arch9wavefront6targetE0EEEvS10_.private_seg_size, 0
	.set _ZN7rocprim17ROCPRIM_400000_NS6detail17trampoline_kernelINS0_14default_configENS1_21merge_config_selectorINS0_5tupleIJttEEENS0_10empty_typeEEEZNS1_10merge_implIS3_NS0_12zip_iteratorINS5_IJN6thrust23THRUST_200600_302600_NS6detail15normal_iteratorINSC_10device_ptrIKtEEEESI_EEEEESK_NSA_INS5_IJNSE_INSF_ItEEEESM_EEEEEPS7_SP_SP_NSC_11hip_rocprim7__merge17predicate_wrapperIttNSC_4lessItEEEEEE10hipError_tPvRmT0_T1_T2_T3_T4_T5_mmT6_P12ihipStream_tbEUlT_E0_NS1_11comp_targetILNS1_3genE3ELNS1_11target_archE908ELNS1_3gpuE7ELNS1_3repE0EEENS1_30default_config_static_selectorELNS0_4arch9wavefront6targetE0EEEvS10_.uses_vcc, 0
	.set _ZN7rocprim17ROCPRIM_400000_NS6detail17trampoline_kernelINS0_14default_configENS1_21merge_config_selectorINS0_5tupleIJttEEENS0_10empty_typeEEEZNS1_10merge_implIS3_NS0_12zip_iteratorINS5_IJN6thrust23THRUST_200600_302600_NS6detail15normal_iteratorINSC_10device_ptrIKtEEEESI_EEEEESK_NSA_INS5_IJNSE_INSF_ItEEEESM_EEEEEPS7_SP_SP_NSC_11hip_rocprim7__merge17predicate_wrapperIttNSC_4lessItEEEEEE10hipError_tPvRmT0_T1_T2_T3_T4_T5_mmT6_P12ihipStream_tbEUlT_E0_NS1_11comp_targetILNS1_3genE3ELNS1_11target_archE908ELNS1_3gpuE7ELNS1_3repE0EEENS1_30default_config_static_selectorELNS0_4arch9wavefront6targetE0EEEvS10_.uses_flat_scratch, 0
	.set _ZN7rocprim17ROCPRIM_400000_NS6detail17trampoline_kernelINS0_14default_configENS1_21merge_config_selectorINS0_5tupleIJttEEENS0_10empty_typeEEEZNS1_10merge_implIS3_NS0_12zip_iteratorINS5_IJN6thrust23THRUST_200600_302600_NS6detail15normal_iteratorINSC_10device_ptrIKtEEEESI_EEEEESK_NSA_INS5_IJNSE_INSF_ItEEEESM_EEEEEPS7_SP_SP_NSC_11hip_rocprim7__merge17predicate_wrapperIttNSC_4lessItEEEEEE10hipError_tPvRmT0_T1_T2_T3_T4_T5_mmT6_P12ihipStream_tbEUlT_E0_NS1_11comp_targetILNS1_3genE3ELNS1_11target_archE908ELNS1_3gpuE7ELNS1_3repE0EEENS1_30default_config_static_selectorELNS0_4arch9wavefront6targetE0EEEvS10_.has_dyn_sized_stack, 0
	.set _ZN7rocprim17ROCPRIM_400000_NS6detail17trampoline_kernelINS0_14default_configENS1_21merge_config_selectorINS0_5tupleIJttEEENS0_10empty_typeEEEZNS1_10merge_implIS3_NS0_12zip_iteratorINS5_IJN6thrust23THRUST_200600_302600_NS6detail15normal_iteratorINSC_10device_ptrIKtEEEESI_EEEEESK_NSA_INS5_IJNSE_INSF_ItEEEESM_EEEEEPS7_SP_SP_NSC_11hip_rocprim7__merge17predicate_wrapperIttNSC_4lessItEEEEEE10hipError_tPvRmT0_T1_T2_T3_T4_T5_mmT6_P12ihipStream_tbEUlT_E0_NS1_11comp_targetILNS1_3genE3ELNS1_11target_archE908ELNS1_3gpuE7ELNS1_3repE0EEENS1_30default_config_static_selectorELNS0_4arch9wavefront6targetE0EEEvS10_.has_recursion, 0
	.set _ZN7rocprim17ROCPRIM_400000_NS6detail17trampoline_kernelINS0_14default_configENS1_21merge_config_selectorINS0_5tupleIJttEEENS0_10empty_typeEEEZNS1_10merge_implIS3_NS0_12zip_iteratorINS5_IJN6thrust23THRUST_200600_302600_NS6detail15normal_iteratorINSC_10device_ptrIKtEEEESI_EEEEESK_NSA_INS5_IJNSE_INSF_ItEEEESM_EEEEEPS7_SP_SP_NSC_11hip_rocprim7__merge17predicate_wrapperIttNSC_4lessItEEEEEE10hipError_tPvRmT0_T1_T2_T3_T4_T5_mmT6_P12ihipStream_tbEUlT_E0_NS1_11comp_targetILNS1_3genE3ELNS1_11target_archE908ELNS1_3gpuE7ELNS1_3repE0EEENS1_30default_config_static_selectorELNS0_4arch9wavefront6targetE0EEEvS10_.has_indirect_call, 0
	.section	.AMDGPU.csdata,"",@progbits
; Kernel info:
; codeLenInByte = 0
; TotalNumSgprs: 0
; NumVgprs: 0
; ScratchSize: 0
; MemoryBound: 0
; FloatMode: 240
; IeeeMode: 1
; LDSByteSize: 0 bytes/workgroup (compile time only)
; SGPRBlocks: 0
; VGPRBlocks: 0
; NumSGPRsForWavesPerEU: 1
; NumVGPRsForWavesPerEU: 1
; Occupancy: 16
; WaveLimiterHint : 0
; COMPUTE_PGM_RSRC2:SCRATCH_EN: 0
; COMPUTE_PGM_RSRC2:USER_SGPR: 6
; COMPUTE_PGM_RSRC2:TRAP_HANDLER: 0
; COMPUTE_PGM_RSRC2:TGID_X_EN: 1
; COMPUTE_PGM_RSRC2:TGID_Y_EN: 0
; COMPUTE_PGM_RSRC2:TGID_Z_EN: 0
; COMPUTE_PGM_RSRC2:TIDIG_COMP_CNT: 0
	.section	.text._ZN7rocprim17ROCPRIM_400000_NS6detail17trampoline_kernelINS0_14default_configENS1_21merge_config_selectorINS0_5tupleIJttEEENS0_10empty_typeEEEZNS1_10merge_implIS3_NS0_12zip_iteratorINS5_IJN6thrust23THRUST_200600_302600_NS6detail15normal_iteratorINSC_10device_ptrIKtEEEESI_EEEEESK_NSA_INS5_IJNSE_INSF_ItEEEESM_EEEEEPS7_SP_SP_NSC_11hip_rocprim7__merge17predicate_wrapperIttNSC_4lessItEEEEEE10hipError_tPvRmT0_T1_T2_T3_T4_T5_mmT6_P12ihipStream_tbEUlT_E0_NS1_11comp_targetILNS1_3genE2ELNS1_11target_archE906ELNS1_3gpuE6ELNS1_3repE0EEENS1_30default_config_static_selectorELNS0_4arch9wavefront6targetE0EEEvS10_,"axG",@progbits,_ZN7rocprim17ROCPRIM_400000_NS6detail17trampoline_kernelINS0_14default_configENS1_21merge_config_selectorINS0_5tupleIJttEEENS0_10empty_typeEEEZNS1_10merge_implIS3_NS0_12zip_iteratorINS5_IJN6thrust23THRUST_200600_302600_NS6detail15normal_iteratorINSC_10device_ptrIKtEEEESI_EEEEESK_NSA_INS5_IJNSE_INSF_ItEEEESM_EEEEEPS7_SP_SP_NSC_11hip_rocprim7__merge17predicate_wrapperIttNSC_4lessItEEEEEE10hipError_tPvRmT0_T1_T2_T3_T4_T5_mmT6_P12ihipStream_tbEUlT_E0_NS1_11comp_targetILNS1_3genE2ELNS1_11target_archE906ELNS1_3gpuE6ELNS1_3repE0EEENS1_30default_config_static_selectorELNS0_4arch9wavefront6targetE0EEEvS10_,comdat
	.protected	_ZN7rocprim17ROCPRIM_400000_NS6detail17trampoline_kernelINS0_14default_configENS1_21merge_config_selectorINS0_5tupleIJttEEENS0_10empty_typeEEEZNS1_10merge_implIS3_NS0_12zip_iteratorINS5_IJN6thrust23THRUST_200600_302600_NS6detail15normal_iteratorINSC_10device_ptrIKtEEEESI_EEEEESK_NSA_INS5_IJNSE_INSF_ItEEEESM_EEEEEPS7_SP_SP_NSC_11hip_rocprim7__merge17predicate_wrapperIttNSC_4lessItEEEEEE10hipError_tPvRmT0_T1_T2_T3_T4_T5_mmT6_P12ihipStream_tbEUlT_E0_NS1_11comp_targetILNS1_3genE2ELNS1_11target_archE906ELNS1_3gpuE6ELNS1_3repE0EEENS1_30default_config_static_selectorELNS0_4arch9wavefront6targetE0EEEvS10_ ; -- Begin function _ZN7rocprim17ROCPRIM_400000_NS6detail17trampoline_kernelINS0_14default_configENS1_21merge_config_selectorINS0_5tupleIJttEEENS0_10empty_typeEEEZNS1_10merge_implIS3_NS0_12zip_iteratorINS5_IJN6thrust23THRUST_200600_302600_NS6detail15normal_iteratorINSC_10device_ptrIKtEEEESI_EEEEESK_NSA_INS5_IJNSE_INSF_ItEEEESM_EEEEEPS7_SP_SP_NSC_11hip_rocprim7__merge17predicate_wrapperIttNSC_4lessItEEEEEE10hipError_tPvRmT0_T1_T2_T3_T4_T5_mmT6_P12ihipStream_tbEUlT_E0_NS1_11comp_targetILNS1_3genE2ELNS1_11target_archE906ELNS1_3gpuE6ELNS1_3repE0EEENS1_30default_config_static_selectorELNS0_4arch9wavefront6targetE0EEEvS10_
	.globl	_ZN7rocprim17ROCPRIM_400000_NS6detail17trampoline_kernelINS0_14default_configENS1_21merge_config_selectorINS0_5tupleIJttEEENS0_10empty_typeEEEZNS1_10merge_implIS3_NS0_12zip_iteratorINS5_IJN6thrust23THRUST_200600_302600_NS6detail15normal_iteratorINSC_10device_ptrIKtEEEESI_EEEEESK_NSA_INS5_IJNSE_INSF_ItEEEESM_EEEEEPS7_SP_SP_NSC_11hip_rocprim7__merge17predicate_wrapperIttNSC_4lessItEEEEEE10hipError_tPvRmT0_T1_T2_T3_T4_T5_mmT6_P12ihipStream_tbEUlT_E0_NS1_11comp_targetILNS1_3genE2ELNS1_11target_archE906ELNS1_3gpuE6ELNS1_3repE0EEENS1_30default_config_static_selectorELNS0_4arch9wavefront6targetE0EEEvS10_
	.p2align	8
	.type	_ZN7rocprim17ROCPRIM_400000_NS6detail17trampoline_kernelINS0_14default_configENS1_21merge_config_selectorINS0_5tupleIJttEEENS0_10empty_typeEEEZNS1_10merge_implIS3_NS0_12zip_iteratorINS5_IJN6thrust23THRUST_200600_302600_NS6detail15normal_iteratorINSC_10device_ptrIKtEEEESI_EEEEESK_NSA_INS5_IJNSE_INSF_ItEEEESM_EEEEEPS7_SP_SP_NSC_11hip_rocprim7__merge17predicate_wrapperIttNSC_4lessItEEEEEE10hipError_tPvRmT0_T1_T2_T3_T4_T5_mmT6_P12ihipStream_tbEUlT_E0_NS1_11comp_targetILNS1_3genE2ELNS1_11target_archE906ELNS1_3gpuE6ELNS1_3repE0EEENS1_30default_config_static_selectorELNS0_4arch9wavefront6targetE0EEEvS10_,@function
_ZN7rocprim17ROCPRIM_400000_NS6detail17trampoline_kernelINS0_14default_configENS1_21merge_config_selectorINS0_5tupleIJttEEENS0_10empty_typeEEEZNS1_10merge_implIS3_NS0_12zip_iteratorINS5_IJN6thrust23THRUST_200600_302600_NS6detail15normal_iteratorINSC_10device_ptrIKtEEEESI_EEEEESK_NSA_INS5_IJNSE_INSF_ItEEEESM_EEEEEPS7_SP_SP_NSC_11hip_rocprim7__merge17predicate_wrapperIttNSC_4lessItEEEEEE10hipError_tPvRmT0_T1_T2_T3_T4_T5_mmT6_P12ihipStream_tbEUlT_E0_NS1_11comp_targetILNS1_3genE2ELNS1_11target_archE906ELNS1_3gpuE6ELNS1_3repE0EEENS1_30default_config_static_selectorELNS0_4arch9wavefront6targetE0EEEvS10_: ; @_ZN7rocprim17ROCPRIM_400000_NS6detail17trampoline_kernelINS0_14default_configENS1_21merge_config_selectorINS0_5tupleIJttEEENS0_10empty_typeEEEZNS1_10merge_implIS3_NS0_12zip_iteratorINS5_IJN6thrust23THRUST_200600_302600_NS6detail15normal_iteratorINSC_10device_ptrIKtEEEESI_EEEEESK_NSA_INS5_IJNSE_INSF_ItEEEESM_EEEEEPS7_SP_SP_NSC_11hip_rocprim7__merge17predicate_wrapperIttNSC_4lessItEEEEEE10hipError_tPvRmT0_T1_T2_T3_T4_T5_mmT6_P12ihipStream_tbEUlT_E0_NS1_11comp_targetILNS1_3genE2ELNS1_11target_archE906ELNS1_3gpuE6ELNS1_3repE0EEENS1_30default_config_static_selectorELNS0_4arch9wavefront6targetE0EEEvS10_
; %bb.0:
	.section	.rodata,"a",@progbits
	.p2align	6, 0x0
	.amdhsa_kernel _ZN7rocprim17ROCPRIM_400000_NS6detail17trampoline_kernelINS0_14default_configENS1_21merge_config_selectorINS0_5tupleIJttEEENS0_10empty_typeEEEZNS1_10merge_implIS3_NS0_12zip_iteratorINS5_IJN6thrust23THRUST_200600_302600_NS6detail15normal_iteratorINSC_10device_ptrIKtEEEESI_EEEEESK_NSA_INS5_IJNSE_INSF_ItEEEESM_EEEEEPS7_SP_SP_NSC_11hip_rocprim7__merge17predicate_wrapperIttNSC_4lessItEEEEEE10hipError_tPvRmT0_T1_T2_T3_T4_T5_mmT6_P12ihipStream_tbEUlT_E0_NS1_11comp_targetILNS1_3genE2ELNS1_11target_archE906ELNS1_3gpuE6ELNS1_3repE0EEENS1_30default_config_static_selectorELNS0_4arch9wavefront6targetE0EEEvS10_
		.amdhsa_group_segment_fixed_size 0
		.amdhsa_private_segment_fixed_size 0
		.amdhsa_kernarg_size 112
		.amdhsa_user_sgpr_count 6
		.amdhsa_user_sgpr_private_segment_buffer 1
		.amdhsa_user_sgpr_dispatch_ptr 0
		.amdhsa_user_sgpr_queue_ptr 0
		.amdhsa_user_sgpr_kernarg_segment_ptr 1
		.amdhsa_user_sgpr_dispatch_id 0
		.amdhsa_user_sgpr_flat_scratch_init 0
		.amdhsa_user_sgpr_private_segment_size 0
		.amdhsa_wavefront_size32 1
		.amdhsa_uses_dynamic_stack 0
		.amdhsa_system_sgpr_private_segment_wavefront_offset 0
		.amdhsa_system_sgpr_workgroup_id_x 1
		.amdhsa_system_sgpr_workgroup_id_y 0
		.amdhsa_system_sgpr_workgroup_id_z 0
		.amdhsa_system_sgpr_workgroup_info 0
		.amdhsa_system_vgpr_workitem_id 0
		.amdhsa_next_free_vgpr 1
		.amdhsa_next_free_sgpr 1
		.amdhsa_reserve_vcc 0
		.amdhsa_reserve_flat_scratch 0
		.amdhsa_float_round_mode_32 0
		.amdhsa_float_round_mode_16_64 0
		.amdhsa_float_denorm_mode_32 3
		.amdhsa_float_denorm_mode_16_64 3
		.amdhsa_dx10_clamp 1
		.amdhsa_ieee_mode 1
		.amdhsa_fp16_overflow 0
		.amdhsa_workgroup_processor_mode 1
		.amdhsa_memory_ordered 1
		.amdhsa_forward_progress 1
		.amdhsa_shared_vgpr_count 0
		.amdhsa_exception_fp_ieee_invalid_op 0
		.amdhsa_exception_fp_denorm_src 0
		.amdhsa_exception_fp_ieee_div_zero 0
		.amdhsa_exception_fp_ieee_overflow 0
		.amdhsa_exception_fp_ieee_underflow 0
		.amdhsa_exception_fp_ieee_inexact 0
		.amdhsa_exception_int_div_zero 0
	.end_amdhsa_kernel
	.section	.text._ZN7rocprim17ROCPRIM_400000_NS6detail17trampoline_kernelINS0_14default_configENS1_21merge_config_selectorINS0_5tupleIJttEEENS0_10empty_typeEEEZNS1_10merge_implIS3_NS0_12zip_iteratorINS5_IJN6thrust23THRUST_200600_302600_NS6detail15normal_iteratorINSC_10device_ptrIKtEEEESI_EEEEESK_NSA_INS5_IJNSE_INSF_ItEEEESM_EEEEEPS7_SP_SP_NSC_11hip_rocprim7__merge17predicate_wrapperIttNSC_4lessItEEEEEE10hipError_tPvRmT0_T1_T2_T3_T4_T5_mmT6_P12ihipStream_tbEUlT_E0_NS1_11comp_targetILNS1_3genE2ELNS1_11target_archE906ELNS1_3gpuE6ELNS1_3repE0EEENS1_30default_config_static_selectorELNS0_4arch9wavefront6targetE0EEEvS10_,"axG",@progbits,_ZN7rocprim17ROCPRIM_400000_NS6detail17trampoline_kernelINS0_14default_configENS1_21merge_config_selectorINS0_5tupleIJttEEENS0_10empty_typeEEEZNS1_10merge_implIS3_NS0_12zip_iteratorINS5_IJN6thrust23THRUST_200600_302600_NS6detail15normal_iteratorINSC_10device_ptrIKtEEEESI_EEEEESK_NSA_INS5_IJNSE_INSF_ItEEEESM_EEEEEPS7_SP_SP_NSC_11hip_rocprim7__merge17predicate_wrapperIttNSC_4lessItEEEEEE10hipError_tPvRmT0_T1_T2_T3_T4_T5_mmT6_P12ihipStream_tbEUlT_E0_NS1_11comp_targetILNS1_3genE2ELNS1_11target_archE906ELNS1_3gpuE6ELNS1_3repE0EEENS1_30default_config_static_selectorELNS0_4arch9wavefront6targetE0EEEvS10_,comdat
.Lfunc_end183:
	.size	_ZN7rocprim17ROCPRIM_400000_NS6detail17trampoline_kernelINS0_14default_configENS1_21merge_config_selectorINS0_5tupleIJttEEENS0_10empty_typeEEEZNS1_10merge_implIS3_NS0_12zip_iteratorINS5_IJN6thrust23THRUST_200600_302600_NS6detail15normal_iteratorINSC_10device_ptrIKtEEEESI_EEEEESK_NSA_INS5_IJNSE_INSF_ItEEEESM_EEEEEPS7_SP_SP_NSC_11hip_rocprim7__merge17predicate_wrapperIttNSC_4lessItEEEEEE10hipError_tPvRmT0_T1_T2_T3_T4_T5_mmT6_P12ihipStream_tbEUlT_E0_NS1_11comp_targetILNS1_3genE2ELNS1_11target_archE906ELNS1_3gpuE6ELNS1_3repE0EEENS1_30default_config_static_selectorELNS0_4arch9wavefront6targetE0EEEvS10_, .Lfunc_end183-_ZN7rocprim17ROCPRIM_400000_NS6detail17trampoline_kernelINS0_14default_configENS1_21merge_config_selectorINS0_5tupleIJttEEENS0_10empty_typeEEEZNS1_10merge_implIS3_NS0_12zip_iteratorINS5_IJN6thrust23THRUST_200600_302600_NS6detail15normal_iteratorINSC_10device_ptrIKtEEEESI_EEEEESK_NSA_INS5_IJNSE_INSF_ItEEEESM_EEEEEPS7_SP_SP_NSC_11hip_rocprim7__merge17predicate_wrapperIttNSC_4lessItEEEEEE10hipError_tPvRmT0_T1_T2_T3_T4_T5_mmT6_P12ihipStream_tbEUlT_E0_NS1_11comp_targetILNS1_3genE2ELNS1_11target_archE906ELNS1_3gpuE6ELNS1_3repE0EEENS1_30default_config_static_selectorELNS0_4arch9wavefront6targetE0EEEvS10_
                                        ; -- End function
	.set _ZN7rocprim17ROCPRIM_400000_NS6detail17trampoline_kernelINS0_14default_configENS1_21merge_config_selectorINS0_5tupleIJttEEENS0_10empty_typeEEEZNS1_10merge_implIS3_NS0_12zip_iteratorINS5_IJN6thrust23THRUST_200600_302600_NS6detail15normal_iteratorINSC_10device_ptrIKtEEEESI_EEEEESK_NSA_INS5_IJNSE_INSF_ItEEEESM_EEEEEPS7_SP_SP_NSC_11hip_rocprim7__merge17predicate_wrapperIttNSC_4lessItEEEEEE10hipError_tPvRmT0_T1_T2_T3_T4_T5_mmT6_P12ihipStream_tbEUlT_E0_NS1_11comp_targetILNS1_3genE2ELNS1_11target_archE906ELNS1_3gpuE6ELNS1_3repE0EEENS1_30default_config_static_selectorELNS0_4arch9wavefront6targetE0EEEvS10_.num_vgpr, 0
	.set _ZN7rocprim17ROCPRIM_400000_NS6detail17trampoline_kernelINS0_14default_configENS1_21merge_config_selectorINS0_5tupleIJttEEENS0_10empty_typeEEEZNS1_10merge_implIS3_NS0_12zip_iteratorINS5_IJN6thrust23THRUST_200600_302600_NS6detail15normal_iteratorINSC_10device_ptrIKtEEEESI_EEEEESK_NSA_INS5_IJNSE_INSF_ItEEEESM_EEEEEPS7_SP_SP_NSC_11hip_rocprim7__merge17predicate_wrapperIttNSC_4lessItEEEEEE10hipError_tPvRmT0_T1_T2_T3_T4_T5_mmT6_P12ihipStream_tbEUlT_E0_NS1_11comp_targetILNS1_3genE2ELNS1_11target_archE906ELNS1_3gpuE6ELNS1_3repE0EEENS1_30default_config_static_selectorELNS0_4arch9wavefront6targetE0EEEvS10_.num_agpr, 0
	.set _ZN7rocprim17ROCPRIM_400000_NS6detail17trampoline_kernelINS0_14default_configENS1_21merge_config_selectorINS0_5tupleIJttEEENS0_10empty_typeEEEZNS1_10merge_implIS3_NS0_12zip_iteratorINS5_IJN6thrust23THRUST_200600_302600_NS6detail15normal_iteratorINSC_10device_ptrIKtEEEESI_EEEEESK_NSA_INS5_IJNSE_INSF_ItEEEESM_EEEEEPS7_SP_SP_NSC_11hip_rocprim7__merge17predicate_wrapperIttNSC_4lessItEEEEEE10hipError_tPvRmT0_T1_T2_T3_T4_T5_mmT6_P12ihipStream_tbEUlT_E0_NS1_11comp_targetILNS1_3genE2ELNS1_11target_archE906ELNS1_3gpuE6ELNS1_3repE0EEENS1_30default_config_static_selectorELNS0_4arch9wavefront6targetE0EEEvS10_.numbered_sgpr, 0
	.set _ZN7rocprim17ROCPRIM_400000_NS6detail17trampoline_kernelINS0_14default_configENS1_21merge_config_selectorINS0_5tupleIJttEEENS0_10empty_typeEEEZNS1_10merge_implIS3_NS0_12zip_iteratorINS5_IJN6thrust23THRUST_200600_302600_NS6detail15normal_iteratorINSC_10device_ptrIKtEEEESI_EEEEESK_NSA_INS5_IJNSE_INSF_ItEEEESM_EEEEEPS7_SP_SP_NSC_11hip_rocprim7__merge17predicate_wrapperIttNSC_4lessItEEEEEE10hipError_tPvRmT0_T1_T2_T3_T4_T5_mmT6_P12ihipStream_tbEUlT_E0_NS1_11comp_targetILNS1_3genE2ELNS1_11target_archE906ELNS1_3gpuE6ELNS1_3repE0EEENS1_30default_config_static_selectorELNS0_4arch9wavefront6targetE0EEEvS10_.num_named_barrier, 0
	.set _ZN7rocprim17ROCPRIM_400000_NS6detail17trampoline_kernelINS0_14default_configENS1_21merge_config_selectorINS0_5tupleIJttEEENS0_10empty_typeEEEZNS1_10merge_implIS3_NS0_12zip_iteratorINS5_IJN6thrust23THRUST_200600_302600_NS6detail15normal_iteratorINSC_10device_ptrIKtEEEESI_EEEEESK_NSA_INS5_IJNSE_INSF_ItEEEESM_EEEEEPS7_SP_SP_NSC_11hip_rocprim7__merge17predicate_wrapperIttNSC_4lessItEEEEEE10hipError_tPvRmT0_T1_T2_T3_T4_T5_mmT6_P12ihipStream_tbEUlT_E0_NS1_11comp_targetILNS1_3genE2ELNS1_11target_archE906ELNS1_3gpuE6ELNS1_3repE0EEENS1_30default_config_static_selectorELNS0_4arch9wavefront6targetE0EEEvS10_.private_seg_size, 0
	.set _ZN7rocprim17ROCPRIM_400000_NS6detail17trampoline_kernelINS0_14default_configENS1_21merge_config_selectorINS0_5tupleIJttEEENS0_10empty_typeEEEZNS1_10merge_implIS3_NS0_12zip_iteratorINS5_IJN6thrust23THRUST_200600_302600_NS6detail15normal_iteratorINSC_10device_ptrIKtEEEESI_EEEEESK_NSA_INS5_IJNSE_INSF_ItEEEESM_EEEEEPS7_SP_SP_NSC_11hip_rocprim7__merge17predicate_wrapperIttNSC_4lessItEEEEEE10hipError_tPvRmT0_T1_T2_T3_T4_T5_mmT6_P12ihipStream_tbEUlT_E0_NS1_11comp_targetILNS1_3genE2ELNS1_11target_archE906ELNS1_3gpuE6ELNS1_3repE0EEENS1_30default_config_static_selectorELNS0_4arch9wavefront6targetE0EEEvS10_.uses_vcc, 0
	.set _ZN7rocprim17ROCPRIM_400000_NS6detail17trampoline_kernelINS0_14default_configENS1_21merge_config_selectorINS0_5tupleIJttEEENS0_10empty_typeEEEZNS1_10merge_implIS3_NS0_12zip_iteratorINS5_IJN6thrust23THRUST_200600_302600_NS6detail15normal_iteratorINSC_10device_ptrIKtEEEESI_EEEEESK_NSA_INS5_IJNSE_INSF_ItEEEESM_EEEEEPS7_SP_SP_NSC_11hip_rocprim7__merge17predicate_wrapperIttNSC_4lessItEEEEEE10hipError_tPvRmT0_T1_T2_T3_T4_T5_mmT6_P12ihipStream_tbEUlT_E0_NS1_11comp_targetILNS1_3genE2ELNS1_11target_archE906ELNS1_3gpuE6ELNS1_3repE0EEENS1_30default_config_static_selectorELNS0_4arch9wavefront6targetE0EEEvS10_.uses_flat_scratch, 0
	.set _ZN7rocprim17ROCPRIM_400000_NS6detail17trampoline_kernelINS0_14default_configENS1_21merge_config_selectorINS0_5tupleIJttEEENS0_10empty_typeEEEZNS1_10merge_implIS3_NS0_12zip_iteratorINS5_IJN6thrust23THRUST_200600_302600_NS6detail15normal_iteratorINSC_10device_ptrIKtEEEESI_EEEEESK_NSA_INS5_IJNSE_INSF_ItEEEESM_EEEEEPS7_SP_SP_NSC_11hip_rocprim7__merge17predicate_wrapperIttNSC_4lessItEEEEEE10hipError_tPvRmT0_T1_T2_T3_T4_T5_mmT6_P12ihipStream_tbEUlT_E0_NS1_11comp_targetILNS1_3genE2ELNS1_11target_archE906ELNS1_3gpuE6ELNS1_3repE0EEENS1_30default_config_static_selectorELNS0_4arch9wavefront6targetE0EEEvS10_.has_dyn_sized_stack, 0
	.set _ZN7rocprim17ROCPRIM_400000_NS6detail17trampoline_kernelINS0_14default_configENS1_21merge_config_selectorINS0_5tupleIJttEEENS0_10empty_typeEEEZNS1_10merge_implIS3_NS0_12zip_iteratorINS5_IJN6thrust23THRUST_200600_302600_NS6detail15normal_iteratorINSC_10device_ptrIKtEEEESI_EEEEESK_NSA_INS5_IJNSE_INSF_ItEEEESM_EEEEEPS7_SP_SP_NSC_11hip_rocprim7__merge17predicate_wrapperIttNSC_4lessItEEEEEE10hipError_tPvRmT0_T1_T2_T3_T4_T5_mmT6_P12ihipStream_tbEUlT_E0_NS1_11comp_targetILNS1_3genE2ELNS1_11target_archE906ELNS1_3gpuE6ELNS1_3repE0EEENS1_30default_config_static_selectorELNS0_4arch9wavefront6targetE0EEEvS10_.has_recursion, 0
	.set _ZN7rocprim17ROCPRIM_400000_NS6detail17trampoline_kernelINS0_14default_configENS1_21merge_config_selectorINS0_5tupleIJttEEENS0_10empty_typeEEEZNS1_10merge_implIS3_NS0_12zip_iteratorINS5_IJN6thrust23THRUST_200600_302600_NS6detail15normal_iteratorINSC_10device_ptrIKtEEEESI_EEEEESK_NSA_INS5_IJNSE_INSF_ItEEEESM_EEEEEPS7_SP_SP_NSC_11hip_rocprim7__merge17predicate_wrapperIttNSC_4lessItEEEEEE10hipError_tPvRmT0_T1_T2_T3_T4_T5_mmT6_P12ihipStream_tbEUlT_E0_NS1_11comp_targetILNS1_3genE2ELNS1_11target_archE906ELNS1_3gpuE6ELNS1_3repE0EEENS1_30default_config_static_selectorELNS0_4arch9wavefront6targetE0EEEvS10_.has_indirect_call, 0
	.section	.AMDGPU.csdata,"",@progbits
; Kernel info:
; codeLenInByte = 0
; TotalNumSgprs: 0
; NumVgprs: 0
; ScratchSize: 0
; MemoryBound: 0
; FloatMode: 240
; IeeeMode: 1
; LDSByteSize: 0 bytes/workgroup (compile time only)
; SGPRBlocks: 0
; VGPRBlocks: 0
; NumSGPRsForWavesPerEU: 1
; NumVGPRsForWavesPerEU: 1
; Occupancy: 16
; WaveLimiterHint : 0
; COMPUTE_PGM_RSRC2:SCRATCH_EN: 0
; COMPUTE_PGM_RSRC2:USER_SGPR: 6
; COMPUTE_PGM_RSRC2:TRAP_HANDLER: 0
; COMPUTE_PGM_RSRC2:TGID_X_EN: 1
; COMPUTE_PGM_RSRC2:TGID_Y_EN: 0
; COMPUTE_PGM_RSRC2:TGID_Z_EN: 0
; COMPUTE_PGM_RSRC2:TIDIG_COMP_CNT: 0
	.section	.text._ZN7rocprim17ROCPRIM_400000_NS6detail17trampoline_kernelINS0_14default_configENS1_21merge_config_selectorINS0_5tupleIJttEEENS0_10empty_typeEEEZNS1_10merge_implIS3_NS0_12zip_iteratorINS5_IJN6thrust23THRUST_200600_302600_NS6detail15normal_iteratorINSC_10device_ptrIKtEEEESI_EEEEESK_NSA_INS5_IJNSE_INSF_ItEEEESM_EEEEEPS7_SP_SP_NSC_11hip_rocprim7__merge17predicate_wrapperIttNSC_4lessItEEEEEE10hipError_tPvRmT0_T1_T2_T3_T4_T5_mmT6_P12ihipStream_tbEUlT_E0_NS1_11comp_targetILNS1_3genE10ELNS1_11target_archE1201ELNS1_3gpuE5ELNS1_3repE0EEENS1_30default_config_static_selectorELNS0_4arch9wavefront6targetE0EEEvS10_,"axG",@progbits,_ZN7rocprim17ROCPRIM_400000_NS6detail17trampoline_kernelINS0_14default_configENS1_21merge_config_selectorINS0_5tupleIJttEEENS0_10empty_typeEEEZNS1_10merge_implIS3_NS0_12zip_iteratorINS5_IJN6thrust23THRUST_200600_302600_NS6detail15normal_iteratorINSC_10device_ptrIKtEEEESI_EEEEESK_NSA_INS5_IJNSE_INSF_ItEEEESM_EEEEEPS7_SP_SP_NSC_11hip_rocprim7__merge17predicate_wrapperIttNSC_4lessItEEEEEE10hipError_tPvRmT0_T1_T2_T3_T4_T5_mmT6_P12ihipStream_tbEUlT_E0_NS1_11comp_targetILNS1_3genE10ELNS1_11target_archE1201ELNS1_3gpuE5ELNS1_3repE0EEENS1_30default_config_static_selectorELNS0_4arch9wavefront6targetE0EEEvS10_,comdat
	.protected	_ZN7rocprim17ROCPRIM_400000_NS6detail17trampoline_kernelINS0_14default_configENS1_21merge_config_selectorINS0_5tupleIJttEEENS0_10empty_typeEEEZNS1_10merge_implIS3_NS0_12zip_iteratorINS5_IJN6thrust23THRUST_200600_302600_NS6detail15normal_iteratorINSC_10device_ptrIKtEEEESI_EEEEESK_NSA_INS5_IJNSE_INSF_ItEEEESM_EEEEEPS7_SP_SP_NSC_11hip_rocprim7__merge17predicate_wrapperIttNSC_4lessItEEEEEE10hipError_tPvRmT0_T1_T2_T3_T4_T5_mmT6_P12ihipStream_tbEUlT_E0_NS1_11comp_targetILNS1_3genE10ELNS1_11target_archE1201ELNS1_3gpuE5ELNS1_3repE0EEENS1_30default_config_static_selectorELNS0_4arch9wavefront6targetE0EEEvS10_ ; -- Begin function _ZN7rocprim17ROCPRIM_400000_NS6detail17trampoline_kernelINS0_14default_configENS1_21merge_config_selectorINS0_5tupleIJttEEENS0_10empty_typeEEEZNS1_10merge_implIS3_NS0_12zip_iteratorINS5_IJN6thrust23THRUST_200600_302600_NS6detail15normal_iteratorINSC_10device_ptrIKtEEEESI_EEEEESK_NSA_INS5_IJNSE_INSF_ItEEEESM_EEEEEPS7_SP_SP_NSC_11hip_rocprim7__merge17predicate_wrapperIttNSC_4lessItEEEEEE10hipError_tPvRmT0_T1_T2_T3_T4_T5_mmT6_P12ihipStream_tbEUlT_E0_NS1_11comp_targetILNS1_3genE10ELNS1_11target_archE1201ELNS1_3gpuE5ELNS1_3repE0EEENS1_30default_config_static_selectorELNS0_4arch9wavefront6targetE0EEEvS10_
	.globl	_ZN7rocprim17ROCPRIM_400000_NS6detail17trampoline_kernelINS0_14default_configENS1_21merge_config_selectorINS0_5tupleIJttEEENS0_10empty_typeEEEZNS1_10merge_implIS3_NS0_12zip_iteratorINS5_IJN6thrust23THRUST_200600_302600_NS6detail15normal_iteratorINSC_10device_ptrIKtEEEESI_EEEEESK_NSA_INS5_IJNSE_INSF_ItEEEESM_EEEEEPS7_SP_SP_NSC_11hip_rocprim7__merge17predicate_wrapperIttNSC_4lessItEEEEEE10hipError_tPvRmT0_T1_T2_T3_T4_T5_mmT6_P12ihipStream_tbEUlT_E0_NS1_11comp_targetILNS1_3genE10ELNS1_11target_archE1201ELNS1_3gpuE5ELNS1_3repE0EEENS1_30default_config_static_selectorELNS0_4arch9wavefront6targetE0EEEvS10_
	.p2align	8
	.type	_ZN7rocprim17ROCPRIM_400000_NS6detail17trampoline_kernelINS0_14default_configENS1_21merge_config_selectorINS0_5tupleIJttEEENS0_10empty_typeEEEZNS1_10merge_implIS3_NS0_12zip_iteratorINS5_IJN6thrust23THRUST_200600_302600_NS6detail15normal_iteratorINSC_10device_ptrIKtEEEESI_EEEEESK_NSA_INS5_IJNSE_INSF_ItEEEESM_EEEEEPS7_SP_SP_NSC_11hip_rocprim7__merge17predicate_wrapperIttNSC_4lessItEEEEEE10hipError_tPvRmT0_T1_T2_T3_T4_T5_mmT6_P12ihipStream_tbEUlT_E0_NS1_11comp_targetILNS1_3genE10ELNS1_11target_archE1201ELNS1_3gpuE5ELNS1_3repE0EEENS1_30default_config_static_selectorELNS0_4arch9wavefront6targetE0EEEvS10_,@function
_ZN7rocprim17ROCPRIM_400000_NS6detail17trampoline_kernelINS0_14default_configENS1_21merge_config_selectorINS0_5tupleIJttEEENS0_10empty_typeEEEZNS1_10merge_implIS3_NS0_12zip_iteratorINS5_IJN6thrust23THRUST_200600_302600_NS6detail15normal_iteratorINSC_10device_ptrIKtEEEESI_EEEEESK_NSA_INS5_IJNSE_INSF_ItEEEESM_EEEEEPS7_SP_SP_NSC_11hip_rocprim7__merge17predicate_wrapperIttNSC_4lessItEEEEEE10hipError_tPvRmT0_T1_T2_T3_T4_T5_mmT6_P12ihipStream_tbEUlT_E0_NS1_11comp_targetILNS1_3genE10ELNS1_11target_archE1201ELNS1_3gpuE5ELNS1_3repE0EEENS1_30default_config_static_selectorELNS0_4arch9wavefront6targetE0EEEvS10_: ; @_ZN7rocprim17ROCPRIM_400000_NS6detail17trampoline_kernelINS0_14default_configENS1_21merge_config_selectorINS0_5tupleIJttEEENS0_10empty_typeEEEZNS1_10merge_implIS3_NS0_12zip_iteratorINS5_IJN6thrust23THRUST_200600_302600_NS6detail15normal_iteratorINSC_10device_ptrIKtEEEESI_EEEEESK_NSA_INS5_IJNSE_INSF_ItEEEESM_EEEEEPS7_SP_SP_NSC_11hip_rocprim7__merge17predicate_wrapperIttNSC_4lessItEEEEEE10hipError_tPvRmT0_T1_T2_T3_T4_T5_mmT6_P12ihipStream_tbEUlT_E0_NS1_11comp_targetILNS1_3genE10ELNS1_11target_archE1201ELNS1_3gpuE5ELNS1_3repE0EEENS1_30default_config_static_selectorELNS0_4arch9wavefront6targetE0EEEvS10_
; %bb.0:
	.section	.rodata,"a",@progbits
	.p2align	6, 0x0
	.amdhsa_kernel _ZN7rocprim17ROCPRIM_400000_NS6detail17trampoline_kernelINS0_14default_configENS1_21merge_config_selectorINS0_5tupleIJttEEENS0_10empty_typeEEEZNS1_10merge_implIS3_NS0_12zip_iteratorINS5_IJN6thrust23THRUST_200600_302600_NS6detail15normal_iteratorINSC_10device_ptrIKtEEEESI_EEEEESK_NSA_INS5_IJNSE_INSF_ItEEEESM_EEEEEPS7_SP_SP_NSC_11hip_rocprim7__merge17predicate_wrapperIttNSC_4lessItEEEEEE10hipError_tPvRmT0_T1_T2_T3_T4_T5_mmT6_P12ihipStream_tbEUlT_E0_NS1_11comp_targetILNS1_3genE10ELNS1_11target_archE1201ELNS1_3gpuE5ELNS1_3repE0EEENS1_30default_config_static_selectorELNS0_4arch9wavefront6targetE0EEEvS10_
		.amdhsa_group_segment_fixed_size 0
		.amdhsa_private_segment_fixed_size 0
		.amdhsa_kernarg_size 112
		.amdhsa_user_sgpr_count 6
		.amdhsa_user_sgpr_private_segment_buffer 1
		.amdhsa_user_sgpr_dispatch_ptr 0
		.amdhsa_user_sgpr_queue_ptr 0
		.amdhsa_user_sgpr_kernarg_segment_ptr 1
		.amdhsa_user_sgpr_dispatch_id 0
		.amdhsa_user_sgpr_flat_scratch_init 0
		.amdhsa_user_sgpr_private_segment_size 0
		.amdhsa_wavefront_size32 1
		.amdhsa_uses_dynamic_stack 0
		.amdhsa_system_sgpr_private_segment_wavefront_offset 0
		.amdhsa_system_sgpr_workgroup_id_x 1
		.amdhsa_system_sgpr_workgroup_id_y 0
		.amdhsa_system_sgpr_workgroup_id_z 0
		.amdhsa_system_sgpr_workgroup_info 0
		.amdhsa_system_vgpr_workitem_id 0
		.amdhsa_next_free_vgpr 1
		.amdhsa_next_free_sgpr 1
		.amdhsa_reserve_vcc 0
		.amdhsa_reserve_flat_scratch 0
		.amdhsa_float_round_mode_32 0
		.amdhsa_float_round_mode_16_64 0
		.amdhsa_float_denorm_mode_32 3
		.amdhsa_float_denorm_mode_16_64 3
		.amdhsa_dx10_clamp 1
		.amdhsa_ieee_mode 1
		.amdhsa_fp16_overflow 0
		.amdhsa_workgroup_processor_mode 1
		.amdhsa_memory_ordered 1
		.amdhsa_forward_progress 1
		.amdhsa_shared_vgpr_count 0
		.amdhsa_exception_fp_ieee_invalid_op 0
		.amdhsa_exception_fp_denorm_src 0
		.amdhsa_exception_fp_ieee_div_zero 0
		.amdhsa_exception_fp_ieee_overflow 0
		.amdhsa_exception_fp_ieee_underflow 0
		.amdhsa_exception_fp_ieee_inexact 0
		.amdhsa_exception_int_div_zero 0
	.end_amdhsa_kernel
	.section	.text._ZN7rocprim17ROCPRIM_400000_NS6detail17trampoline_kernelINS0_14default_configENS1_21merge_config_selectorINS0_5tupleIJttEEENS0_10empty_typeEEEZNS1_10merge_implIS3_NS0_12zip_iteratorINS5_IJN6thrust23THRUST_200600_302600_NS6detail15normal_iteratorINSC_10device_ptrIKtEEEESI_EEEEESK_NSA_INS5_IJNSE_INSF_ItEEEESM_EEEEEPS7_SP_SP_NSC_11hip_rocprim7__merge17predicate_wrapperIttNSC_4lessItEEEEEE10hipError_tPvRmT0_T1_T2_T3_T4_T5_mmT6_P12ihipStream_tbEUlT_E0_NS1_11comp_targetILNS1_3genE10ELNS1_11target_archE1201ELNS1_3gpuE5ELNS1_3repE0EEENS1_30default_config_static_selectorELNS0_4arch9wavefront6targetE0EEEvS10_,"axG",@progbits,_ZN7rocprim17ROCPRIM_400000_NS6detail17trampoline_kernelINS0_14default_configENS1_21merge_config_selectorINS0_5tupleIJttEEENS0_10empty_typeEEEZNS1_10merge_implIS3_NS0_12zip_iteratorINS5_IJN6thrust23THRUST_200600_302600_NS6detail15normal_iteratorINSC_10device_ptrIKtEEEESI_EEEEESK_NSA_INS5_IJNSE_INSF_ItEEEESM_EEEEEPS7_SP_SP_NSC_11hip_rocprim7__merge17predicate_wrapperIttNSC_4lessItEEEEEE10hipError_tPvRmT0_T1_T2_T3_T4_T5_mmT6_P12ihipStream_tbEUlT_E0_NS1_11comp_targetILNS1_3genE10ELNS1_11target_archE1201ELNS1_3gpuE5ELNS1_3repE0EEENS1_30default_config_static_selectorELNS0_4arch9wavefront6targetE0EEEvS10_,comdat
.Lfunc_end184:
	.size	_ZN7rocprim17ROCPRIM_400000_NS6detail17trampoline_kernelINS0_14default_configENS1_21merge_config_selectorINS0_5tupleIJttEEENS0_10empty_typeEEEZNS1_10merge_implIS3_NS0_12zip_iteratorINS5_IJN6thrust23THRUST_200600_302600_NS6detail15normal_iteratorINSC_10device_ptrIKtEEEESI_EEEEESK_NSA_INS5_IJNSE_INSF_ItEEEESM_EEEEEPS7_SP_SP_NSC_11hip_rocprim7__merge17predicate_wrapperIttNSC_4lessItEEEEEE10hipError_tPvRmT0_T1_T2_T3_T4_T5_mmT6_P12ihipStream_tbEUlT_E0_NS1_11comp_targetILNS1_3genE10ELNS1_11target_archE1201ELNS1_3gpuE5ELNS1_3repE0EEENS1_30default_config_static_selectorELNS0_4arch9wavefront6targetE0EEEvS10_, .Lfunc_end184-_ZN7rocprim17ROCPRIM_400000_NS6detail17trampoline_kernelINS0_14default_configENS1_21merge_config_selectorINS0_5tupleIJttEEENS0_10empty_typeEEEZNS1_10merge_implIS3_NS0_12zip_iteratorINS5_IJN6thrust23THRUST_200600_302600_NS6detail15normal_iteratorINSC_10device_ptrIKtEEEESI_EEEEESK_NSA_INS5_IJNSE_INSF_ItEEEESM_EEEEEPS7_SP_SP_NSC_11hip_rocprim7__merge17predicate_wrapperIttNSC_4lessItEEEEEE10hipError_tPvRmT0_T1_T2_T3_T4_T5_mmT6_P12ihipStream_tbEUlT_E0_NS1_11comp_targetILNS1_3genE10ELNS1_11target_archE1201ELNS1_3gpuE5ELNS1_3repE0EEENS1_30default_config_static_selectorELNS0_4arch9wavefront6targetE0EEEvS10_
                                        ; -- End function
	.set _ZN7rocprim17ROCPRIM_400000_NS6detail17trampoline_kernelINS0_14default_configENS1_21merge_config_selectorINS0_5tupleIJttEEENS0_10empty_typeEEEZNS1_10merge_implIS3_NS0_12zip_iteratorINS5_IJN6thrust23THRUST_200600_302600_NS6detail15normal_iteratorINSC_10device_ptrIKtEEEESI_EEEEESK_NSA_INS5_IJNSE_INSF_ItEEEESM_EEEEEPS7_SP_SP_NSC_11hip_rocprim7__merge17predicate_wrapperIttNSC_4lessItEEEEEE10hipError_tPvRmT0_T1_T2_T3_T4_T5_mmT6_P12ihipStream_tbEUlT_E0_NS1_11comp_targetILNS1_3genE10ELNS1_11target_archE1201ELNS1_3gpuE5ELNS1_3repE0EEENS1_30default_config_static_selectorELNS0_4arch9wavefront6targetE0EEEvS10_.num_vgpr, 0
	.set _ZN7rocprim17ROCPRIM_400000_NS6detail17trampoline_kernelINS0_14default_configENS1_21merge_config_selectorINS0_5tupleIJttEEENS0_10empty_typeEEEZNS1_10merge_implIS3_NS0_12zip_iteratorINS5_IJN6thrust23THRUST_200600_302600_NS6detail15normal_iteratorINSC_10device_ptrIKtEEEESI_EEEEESK_NSA_INS5_IJNSE_INSF_ItEEEESM_EEEEEPS7_SP_SP_NSC_11hip_rocprim7__merge17predicate_wrapperIttNSC_4lessItEEEEEE10hipError_tPvRmT0_T1_T2_T3_T4_T5_mmT6_P12ihipStream_tbEUlT_E0_NS1_11comp_targetILNS1_3genE10ELNS1_11target_archE1201ELNS1_3gpuE5ELNS1_3repE0EEENS1_30default_config_static_selectorELNS0_4arch9wavefront6targetE0EEEvS10_.num_agpr, 0
	.set _ZN7rocprim17ROCPRIM_400000_NS6detail17trampoline_kernelINS0_14default_configENS1_21merge_config_selectorINS0_5tupleIJttEEENS0_10empty_typeEEEZNS1_10merge_implIS3_NS0_12zip_iteratorINS5_IJN6thrust23THRUST_200600_302600_NS6detail15normal_iteratorINSC_10device_ptrIKtEEEESI_EEEEESK_NSA_INS5_IJNSE_INSF_ItEEEESM_EEEEEPS7_SP_SP_NSC_11hip_rocprim7__merge17predicate_wrapperIttNSC_4lessItEEEEEE10hipError_tPvRmT0_T1_T2_T3_T4_T5_mmT6_P12ihipStream_tbEUlT_E0_NS1_11comp_targetILNS1_3genE10ELNS1_11target_archE1201ELNS1_3gpuE5ELNS1_3repE0EEENS1_30default_config_static_selectorELNS0_4arch9wavefront6targetE0EEEvS10_.numbered_sgpr, 0
	.set _ZN7rocprim17ROCPRIM_400000_NS6detail17trampoline_kernelINS0_14default_configENS1_21merge_config_selectorINS0_5tupleIJttEEENS0_10empty_typeEEEZNS1_10merge_implIS3_NS0_12zip_iteratorINS5_IJN6thrust23THRUST_200600_302600_NS6detail15normal_iteratorINSC_10device_ptrIKtEEEESI_EEEEESK_NSA_INS5_IJNSE_INSF_ItEEEESM_EEEEEPS7_SP_SP_NSC_11hip_rocprim7__merge17predicate_wrapperIttNSC_4lessItEEEEEE10hipError_tPvRmT0_T1_T2_T3_T4_T5_mmT6_P12ihipStream_tbEUlT_E0_NS1_11comp_targetILNS1_3genE10ELNS1_11target_archE1201ELNS1_3gpuE5ELNS1_3repE0EEENS1_30default_config_static_selectorELNS0_4arch9wavefront6targetE0EEEvS10_.num_named_barrier, 0
	.set _ZN7rocprim17ROCPRIM_400000_NS6detail17trampoline_kernelINS0_14default_configENS1_21merge_config_selectorINS0_5tupleIJttEEENS0_10empty_typeEEEZNS1_10merge_implIS3_NS0_12zip_iteratorINS5_IJN6thrust23THRUST_200600_302600_NS6detail15normal_iteratorINSC_10device_ptrIKtEEEESI_EEEEESK_NSA_INS5_IJNSE_INSF_ItEEEESM_EEEEEPS7_SP_SP_NSC_11hip_rocprim7__merge17predicate_wrapperIttNSC_4lessItEEEEEE10hipError_tPvRmT0_T1_T2_T3_T4_T5_mmT6_P12ihipStream_tbEUlT_E0_NS1_11comp_targetILNS1_3genE10ELNS1_11target_archE1201ELNS1_3gpuE5ELNS1_3repE0EEENS1_30default_config_static_selectorELNS0_4arch9wavefront6targetE0EEEvS10_.private_seg_size, 0
	.set _ZN7rocprim17ROCPRIM_400000_NS6detail17trampoline_kernelINS0_14default_configENS1_21merge_config_selectorINS0_5tupleIJttEEENS0_10empty_typeEEEZNS1_10merge_implIS3_NS0_12zip_iteratorINS5_IJN6thrust23THRUST_200600_302600_NS6detail15normal_iteratorINSC_10device_ptrIKtEEEESI_EEEEESK_NSA_INS5_IJNSE_INSF_ItEEEESM_EEEEEPS7_SP_SP_NSC_11hip_rocprim7__merge17predicate_wrapperIttNSC_4lessItEEEEEE10hipError_tPvRmT0_T1_T2_T3_T4_T5_mmT6_P12ihipStream_tbEUlT_E0_NS1_11comp_targetILNS1_3genE10ELNS1_11target_archE1201ELNS1_3gpuE5ELNS1_3repE0EEENS1_30default_config_static_selectorELNS0_4arch9wavefront6targetE0EEEvS10_.uses_vcc, 0
	.set _ZN7rocprim17ROCPRIM_400000_NS6detail17trampoline_kernelINS0_14default_configENS1_21merge_config_selectorINS0_5tupleIJttEEENS0_10empty_typeEEEZNS1_10merge_implIS3_NS0_12zip_iteratorINS5_IJN6thrust23THRUST_200600_302600_NS6detail15normal_iteratorINSC_10device_ptrIKtEEEESI_EEEEESK_NSA_INS5_IJNSE_INSF_ItEEEESM_EEEEEPS7_SP_SP_NSC_11hip_rocprim7__merge17predicate_wrapperIttNSC_4lessItEEEEEE10hipError_tPvRmT0_T1_T2_T3_T4_T5_mmT6_P12ihipStream_tbEUlT_E0_NS1_11comp_targetILNS1_3genE10ELNS1_11target_archE1201ELNS1_3gpuE5ELNS1_3repE0EEENS1_30default_config_static_selectorELNS0_4arch9wavefront6targetE0EEEvS10_.uses_flat_scratch, 0
	.set _ZN7rocprim17ROCPRIM_400000_NS6detail17trampoline_kernelINS0_14default_configENS1_21merge_config_selectorINS0_5tupleIJttEEENS0_10empty_typeEEEZNS1_10merge_implIS3_NS0_12zip_iteratorINS5_IJN6thrust23THRUST_200600_302600_NS6detail15normal_iteratorINSC_10device_ptrIKtEEEESI_EEEEESK_NSA_INS5_IJNSE_INSF_ItEEEESM_EEEEEPS7_SP_SP_NSC_11hip_rocprim7__merge17predicate_wrapperIttNSC_4lessItEEEEEE10hipError_tPvRmT0_T1_T2_T3_T4_T5_mmT6_P12ihipStream_tbEUlT_E0_NS1_11comp_targetILNS1_3genE10ELNS1_11target_archE1201ELNS1_3gpuE5ELNS1_3repE0EEENS1_30default_config_static_selectorELNS0_4arch9wavefront6targetE0EEEvS10_.has_dyn_sized_stack, 0
	.set _ZN7rocprim17ROCPRIM_400000_NS6detail17trampoline_kernelINS0_14default_configENS1_21merge_config_selectorINS0_5tupleIJttEEENS0_10empty_typeEEEZNS1_10merge_implIS3_NS0_12zip_iteratorINS5_IJN6thrust23THRUST_200600_302600_NS6detail15normal_iteratorINSC_10device_ptrIKtEEEESI_EEEEESK_NSA_INS5_IJNSE_INSF_ItEEEESM_EEEEEPS7_SP_SP_NSC_11hip_rocprim7__merge17predicate_wrapperIttNSC_4lessItEEEEEE10hipError_tPvRmT0_T1_T2_T3_T4_T5_mmT6_P12ihipStream_tbEUlT_E0_NS1_11comp_targetILNS1_3genE10ELNS1_11target_archE1201ELNS1_3gpuE5ELNS1_3repE0EEENS1_30default_config_static_selectorELNS0_4arch9wavefront6targetE0EEEvS10_.has_recursion, 0
	.set _ZN7rocprim17ROCPRIM_400000_NS6detail17trampoline_kernelINS0_14default_configENS1_21merge_config_selectorINS0_5tupleIJttEEENS0_10empty_typeEEEZNS1_10merge_implIS3_NS0_12zip_iteratorINS5_IJN6thrust23THRUST_200600_302600_NS6detail15normal_iteratorINSC_10device_ptrIKtEEEESI_EEEEESK_NSA_INS5_IJNSE_INSF_ItEEEESM_EEEEEPS7_SP_SP_NSC_11hip_rocprim7__merge17predicate_wrapperIttNSC_4lessItEEEEEE10hipError_tPvRmT0_T1_T2_T3_T4_T5_mmT6_P12ihipStream_tbEUlT_E0_NS1_11comp_targetILNS1_3genE10ELNS1_11target_archE1201ELNS1_3gpuE5ELNS1_3repE0EEENS1_30default_config_static_selectorELNS0_4arch9wavefront6targetE0EEEvS10_.has_indirect_call, 0
	.section	.AMDGPU.csdata,"",@progbits
; Kernel info:
; codeLenInByte = 0
; TotalNumSgprs: 0
; NumVgprs: 0
; ScratchSize: 0
; MemoryBound: 0
; FloatMode: 240
; IeeeMode: 1
; LDSByteSize: 0 bytes/workgroup (compile time only)
; SGPRBlocks: 0
; VGPRBlocks: 0
; NumSGPRsForWavesPerEU: 1
; NumVGPRsForWavesPerEU: 1
; Occupancy: 16
; WaveLimiterHint : 0
; COMPUTE_PGM_RSRC2:SCRATCH_EN: 0
; COMPUTE_PGM_RSRC2:USER_SGPR: 6
; COMPUTE_PGM_RSRC2:TRAP_HANDLER: 0
; COMPUTE_PGM_RSRC2:TGID_X_EN: 1
; COMPUTE_PGM_RSRC2:TGID_Y_EN: 0
; COMPUTE_PGM_RSRC2:TGID_Z_EN: 0
; COMPUTE_PGM_RSRC2:TIDIG_COMP_CNT: 0
	.section	.text._ZN7rocprim17ROCPRIM_400000_NS6detail17trampoline_kernelINS0_14default_configENS1_21merge_config_selectorINS0_5tupleIJttEEENS0_10empty_typeEEEZNS1_10merge_implIS3_NS0_12zip_iteratorINS5_IJN6thrust23THRUST_200600_302600_NS6detail15normal_iteratorINSC_10device_ptrIKtEEEESI_EEEEESK_NSA_INS5_IJNSE_INSF_ItEEEESM_EEEEEPS7_SP_SP_NSC_11hip_rocprim7__merge17predicate_wrapperIttNSC_4lessItEEEEEE10hipError_tPvRmT0_T1_T2_T3_T4_T5_mmT6_P12ihipStream_tbEUlT_E0_NS1_11comp_targetILNS1_3genE10ELNS1_11target_archE1200ELNS1_3gpuE4ELNS1_3repE0EEENS1_30default_config_static_selectorELNS0_4arch9wavefront6targetE0EEEvS10_,"axG",@progbits,_ZN7rocprim17ROCPRIM_400000_NS6detail17trampoline_kernelINS0_14default_configENS1_21merge_config_selectorINS0_5tupleIJttEEENS0_10empty_typeEEEZNS1_10merge_implIS3_NS0_12zip_iteratorINS5_IJN6thrust23THRUST_200600_302600_NS6detail15normal_iteratorINSC_10device_ptrIKtEEEESI_EEEEESK_NSA_INS5_IJNSE_INSF_ItEEEESM_EEEEEPS7_SP_SP_NSC_11hip_rocprim7__merge17predicate_wrapperIttNSC_4lessItEEEEEE10hipError_tPvRmT0_T1_T2_T3_T4_T5_mmT6_P12ihipStream_tbEUlT_E0_NS1_11comp_targetILNS1_3genE10ELNS1_11target_archE1200ELNS1_3gpuE4ELNS1_3repE0EEENS1_30default_config_static_selectorELNS0_4arch9wavefront6targetE0EEEvS10_,comdat
	.protected	_ZN7rocprim17ROCPRIM_400000_NS6detail17trampoline_kernelINS0_14default_configENS1_21merge_config_selectorINS0_5tupleIJttEEENS0_10empty_typeEEEZNS1_10merge_implIS3_NS0_12zip_iteratorINS5_IJN6thrust23THRUST_200600_302600_NS6detail15normal_iteratorINSC_10device_ptrIKtEEEESI_EEEEESK_NSA_INS5_IJNSE_INSF_ItEEEESM_EEEEEPS7_SP_SP_NSC_11hip_rocprim7__merge17predicate_wrapperIttNSC_4lessItEEEEEE10hipError_tPvRmT0_T1_T2_T3_T4_T5_mmT6_P12ihipStream_tbEUlT_E0_NS1_11comp_targetILNS1_3genE10ELNS1_11target_archE1200ELNS1_3gpuE4ELNS1_3repE0EEENS1_30default_config_static_selectorELNS0_4arch9wavefront6targetE0EEEvS10_ ; -- Begin function _ZN7rocprim17ROCPRIM_400000_NS6detail17trampoline_kernelINS0_14default_configENS1_21merge_config_selectorINS0_5tupleIJttEEENS0_10empty_typeEEEZNS1_10merge_implIS3_NS0_12zip_iteratorINS5_IJN6thrust23THRUST_200600_302600_NS6detail15normal_iteratorINSC_10device_ptrIKtEEEESI_EEEEESK_NSA_INS5_IJNSE_INSF_ItEEEESM_EEEEEPS7_SP_SP_NSC_11hip_rocprim7__merge17predicate_wrapperIttNSC_4lessItEEEEEE10hipError_tPvRmT0_T1_T2_T3_T4_T5_mmT6_P12ihipStream_tbEUlT_E0_NS1_11comp_targetILNS1_3genE10ELNS1_11target_archE1200ELNS1_3gpuE4ELNS1_3repE0EEENS1_30default_config_static_selectorELNS0_4arch9wavefront6targetE0EEEvS10_
	.globl	_ZN7rocprim17ROCPRIM_400000_NS6detail17trampoline_kernelINS0_14default_configENS1_21merge_config_selectorINS0_5tupleIJttEEENS0_10empty_typeEEEZNS1_10merge_implIS3_NS0_12zip_iteratorINS5_IJN6thrust23THRUST_200600_302600_NS6detail15normal_iteratorINSC_10device_ptrIKtEEEESI_EEEEESK_NSA_INS5_IJNSE_INSF_ItEEEESM_EEEEEPS7_SP_SP_NSC_11hip_rocprim7__merge17predicate_wrapperIttNSC_4lessItEEEEEE10hipError_tPvRmT0_T1_T2_T3_T4_T5_mmT6_P12ihipStream_tbEUlT_E0_NS1_11comp_targetILNS1_3genE10ELNS1_11target_archE1200ELNS1_3gpuE4ELNS1_3repE0EEENS1_30default_config_static_selectorELNS0_4arch9wavefront6targetE0EEEvS10_
	.p2align	8
	.type	_ZN7rocprim17ROCPRIM_400000_NS6detail17trampoline_kernelINS0_14default_configENS1_21merge_config_selectorINS0_5tupleIJttEEENS0_10empty_typeEEEZNS1_10merge_implIS3_NS0_12zip_iteratorINS5_IJN6thrust23THRUST_200600_302600_NS6detail15normal_iteratorINSC_10device_ptrIKtEEEESI_EEEEESK_NSA_INS5_IJNSE_INSF_ItEEEESM_EEEEEPS7_SP_SP_NSC_11hip_rocprim7__merge17predicate_wrapperIttNSC_4lessItEEEEEE10hipError_tPvRmT0_T1_T2_T3_T4_T5_mmT6_P12ihipStream_tbEUlT_E0_NS1_11comp_targetILNS1_3genE10ELNS1_11target_archE1200ELNS1_3gpuE4ELNS1_3repE0EEENS1_30default_config_static_selectorELNS0_4arch9wavefront6targetE0EEEvS10_,@function
_ZN7rocprim17ROCPRIM_400000_NS6detail17trampoline_kernelINS0_14default_configENS1_21merge_config_selectorINS0_5tupleIJttEEENS0_10empty_typeEEEZNS1_10merge_implIS3_NS0_12zip_iteratorINS5_IJN6thrust23THRUST_200600_302600_NS6detail15normal_iteratorINSC_10device_ptrIKtEEEESI_EEEEESK_NSA_INS5_IJNSE_INSF_ItEEEESM_EEEEEPS7_SP_SP_NSC_11hip_rocprim7__merge17predicate_wrapperIttNSC_4lessItEEEEEE10hipError_tPvRmT0_T1_T2_T3_T4_T5_mmT6_P12ihipStream_tbEUlT_E0_NS1_11comp_targetILNS1_3genE10ELNS1_11target_archE1200ELNS1_3gpuE4ELNS1_3repE0EEENS1_30default_config_static_selectorELNS0_4arch9wavefront6targetE0EEEvS10_: ; @_ZN7rocprim17ROCPRIM_400000_NS6detail17trampoline_kernelINS0_14default_configENS1_21merge_config_selectorINS0_5tupleIJttEEENS0_10empty_typeEEEZNS1_10merge_implIS3_NS0_12zip_iteratorINS5_IJN6thrust23THRUST_200600_302600_NS6detail15normal_iteratorINSC_10device_ptrIKtEEEESI_EEEEESK_NSA_INS5_IJNSE_INSF_ItEEEESM_EEEEEPS7_SP_SP_NSC_11hip_rocprim7__merge17predicate_wrapperIttNSC_4lessItEEEEEE10hipError_tPvRmT0_T1_T2_T3_T4_T5_mmT6_P12ihipStream_tbEUlT_E0_NS1_11comp_targetILNS1_3genE10ELNS1_11target_archE1200ELNS1_3gpuE4ELNS1_3repE0EEENS1_30default_config_static_selectorELNS0_4arch9wavefront6targetE0EEEvS10_
; %bb.0:
	.section	.rodata,"a",@progbits
	.p2align	6, 0x0
	.amdhsa_kernel _ZN7rocprim17ROCPRIM_400000_NS6detail17trampoline_kernelINS0_14default_configENS1_21merge_config_selectorINS0_5tupleIJttEEENS0_10empty_typeEEEZNS1_10merge_implIS3_NS0_12zip_iteratorINS5_IJN6thrust23THRUST_200600_302600_NS6detail15normal_iteratorINSC_10device_ptrIKtEEEESI_EEEEESK_NSA_INS5_IJNSE_INSF_ItEEEESM_EEEEEPS7_SP_SP_NSC_11hip_rocprim7__merge17predicate_wrapperIttNSC_4lessItEEEEEE10hipError_tPvRmT0_T1_T2_T3_T4_T5_mmT6_P12ihipStream_tbEUlT_E0_NS1_11comp_targetILNS1_3genE10ELNS1_11target_archE1200ELNS1_3gpuE4ELNS1_3repE0EEENS1_30default_config_static_selectorELNS0_4arch9wavefront6targetE0EEEvS10_
		.amdhsa_group_segment_fixed_size 0
		.amdhsa_private_segment_fixed_size 0
		.amdhsa_kernarg_size 112
		.amdhsa_user_sgpr_count 6
		.amdhsa_user_sgpr_private_segment_buffer 1
		.amdhsa_user_sgpr_dispatch_ptr 0
		.amdhsa_user_sgpr_queue_ptr 0
		.amdhsa_user_sgpr_kernarg_segment_ptr 1
		.amdhsa_user_sgpr_dispatch_id 0
		.amdhsa_user_sgpr_flat_scratch_init 0
		.amdhsa_user_sgpr_private_segment_size 0
		.amdhsa_wavefront_size32 1
		.amdhsa_uses_dynamic_stack 0
		.amdhsa_system_sgpr_private_segment_wavefront_offset 0
		.amdhsa_system_sgpr_workgroup_id_x 1
		.amdhsa_system_sgpr_workgroup_id_y 0
		.amdhsa_system_sgpr_workgroup_id_z 0
		.amdhsa_system_sgpr_workgroup_info 0
		.amdhsa_system_vgpr_workitem_id 0
		.amdhsa_next_free_vgpr 1
		.amdhsa_next_free_sgpr 1
		.amdhsa_reserve_vcc 0
		.amdhsa_reserve_flat_scratch 0
		.amdhsa_float_round_mode_32 0
		.amdhsa_float_round_mode_16_64 0
		.amdhsa_float_denorm_mode_32 3
		.amdhsa_float_denorm_mode_16_64 3
		.amdhsa_dx10_clamp 1
		.amdhsa_ieee_mode 1
		.amdhsa_fp16_overflow 0
		.amdhsa_workgroup_processor_mode 1
		.amdhsa_memory_ordered 1
		.amdhsa_forward_progress 1
		.amdhsa_shared_vgpr_count 0
		.amdhsa_exception_fp_ieee_invalid_op 0
		.amdhsa_exception_fp_denorm_src 0
		.amdhsa_exception_fp_ieee_div_zero 0
		.amdhsa_exception_fp_ieee_overflow 0
		.amdhsa_exception_fp_ieee_underflow 0
		.amdhsa_exception_fp_ieee_inexact 0
		.amdhsa_exception_int_div_zero 0
	.end_amdhsa_kernel
	.section	.text._ZN7rocprim17ROCPRIM_400000_NS6detail17trampoline_kernelINS0_14default_configENS1_21merge_config_selectorINS0_5tupleIJttEEENS0_10empty_typeEEEZNS1_10merge_implIS3_NS0_12zip_iteratorINS5_IJN6thrust23THRUST_200600_302600_NS6detail15normal_iteratorINSC_10device_ptrIKtEEEESI_EEEEESK_NSA_INS5_IJNSE_INSF_ItEEEESM_EEEEEPS7_SP_SP_NSC_11hip_rocprim7__merge17predicate_wrapperIttNSC_4lessItEEEEEE10hipError_tPvRmT0_T1_T2_T3_T4_T5_mmT6_P12ihipStream_tbEUlT_E0_NS1_11comp_targetILNS1_3genE10ELNS1_11target_archE1200ELNS1_3gpuE4ELNS1_3repE0EEENS1_30default_config_static_selectorELNS0_4arch9wavefront6targetE0EEEvS10_,"axG",@progbits,_ZN7rocprim17ROCPRIM_400000_NS6detail17trampoline_kernelINS0_14default_configENS1_21merge_config_selectorINS0_5tupleIJttEEENS0_10empty_typeEEEZNS1_10merge_implIS3_NS0_12zip_iteratorINS5_IJN6thrust23THRUST_200600_302600_NS6detail15normal_iteratorINSC_10device_ptrIKtEEEESI_EEEEESK_NSA_INS5_IJNSE_INSF_ItEEEESM_EEEEEPS7_SP_SP_NSC_11hip_rocprim7__merge17predicate_wrapperIttNSC_4lessItEEEEEE10hipError_tPvRmT0_T1_T2_T3_T4_T5_mmT6_P12ihipStream_tbEUlT_E0_NS1_11comp_targetILNS1_3genE10ELNS1_11target_archE1200ELNS1_3gpuE4ELNS1_3repE0EEENS1_30default_config_static_selectorELNS0_4arch9wavefront6targetE0EEEvS10_,comdat
.Lfunc_end185:
	.size	_ZN7rocprim17ROCPRIM_400000_NS6detail17trampoline_kernelINS0_14default_configENS1_21merge_config_selectorINS0_5tupleIJttEEENS0_10empty_typeEEEZNS1_10merge_implIS3_NS0_12zip_iteratorINS5_IJN6thrust23THRUST_200600_302600_NS6detail15normal_iteratorINSC_10device_ptrIKtEEEESI_EEEEESK_NSA_INS5_IJNSE_INSF_ItEEEESM_EEEEEPS7_SP_SP_NSC_11hip_rocprim7__merge17predicate_wrapperIttNSC_4lessItEEEEEE10hipError_tPvRmT0_T1_T2_T3_T4_T5_mmT6_P12ihipStream_tbEUlT_E0_NS1_11comp_targetILNS1_3genE10ELNS1_11target_archE1200ELNS1_3gpuE4ELNS1_3repE0EEENS1_30default_config_static_selectorELNS0_4arch9wavefront6targetE0EEEvS10_, .Lfunc_end185-_ZN7rocprim17ROCPRIM_400000_NS6detail17trampoline_kernelINS0_14default_configENS1_21merge_config_selectorINS0_5tupleIJttEEENS0_10empty_typeEEEZNS1_10merge_implIS3_NS0_12zip_iteratorINS5_IJN6thrust23THRUST_200600_302600_NS6detail15normal_iteratorINSC_10device_ptrIKtEEEESI_EEEEESK_NSA_INS5_IJNSE_INSF_ItEEEESM_EEEEEPS7_SP_SP_NSC_11hip_rocprim7__merge17predicate_wrapperIttNSC_4lessItEEEEEE10hipError_tPvRmT0_T1_T2_T3_T4_T5_mmT6_P12ihipStream_tbEUlT_E0_NS1_11comp_targetILNS1_3genE10ELNS1_11target_archE1200ELNS1_3gpuE4ELNS1_3repE0EEENS1_30default_config_static_selectorELNS0_4arch9wavefront6targetE0EEEvS10_
                                        ; -- End function
	.set _ZN7rocprim17ROCPRIM_400000_NS6detail17trampoline_kernelINS0_14default_configENS1_21merge_config_selectorINS0_5tupleIJttEEENS0_10empty_typeEEEZNS1_10merge_implIS3_NS0_12zip_iteratorINS5_IJN6thrust23THRUST_200600_302600_NS6detail15normal_iteratorINSC_10device_ptrIKtEEEESI_EEEEESK_NSA_INS5_IJNSE_INSF_ItEEEESM_EEEEEPS7_SP_SP_NSC_11hip_rocprim7__merge17predicate_wrapperIttNSC_4lessItEEEEEE10hipError_tPvRmT0_T1_T2_T3_T4_T5_mmT6_P12ihipStream_tbEUlT_E0_NS1_11comp_targetILNS1_3genE10ELNS1_11target_archE1200ELNS1_3gpuE4ELNS1_3repE0EEENS1_30default_config_static_selectorELNS0_4arch9wavefront6targetE0EEEvS10_.num_vgpr, 0
	.set _ZN7rocprim17ROCPRIM_400000_NS6detail17trampoline_kernelINS0_14default_configENS1_21merge_config_selectorINS0_5tupleIJttEEENS0_10empty_typeEEEZNS1_10merge_implIS3_NS0_12zip_iteratorINS5_IJN6thrust23THRUST_200600_302600_NS6detail15normal_iteratorINSC_10device_ptrIKtEEEESI_EEEEESK_NSA_INS5_IJNSE_INSF_ItEEEESM_EEEEEPS7_SP_SP_NSC_11hip_rocprim7__merge17predicate_wrapperIttNSC_4lessItEEEEEE10hipError_tPvRmT0_T1_T2_T3_T4_T5_mmT6_P12ihipStream_tbEUlT_E0_NS1_11comp_targetILNS1_3genE10ELNS1_11target_archE1200ELNS1_3gpuE4ELNS1_3repE0EEENS1_30default_config_static_selectorELNS0_4arch9wavefront6targetE0EEEvS10_.num_agpr, 0
	.set _ZN7rocprim17ROCPRIM_400000_NS6detail17trampoline_kernelINS0_14default_configENS1_21merge_config_selectorINS0_5tupleIJttEEENS0_10empty_typeEEEZNS1_10merge_implIS3_NS0_12zip_iteratorINS5_IJN6thrust23THRUST_200600_302600_NS6detail15normal_iteratorINSC_10device_ptrIKtEEEESI_EEEEESK_NSA_INS5_IJNSE_INSF_ItEEEESM_EEEEEPS7_SP_SP_NSC_11hip_rocprim7__merge17predicate_wrapperIttNSC_4lessItEEEEEE10hipError_tPvRmT0_T1_T2_T3_T4_T5_mmT6_P12ihipStream_tbEUlT_E0_NS1_11comp_targetILNS1_3genE10ELNS1_11target_archE1200ELNS1_3gpuE4ELNS1_3repE0EEENS1_30default_config_static_selectorELNS0_4arch9wavefront6targetE0EEEvS10_.numbered_sgpr, 0
	.set _ZN7rocprim17ROCPRIM_400000_NS6detail17trampoline_kernelINS0_14default_configENS1_21merge_config_selectorINS0_5tupleIJttEEENS0_10empty_typeEEEZNS1_10merge_implIS3_NS0_12zip_iteratorINS5_IJN6thrust23THRUST_200600_302600_NS6detail15normal_iteratorINSC_10device_ptrIKtEEEESI_EEEEESK_NSA_INS5_IJNSE_INSF_ItEEEESM_EEEEEPS7_SP_SP_NSC_11hip_rocprim7__merge17predicate_wrapperIttNSC_4lessItEEEEEE10hipError_tPvRmT0_T1_T2_T3_T4_T5_mmT6_P12ihipStream_tbEUlT_E0_NS1_11comp_targetILNS1_3genE10ELNS1_11target_archE1200ELNS1_3gpuE4ELNS1_3repE0EEENS1_30default_config_static_selectorELNS0_4arch9wavefront6targetE0EEEvS10_.num_named_barrier, 0
	.set _ZN7rocprim17ROCPRIM_400000_NS6detail17trampoline_kernelINS0_14default_configENS1_21merge_config_selectorINS0_5tupleIJttEEENS0_10empty_typeEEEZNS1_10merge_implIS3_NS0_12zip_iteratorINS5_IJN6thrust23THRUST_200600_302600_NS6detail15normal_iteratorINSC_10device_ptrIKtEEEESI_EEEEESK_NSA_INS5_IJNSE_INSF_ItEEEESM_EEEEEPS7_SP_SP_NSC_11hip_rocprim7__merge17predicate_wrapperIttNSC_4lessItEEEEEE10hipError_tPvRmT0_T1_T2_T3_T4_T5_mmT6_P12ihipStream_tbEUlT_E0_NS1_11comp_targetILNS1_3genE10ELNS1_11target_archE1200ELNS1_3gpuE4ELNS1_3repE0EEENS1_30default_config_static_selectorELNS0_4arch9wavefront6targetE0EEEvS10_.private_seg_size, 0
	.set _ZN7rocprim17ROCPRIM_400000_NS6detail17trampoline_kernelINS0_14default_configENS1_21merge_config_selectorINS0_5tupleIJttEEENS0_10empty_typeEEEZNS1_10merge_implIS3_NS0_12zip_iteratorINS5_IJN6thrust23THRUST_200600_302600_NS6detail15normal_iteratorINSC_10device_ptrIKtEEEESI_EEEEESK_NSA_INS5_IJNSE_INSF_ItEEEESM_EEEEEPS7_SP_SP_NSC_11hip_rocprim7__merge17predicate_wrapperIttNSC_4lessItEEEEEE10hipError_tPvRmT0_T1_T2_T3_T4_T5_mmT6_P12ihipStream_tbEUlT_E0_NS1_11comp_targetILNS1_3genE10ELNS1_11target_archE1200ELNS1_3gpuE4ELNS1_3repE0EEENS1_30default_config_static_selectorELNS0_4arch9wavefront6targetE0EEEvS10_.uses_vcc, 0
	.set _ZN7rocprim17ROCPRIM_400000_NS6detail17trampoline_kernelINS0_14default_configENS1_21merge_config_selectorINS0_5tupleIJttEEENS0_10empty_typeEEEZNS1_10merge_implIS3_NS0_12zip_iteratorINS5_IJN6thrust23THRUST_200600_302600_NS6detail15normal_iteratorINSC_10device_ptrIKtEEEESI_EEEEESK_NSA_INS5_IJNSE_INSF_ItEEEESM_EEEEEPS7_SP_SP_NSC_11hip_rocprim7__merge17predicate_wrapperIttNSC_4lessItEEEEEE10hipError_tPvRmT0_T1_T2_T3_T4_T5_mmT6_P12ihipStream_tbEUlT_E0_NS1_11comp_targetILNS1_3genE10ELNS1_11target_archE1200ELNS1_3gpuE4ELNS1_3repE0EEENS1_30default_config_static_selectorELNS0_4arch9wavefront6targetE0EEEvS10_.uses_flat_scratch, 0
	.set _ZN7rocprim17ROCPRIM_400000_NS6detail17trampoline_kernelINS0_14default_configENS1_21merge_config_selectorINS0_5tupleIJttEEENS0_10empty_typeEEEZNS1_10merge_implIS3_NS0_12zip_iteratorINS5_IJN6thrust23THRUST_200600_302600_NS6detail15normal_iteratorINSC_10device_ptrIKtEEEESI_EEEEESK_NSA_INS5_IJNSE_INSF_ItEEEESM_EEEEEPS7_SP_SP_NSC_11hip_rocprim7__merge17predicate_wrapperIttNSC_4lessItEEEEEE10hipError_tPvRmT0_T1_T2_T3_T4_T5_mmT6_P12ihipStream_tbEUlT_E0_NS1_11comp_targetILNS1_3genE10ELNS1_11target_archE1200ELNS1_3gpuE4ELNS1_3repE0EEENS1_30default_config_static_selectorELNS0_4arch9wavefront6targetE0EEEvS10_.has_dyn_sized_stack, 0
	.set _ZN7rocprim17ROCPRIM_400000_NS6detail17trampoline_kernelINS0_14default_configENS1_21merge_config_selectorINS0_5tupleIJttEEENS0_10empty_typeEEEZNS1_10merge_implIS3_NS0_12zip_iteratorINS5_IJN6thrust23THRUST_200600_302600_NS6detail15normal_iteratorINSC_10device_ptrIKtEEEESI_EEEEESK_NSA_INS5_IJNSE_INSF_ItEEEESM_EEEEEPS7_SP_SP_NSC_11hip_rocprim7__merge17predicate_wrapperIttNSC_4lessItEEEEEE10hipError_tPvRmT0_T1_T2_T3_T4_T5_mmT6_P12ihipStream_tbEUlT_E0_NS1_11comp_targetILNS1_3genE10ELNS1_11target_archE1200ELNS1_3gpuE4ELNS1_3repE0EEENS1_30default_config_static_selectorELNS0_4arch9wavefront6targetE0EEEvS10_.has_recursion, 0
	.set _ZN7rocprim17ROCPRIM_400000_NS6detail17trampoline_kernelINS0_14default_configENS1_21merge_config_selectorINS0_5tupleIJttEEENS0_10empty_typeEEEZNS1_10merge_implIS3_NS0_12zip_iteratorINS5_IJN6thrust23THRUST_200600_302600_NS6detail15normal_iteratorINSC_10device_ptrIKtEEEESI_EEEEESK_NSA_INS5_IJNSE_INSF_ItEEEESM_EEEEEPS7_SP_SP_NSC_11hip_rocprim7__merge17predicate_wrapperIttNSC_4lessItEEEEEE10hipError_tPvRmT0_T1_T2_T3_T4_T5_mmT6_P12ihipStream_tbEUlT_E0_NS1_11comp_targetILNS1_3genE10ELNS1_11target_archE1200ELNS1_3gpuE4ELNS1_3repE0EEENS1_30default_config_static_selectorELNS0_4arch9wavefront6targetE0EEEvS10_.has_indirect_call, 0
	.section	.AMDGPU.csdata,"",@progbits
; Kernel info:
; codeLenInByte = 0
; TotalNumSgprs: 0
; NumVgprs: 0
; ScratchSize: 0
; MemoryBound: 0
; FloatMode: 240
; IeeeMode: 1
; LDSByteSize: 0 bytes/workgroup (compile time only)
; SGPRBlocks: 0
; VGPRBlocks: 0
; NumSGPRsForWavesPerEU: 1
; NumVGPRsForWavesPerEU: 1
; Occupancy: 16
; WaveLimiterHint : 0
; COMPUTE_PGM_RSRC2:SCRATCH_EN: 0
; COMPUTE_PGM_RSRC2:USER_SGPR: 6
; COMPUTE_PGM_RSRC2:TRAP_HANDLER: 0
; COMPUTE_PGM_RSRC2:TGID_X_EN: 1
; COMPUTE_PGM_RSRC2:TGID_Y_EN: 0
; COMPUTE_PGM_RSRC2:TGID_Z_EN: 0
; COMPUTE_PGM_RSRC2:TIDIG_COMP_CNT: 0
	.section	.text._ZN7rocprim17ROCPRIM_400000_NS6detail17trampoline_kernelINS0_14default_configENS1_21merge_config_selectorINS0_5tupleIJttEEENS0_10empty_typeEEEZNS1_10merge_implIS3_NS0_12zip_iteratorINS5_IJN6thrust23THRUST_200600_302600_NS6detail15normal_iteratorINSC_10device_ptrIKtEEEESI_EEEEESK_NSA_INS5_IJNSE_INSF_ItEEEESM_EEEEEPS7_SP_SP_NSC_11hip_rocprim7__merge17predicate_wrapperIttNSC_4lessItEEEEEE10hipError_tPvRmT0_T1_T2_T3_T4_T5_mmT6_P12ihipStream_tbEUlT_E0_NS1_11comp_targetILNS1_3genE9ELNS1_11target_archE1100ELNS1_3gpuE3ELNS1_3repE0EEENS1_30default_config_static_selectorELNS0_4arch9wavefront6targetE0EEEvS10_,"axG",@progbits,_ZN7rocprim17ROCPRIM_400000_NS6detail17trampoline_kernelINS0_14default_configENS1_21merge_config_selectorINS0_5tupleIJttEEENS0_10empty_typeEEEZNS1_10merge_implIS3_NS0_12zip_iteratorINS5_IJN6thrust23THRUST_200600_302600_NS6detail15normal_iteratorINSC_10device_ptrIKtEEEESI_EEEEESK_NSA_INS5_IJNSE_INSF_ItEEEESM_EEEEEPS7_SP_SP_NSC_11hip_rocprim7__merge17predicate_wrapperIttNSC_4lessItEEEEEE10hipError_tPvRmT0_T1_T2_T3_T4_T5_mmT6_P12ihipStream_tbEUlT_E0_NS1_11comp_targetILNS1_3genE9ELNS1_11target_archE1100ELNS1_3gpuE3ELNS1_3repE0EEENS1_30default_config_static_selectorELNS0_4arch9wavefront6targetE0EEEvS10_,comdat
	.protected	_ZN7rocprim17ROCPRIM_400000_NS6detail17trampoline_kernelINS0_14default_configENS1_21merge_config_selectorINS0_5tupleIJttEEENS0_10empty_typeEEEZNS1_10merge_implIS3_NS0_12zip_iteratorINS5_IJN6thrust23THRUST_200600_302600_NS6detail15normal_iteratorINSC_10device_ptrIKtEEEESI_EEEEESK_NSA_INS5_IJNSE_INSF_ItEEEESM_EEEEEPS7_SP_SP_NSC_11hip_rocprim7__merge17predicate_wrapperIttNSC_4lessItEEEEEE10hipError_tPvRmT0_T1_T2_T3_T4_T5_mmT6_P12ihipStream_tbEUlT_E0_NS1_11comp_targetILNS1_3genE9ELNS1_11target_archE1100ELNS1_3gpuE3ELNS1_3repE0EEENS1_30default_config_static_selectorELNS0_4arch9wavefront6targetE0EEEvS10_ ; -- Begin function _ZN7rocprim17ROCPRIM_400000_NS6detail17trampoline_kernelINS0_14default_configENS1_21merge_config_selectorINS0_5tupleIJttEEENS0_10empty_typeEEEZNS1_10merge_implIS3_NS0_12zip_iteratorINS5_IJN6thrust23THRUST_200600_302600_NS6detail15normal_iteratorINSC_10device_ptrIKtEEEESI_EEEEESK_NSA_INS5_IJNSE_INSF_ItEEEESM_EEEEEPS7_SP_SP_NSC_11hip_rocprim7__merge17predicate_wrapperIttNSC_4lessItEEEEEE10hipError_tPvRmT0_T1_T2_T3_T4_T5_mmT6_P12ihipStream_tbEUlT_E0_NS1_11comp_targetILNS1_3genE9ELNS1_11target_archE1100ELNS1_3gpuE3ELNS1_3repE0EEENS1_30default_config_static_selectorELNS0_4arch9wavefront6targetE0EEEvS10_
	.globl	_ZN7rocprim17ROCPRIM_400000_NS6detail17trampoline_kernelINS0_14default_configENS1_21merge_config_selectorINS0_5tupleIJttEEENS0_10empty_typeEEEZNS1_10merge_implIS3_NS0_12zip_iteratorINS5_IJN6thrust23THRUST_200600_302600_NS6detail15normal_iteratorINSC_10device_ptrIKtEEEESI_EEEEESK_NSA_INS5_IJNSE_INSF_ItEEEESM_EEEEEPS7_SP_SP_NSC_11hip_rocprim7__merge17predicate_wrapperIttNSC_4lessItEEEEEE10hipError_tPvRmT0_T1_T2_T3_T4_T5_mmT6_P12ihipStream_tbEUlT_E0_NS1_11comp_targetILNS1_3genE9ELNS1_11target_archE1100ELNS1_3gpuE3ELNS1_3repE0EEENS1_30default_config_static_selectorELNS0_4arch9wavefront6targetE0EEEvS10_
	.p2align	8
	.type	_ZN7rocprim17ROCPRIM_400000_NS6detail17trampoline_kernelINS0_14default_configENS1_21merge_config_selectorINS0_5tupleIJttEEENS0_10empty_typeEEEZNS1_10merge_implIS3_NS0_12zip_iteratorINS5_IJN6thrust23THRUST_200600_302600_NS6detail15normal_iteratorINSC_10device_ptrIKtEEEESI_EEEEESK_NSA_INS5_IJNSE_INSF_ItEEEESM_EEEEEPS7_SP_SP_NSC_11hip_rocprim7__merge17predicate_wrapperIttNSC_4lessItEEEEEE10hipError_tPvRmT0_T1_T2_T3_T4_T5_mmT6_P12ihipStream_tbEUlT_E0_NS1_11comp_targetILNS1_3genE9ELNS1_11target_archE1100ELNS1_3gpuE3ELNS1_3repE0EEENS1_30default_config_static_selectorELNS0_4arch9wavefront6targetE0EEEvS10_,@function
_ZN7rocprim17ROCPRIM_400000_NS6detail17trampoline_kernelINS0_14default_configENS1_21merge_config_selectorINS0_5tupleIJttEEENS0_10empty_typeEEEZNS1_10merge_implIS3_NS0_12zip_iteratorINS5_IJN6thrust23THRUST_200600_302600_NS6detail15normal_iteratorINSC_10device_ptrIKtEEEESI_EEEEESK_NSA_INS5_IJNSE_INSF_ItEEEESM_EEEEEPS7_SP_SP_NSC_11hip_rocprim7__merge17predicate_wrapperIttNSC_4lessItEEEEEE10hipError_tPvRmT0_T1_T2_T3_T4_T5_mmT6_P12ihipStream_tbEUlT_E0_NS1_11comp_targetILNS1_3genE9ELNS1_11target_archE1100ELNS1_3gpuE3ELNS1_3repE0EEENS1_30default_config_static_selectorELNS0_4arch9wavefront6targetE0EEEvS10_: ; @_ZN7rocprim17ROCPRIM_400000_NS6detail17trampoline_kernelINS0_14default_configENS1_21merge_config_selectorINS0_5tupleIJttEEENS0_10empty_typeEEEZNS1_10merge_implIS3_NS0_12zip_iteratorINS5_IJN6thrust23THRUST_200600_302600_NS6detail15normal_iteratorINSC_10device_ptrIKtEEEESI_EEEEESK_NSA_INS5_IJNSE_INSF_ItEEEESM_EEEEEPS7_SP_SP_NSC_11hip_rocprim7__merge17predicate_wrapperIttNSC_4lessItEEEEEE10hipError_tPvRmT0_T1_T2_T3_T4_T5_mmT6_P12ihipStream_tbEUlT_E0_NS1_11comp_targetILNS1_3genE9ELNS1_11target_archE1100ELNS1_3gpuE3ELNS1_3repE0EEENS1_30default_config_static_selectorELNS0_4arch9wavefront6targetE0EEEvS10_
; %bb.0:
	.section	.rodata,"a",@progbits
	.p2align	6, 0x0
	.amdhsa_kernel _ZN7rocprim17ROCPRIM_400000_NS6detail17trampoline_kernelINS0_14default_configENS1_21merge_config_selectorINS0_5tupleIJttEEENS0_10empty_typeEEEZNS1_10merge_implIS3_NS0_12zip_iteratorINS5_IJN6thrust23THRUST_200600_302600_NS6detail15normal_iteratorINSC_10device_ptrIKtEEEESI_EEEEESK_NSA_INS5_IJNSE_INSF_ItEEEESM_EEEEEPS7_SP_SP_NSC_11hip_rocprim7__merge17predicate_wrapperIttNSC_4lessItEEEEEE10hipError_tPvRmT0_T1_T2_T3_T4_T5_mmT6_P12ihipStream_tbEUlT_E0_NS1_11comp_targetILNS1_3genE9ELNS1_11target_archE1100ELNS1_3gpuE3ELNS1_3repE0EEENS1_30default_config_static_selectorELNS0_4arch9wavefront6targetE0EEEvS10_
		.amdhsa_group_segment_fixed_size 0
		.amdhsa_private_segment_fixed_size 0
		.amdhsa_kernarg_size 112
		.amdhsa_user_sgpr_count 6
		.amdhsa_user_sgpr_private_segment_buffer 1
		.amdhsa_user_sgpr_dispatch_ptr 0
		.amdhsa_user_sgpr_queue_ptr 0
		.amdhsa_user_sgpr_kernarg_segment_ptr 1
		.amdhsa_user_sgpr_dispatch_id 0
		.amdhsa_user_sgpr_flat_scratch_init 0
		.amdhsa_user_sgpr_private_segment_size 0
		.amdhsa_wavefront_size32 1
		.amdhsa_uses_dynamic_stack 0
		.amdhsa_system_sgpr_private_segment_wavefront_offset 0
		.amdhsa_system_sgpr_workgroup_id_x 1
		.amdhsa_system_sgpr_workgroup_id_y 0
		.amdhsa_system_sgpr_workgroup_id_z 0
		.amdhsa_system_sgpr_workgroup_info 0
		.amdhsa_system_vgpr_workitem_id 0
		.amdhsa_next_free_vgpr 1
		.amdhsa_next_free_sgpr 1
		.amdhsa_reserve_vcc 0
		.amdhsa_reserve_flat_scratch 0
		.amdhsa_float_round_mode_32 0
		.amdhsa_float_round_mode_16_64 0
		.amdhsa_float_denorm_mode_32 3
		.amdhsa_float_denorm_mode_16_64 3
		.amdhsa_dx10_clamp 1
		.amdhsa_ieee_mode 1
		.amdhsa_fp16_overflow 0
		.amdhsa_workgroup_processor_mode 1
		.amdhsa_memory_ordered 1
		.amdhsa_forward_progress 1
		.amdhsa_shared_vgpr_count 0
		.amdhsa_exception_fp_ieee_invalid_op 0
		.amdhsa_exception_fp_denorm_src 0
		.amdhsa_exception_fp_ieee_div_zero 0
		.amdhsa_exception_fp_ieee_overflow 0
		.amdhsa_exception_fp_ieee_underflow 0
		.amdhsa_exception_fp_ieee_inexact 0
		.amdhsa_exception_int_div_zero 0
	.end_amdhsa_kernel
	.section	.text._ZN7rocprim17ROCPRIM_400000_NS6detail17trampoline_kernelINS0_14default_configENS1_21merge_config_selectorINS0_5tupleIJttEEENS0_10empty_typeEEEZNS1_10merge_implIS3_NS0_12zip_iteratorINS5_IJN6thrust23THRUST_200600_302600_NS6detail15normal_iteratorINSC_10device_ptrIKtEEEESI_EEEEESK_NSA_INS5_IJNSE_INSF_ItEEEESM_EEEEEPS7_SP_SP_NSC_11hip_rocprim7__merge17predicate_wrapperIttNSC_4lessItEEEEEE10hipError_tPvRmT0_T1_T2_T3_T4_T5_mmT6_P12ihipStream_tbEUlT_E0_NS1_11comp_targetILNS1_3genE9ELNS1_11target_archE1100ELNS1_3gpuE3ELNS1_3repE0EEENS1_30default_config_static_selectorELNS0_4arch9wavefront6targetE0EEEvS10_,"axG",@progbits,_ZN7rocprim17ROCPRIM_400000_NS6detail17trampoline_kernelINS0_14default_configENS1_21merge_config_selectorINS0_5tupleIJttEEENS0_10empty_typeEEEZNS1_10merge_implIS3_NS0_12zip_iteratorINS5_IJN6thrust23THRUST_200600_302600_NS6detail15normal_iteratorINSC_10device_ptrIKtEEEESI_EEEEESK_NSA_INS5_IJNSE_INSF_ItEEEESM_EEEEEPS7_SP_SP_NSC_11hip_rocprim7__merge17predicate_wrapperIttNSC_4lessItEEEEEE10hipError_tPvRmT0_T1_T2_T3_T4_T5_mmT6_P12ihipStream_tbEUlT_E0_NS1_11comp_targetILNS1_3genE9ELNS1_11target_archE1100ELNS1_3gpuE3ELNS1_3repE0EEENS1_30default_config_static_selectorELNS0_4arch9wavefront6targetE0EEEvS10_,comdat
.Lfunc_end186:
	.size	_ZN7rocprim17ROCPRIM_400000_NS6detail17trampoline_kernelINS0_14default_configENS1_21merge_config_selectorINS0_5tupleIJttEEENS0_10empty_typeEEEZNS1_10merge_implIS3_NS0_12zip_iteratorINS5_IJN6thrust23THRUST_200600_302600_NS6detail15normal_iteratorINSC_10device_ptrIKtEEEESI_EEEEESK_NSA_INS5_IJNSE_INSF_ItEEEESM_EEEEEPS7_SP_SP_NSC_11hip_rocprim7__merge17predicate_wrapperIttNSC_4lessItEEEEEE10hipError_tPvRmT0_T1_T2_T3_T4_T5_mmT6_P12ihipStream_tbEUlT_E0_NS1_11comp_targetILNS1_3genE9ELNS1_11target_archE1100ELNS1_3gpuE3ELNS1_3repE0EEENS1_30default_config_static_selectorELNS0_4arch9wavefront6targetE0EEEvS10_, .Lfunc_end186-_ZN7rocprim17ROCPRIM_400000_NS6detail17trampoline_kernelINS0_14default_configENS1_21merge_config_selectorINS0_5tupleIJttEEENS0_10empty_typeEEEZNS1_10merge_implIS3_NS0_12zip_iteratorINS5_IJN6thrust23THRUST_200600_302600_NS6detail15normal_iteratorINSC_10device_ptrIKtEEEESI_EEEEESK_NSA_INS5_IJNSE_INSF_ItEEEESM_EEEEEPS7_SP_SP_NSC_11hip_rocprim7__merge17predicate_wrapperIttNSC_4lessItEEEEEE10hipError_tPvRmT0_T1_T2_T3_T4_T5_mmT6_P12ihipStream_tbEUlT_E0_NS1_11comp_targetILNS1_3genE9ELNS1_11target_archE1100ELNS1_3gpuE3ELNS1_3repE0EEENS1_30default_config_static_selectorELNS0_4arch9wavefront6targetE0EEEvS10_
                                        ; -- End function
	.set _ZN7rocprim17ROCPRIM_400000_NS6detail17trampoline_kernelINS0_14default_configENS1_21merge_config_selectorINS0_5tupleIJttEEENS0_10empty_typeEEEZNS1_10merge_implIS3_NS0_12zip_iteratorINS5_IJN6thrust23THRUST_200600_302600_NS6detail15normal_iteratorINSC_10device_ptrIKtEEEESI_EEEEESK_NSA_INS5_IJNSE_INSF_ItEEEESM_EEEEEPS7_SP_SP_NSC_11hip_rocprim7__merge17predicate_wrapperIttNSC_4lessItEEEEEE10hipError_tPvRmT0_T1_T2_T3_T4_T5_mmT6_P12ihipStream_tbEUlT_E0_NS1_11comp_targetILNS1_3genE9ELNS1_11target_archE1100ELNS1_3gpuE3ELNS1_3repE0EEENS1_30default_config_static_selectorELNS0_4arch9wavefront6targetE0EEEvS10_.num_vgpr, 0
	.set _ZN7rocprim17ROCPRIM_400000_NS6detail17trampoline_kernelINS0_14default_configENS1_21merge_config_selectorINS0_5tupleIJttEEENS0_10empty_typeEEEZNS1_10merge_implIS3_NS0_12zip_iteratorINS5_IJN6thrust23THRUST_200600_302600_NS6detail15normal_iteratorINSC_10device_ptrIKtEEEESI_EEEEESK_NSA_INS5_IJNSE_INSF_ItEEEESM_EEEEEPS7_SP_SP_NSC_11hip_rocprim7__merge17predicate_wrapperIttNSC_4lessItEEEEEE10hipError_tPvRmT0_T1_T2_T3_T4_T5_mmT6_P12ihipStream_tbEUlT_E0_NS1_11comp_targetILNS1_3genE9ELNS1_11target_archE1100ELNS1_3gpuE3ELNS1_3repE0EEENS1_30default_config_static_selectorELNS0_4arch9wavefront6targetE0EEEvS10_.num_agpr, 0
	.set _ZN7rocprim17ROCPRIM_400000_NS6detail17trampoline_kernelINS0_14default_configENS1_21merge_config_selectorINS0_5tupleIJttEEENS0_10empty_typeEEEZNS1_10merge_implIS3_NS0_12zip_iteratorINS5_IJN6thrust23THRUST_200600_302600_NS6detail15normal_iteratorINSC_10device_ptrIKtEEEESI_EEEEESK_NSA_INS5_IJNSE_INSF_ItEEEESM_EEEEEPS7_SP_SP_NSC_11hip_rocprim7__merge17predicate_wrapperIttNSC_4lessItEEEEEE10hipError_tPvRmT0_T1_T2_T3_T4_T5_mmT6_P12ihipStream_tbEUlT_E0_NS1_11comp_targetILNS1_3genE9ELNS1_11target_archE1100ELNS1_3gpuE3ELNS1_3repE0EEENS1_30default_config_static_selectorELNS0_4arch9wavefront6targetE0EEEvS10_.numbered_sgpr, 0
	.set _ZN7rocprim17ROCPRIM_400000_NS6detail17trampoline_kernelINS0_14default_configENS1_21merge_config_selectorINS0_5tupleIJttEEENS0_10empty_typeEEEZNS1_10merge_implIS3_NS0_12zip_iteratorINS5_IJN6thrust23THRUST_200600_302600_NS6detail15normal_iteratorINSC_10device_ptrIKtEEEESI_EEEEESK_NSA_INS5_IJNSE_INSF_ItEEEESM_EEEEEPS7_SP_SP_NSC_11hip_rocprim7__merge17predicate_wrapperIttNSC_4lessItEEEEEE10hipError_tPvRmT0_T1_T2_T3_T4_T5_mmT6_P12ihipStream_tbEUlT_E0_NS1_11comp_targetILNS1_3genE9ELNS1_11target_archE1100ELNS1_3gpuE3ELNS1_3repE0EEENS1_30default_config_static_selectorELNS0_4arch9wavefront6targetE0EEEvS10_.num_named_barrier, 0
	.set _ZN7rocprim17ROCPRIM_400000_NS6detail17trampoline_kernelINS0_14default_configENS1_21merge_config_selectorINS0_5tupleIJttEEENS0_10empty_typeEEEZNS1_10merge_implIS3_NS0_12zip_iteratorINS5_IJN6thrust23THRUST_200600_302600_NS6detail15normal_iteratorINSC_10device_ptrIKtEEEESI_EEEEESK_NSA_INS5_IJNSE_INSF_ItEEEESM_EEEEEPS7_SP_SP_NSC_11hip_rocprim7__merge17predicate_wrapperIttNSC_4lessItEEEEEE10hipError_tPvRmT0_T1_T2_T3_T4_T5_mmT6_P12ihipStream_tbEUlT_E0_NS1_11comp_targetILNS1_3genE9ELNS1_11target_archE1100ELNS1_3gpuE3ELNS1_3repE0EEENS1_30default_config_static_selectorELNS0_4arch9wavefront6targetE0EEEvS10_.private_seg_size, 0
	.set _ZN7rocprim17ROCPRIM_400000_NS6detail17trampoline_kernelINS0_14default_configENS1_21merge_config_selectorINS0_5tupleIJttEEENS0_10empty_typeEEEZNS1_10merge_implIS3_NS0_12zip_iteratorINS5_IJN6thrust23THRUST_200600_302600_NS6detail15normal_iteratorINSC_10device_ptrIKtEEEESI_EEEEESK_NSA_INS5_IJNSE_INSF_ItEEEESM_EEEEEPS7_SP_SP_NSC_11hip_rocprim7__merge17predicate_wrapperIttNSC_4lessItEEEEEE10hipError_tPvRmT0_T1_T2_T3_T4_T5_mmT6_P12ihipStream_tbEUlT_E0_NS1_11comp_targetILNS1_3genE9ELNS1_11target_archE1100ELNS1_3gpuE3ELNS1_3repE0EEENS1_30default_config_static_selectorELNS0_4arch9wavefront6targetE0EEEvS10_.uses_vcc, 0
	.set _ZN7rocprim17ROCPRIM_400000_NS6detail17trampoline_kernelINS0_14default_configENS1_21merge_config_selectorINS0_5tupleIJttEEENS0_10empty_typeEEEZNS1_10merge_implIS3_NS0_12zip_iteratorINS5_IJN6thrust23THRUST_200600_302600_NS6detail15normal_iteratorINSC_10device_ptrIKtEEEESI_EEEEESK_NSA_INS5_IJNSE_INSF_ItEEEESM_EEEEEPS7_SP_SP_NSC_11hip_rocprim7__merge17predicate_wrapperIttNSC_4lessItEEEEEE10hipError_tPvRmT0_T1_T2_T3_T4_T5_mmT6_P12ihipStream_tbEUlT_E0_NS1_11comp_targetILNS1_3genE9ELNS1_11target_archE1100ELNS1_3gpuE3ELNS1_3repE0EEENS1_30default_config_static_selectorELNS0_4arch9wavefront6targetE0EEEvS10_.uses_flat_scratch, 0
	.set _ZN7rocprim17ROCPRIM_400000_NS6detail17trampoline_kernelINS0_14default_configENS1_21merge_config_selectorINS0_5tupleIJttEEENS0_10empty_typeEEEZNS1_10merge_implIS3_NS0_12zip_iteratorINS5_IJN6thrust23THRUST_200600_302600_NS6detail15normal_iteratorINSC_10device_ptrIKtEEEESI_EEEEESK_NSA_INS5_IJNSE_INSF_ItEEEESM_EEEEEPS7_SP_SP_NSC_11hip_rocprim7__merge17predicate_wrapperIttNSC_4lessItEEEEEE10hipError_tPvRmT0_T1_T2_T3_T4_T5_mmT6_P12ihipStream_tbEUlT_E0_NS1_11comp_targetILNS1_3genE9ELNS1_11target_archE1100ELNS1_3gpuE3ELNS1_3repE0EEENS1_30default_config_static_selectorELNS0_4arch9wavefront6targetE0EEEvS10_.has_dyn_sized_stack, 0
	.set _ZN7rocprim17ROCPRIM_400000_NS6detail17trampoline_kernelINS0_14default_configENS1_21merge_config_selectorINS0_5tupleIJttEEENS0_10empty_typeEEEZNS1_10merge_implIS3_NS0_12zip_iteratorINS5_IJN6thrust23THRUST_200600_302600_NS6detail15normal_iteratorINSC_10device_ptrIKtEEEESI_EEEEESK_NSA_INS5_IJNSE_INSF_ItEEEESM_EEEEEPS7_SP_SP_NSC_11hip_rocprim7__merge17predicate_wrapperIttNSC_4lessItEEEEEE10hipError_tPvRmT0_T1_T2_T3_T4_T5_mmT6_P12ihipStream_tbEUlT_E0_NS1_11comp_targetILNS1_3genE9ELNS1_11target_archE1100ELNS1_3gpuE3ELNS1_3repE0EEENS1_30default_config_static_selectorELNS0_4arch9wavefront6targetE0EEEvS10_.has_recursion, 0
	.set _ZN7rocprim17ROCPRIM_400000_NS6detail17trampoline_kernelINS0_14default_configENS1_21merge_config_selectorINS0_5tupleIJttEEENS0_10empty_typeEEEZNS1_10merge_implIS3_NS0_12zip_iteratorINS5_IJN6thrust23THRUST_200600_302600_NS6detail15normal_iteratorINSC_10device_ptrIKtEEEESI_EEEEESK_NSA_INS5_IJNSE_INSF_ItEEEESM_EEEEEPS7_SP_SP_NSC_11hip_rocprim7__merge17predicate_wrapperIttNSC_4lessItEEEEEE10hipError_tPvRmT0_T1_T2_T3_T4_T5_mmT6_P12ihipStream_tbEUlT_E0_NS1_11comp_targetILNS1_3genE9ELNS1_11target_archE1100ELNS1_3gpuE3ELNS1_3repE0EEENS1_30default_config_static_selectorELNS0_4arch9wavefront6targetE0EEEvS10_.has_indirect_call, 0
	.section	.AMDGPU.csdata,"",@progbits
; Kernel info:
; codeLenInByte = 0
; TotalNumSgprs: 0
; NumVgprs: 0
; ScratchSize: 0
; MemoryBound: 0
; FloatMode: 240
; IeeeMode: 1
; LDSByteSize: 0 bytes/workgroup (compile time only)
; SGPRBlocks: 0
; VGPRBlocks: 0
; NumSGPRsForWavesPerEU: 1
; NumVGPRsForWavesPerEU: 1
; Occupancy: 16
; WaveLimiterHint : 0
; COMPUTE_PGM_RSRC2:SCRATCH_EN: 0
; COMPUTE_PGM_RSRC2:USER_SGPR: 6
; COMPUTE_PGM_RSRC2:TRAP_HANDLER: 0
; COMPUTE_PGM_RSRC2:TGID_X_EN: 1
; COMPUTE_PGM_RSRC2:TGID_Y_EN: 0
; COMPUTE_PGM_RSRC2:TGID_Z_EN: 0
; COMPUTE_PGM_RSRC2:TIDIG_COMP_CNT: 0
	.section	.text._ZN7rocprim17ROCPRIM_400000_NS6detail17trampoline_kernelINS0_14default_configENS1_21merge_config_selectorINS0_5tupleIJttEEENS0_10empty_typeEEEZNS1_10merge_implIS3_NS0_12zip_iteratorINS5_IJN6thrust23THRUST_200600_302600_NS6detail15normal_iteratorINSC_10device_ptrIKtEEEESI_EEEEESK_NSA_INS5_IJNSE_INSF_ItEEEESM_EEEEEPS7_SP_SP_NSC_11hip_rocprim7__merge17predicate_wrapperIttNSC_4lessItEEEEEE10hipError_tPvRmT0_T1_T2_T3_T4_T5_mmT6_P12ihipStream_tbEUlT_E0_NS1_11comp_targetILNS1_3genE8ELNS1_11target_archE1030ELNS1_3gpuE2ELNS1_3repE0EEENS1_30default_config_static_selectorELNS0_4arch9wavefront6targetE0EEEvS10_,"axG",@progbits,_ZN7rocprim17ROCPRIM_400000_NS6detail17trampoline_kernelINS0_14default_configENS1_21merge_config_selectorINS0_5tupleIJttEEENS0_10empty_typeEEEZNS1_10merge_implIS3_NS0_12zip_iteratorINS5_IJN6thrust23THRUST_200600_302600_NS6detail15normal_iteratorINSC_10device_ptrIKtEEEESI_EEEEESK_NSA_INS5_IJNSE_INSF_ItEEEESM_EEEEEPS7_SP_SP_NSC_11hip_rocprim7__merge17predicate_wrapperIttNSC_4lessItEEEEEE10hipError_tPvRmT0_T1_T2_T3_T4_T5_mmT6_P12ihipStream_tbEUlT_E0_NS1_11comp_targetILNS1_3genE8ELNS1_11target_archE1030ELNS1_3gpuE2ELNS1_3repE0EEENS1_30default_config_static_selectorELNS0_4arch9wavefront6targetE0EEEvS10_,comdat
	.protected	_ZN7rocprim17ROCPRIM_400000_NS6detail17trampoline_kernelINS0_14default_configENS1_21merge_config_selectorINS0_5tupleIJttEEENS0_10empty_typeEEEZNS1_10merge_implIS3_NS0_12zip_iteratorINS5_IJN6thrust23THRUST_200600_302600_NS6detail15normal_iteratorINSC_10device_ptrIKtEEEESI_EEEEESK_NSA_INS5_IJNSE_INSF_ItEEEESM_EEEEEPS7_SP_SP_NSC_11hip_rocprim7__merge17predicate_wrapperIttNSC_4lessItEEEEEE10hipError_tPvRmT0_T1_T2_T3_T4_T5_mmT6_P12ihipStream_tbEUlT_E0_NS1_11comp_targetILNS1_3genE8ELNS1_11target_archE1030ELNS1_3gpuE2ELNS1_3repE0EEENS1_30default_config_static_selectorELNS0_4arch9wavefront6targetE0EEEvS10_ ; -- Begin function _ZN7rocprim17ROCPRIM_400000_NS6detail17trampoline_kernelINS0_14default_configENS1_21merge_config_selectorINS0_5tupleIJttEEENS0_10empty_typeEEEZNS1_10merge_implIS3_NS0_12zip_iteratorINS5_IJN6thrust23THRUST_200600_302600_NS6detail15normal_iteratorINSC_10device_ptrIKtEEEESI_EEEEESK_NSA_INS5_IJNSE_INSF_ItEEEESM_EEEEEPS7_SP_SP_NSC_11hip_rocprim7__merge17predicate_wrapperIttNSC_4lessItEEEEEE10hipError_tPvRmT0_T1_T2_T3_T4_T5_mmT6_P12ihipStream_tbEUlT_E0_NS1_11comp_targetILNS1_3genE8ELNS1_11target_archE1030ELNS1_3gpuE2ELNS1_3repE0EEENS1_30default_config_static_selectorELNS0_4arch9wavefront6targetE0EEEvS10_
	.globl	_ZN7rocprim17ROCPRIM_400000_NS6detail17trampoline_kernelINS0_14default_configENS1_21merge_config_selectorINS0_5tupleIJttEEENS0_10empty_typeEEEZNS1_10merge_implIS3_NS0_12zip_iteratorINS5_IJN6thrust23THRUST_200600_302600_NS6detail15normal_iteratorINSC_10device_ptrIKtEEEESI_EEEEESK_NSA_INS5_IJNSE_INSF_ItEEEESM_EEEEEPS7_SP_SP_NSC_11hip_rocprim7__merge17predicate_wrapperIttNSC_4lessItEEEEEE10hipError_tPvRmT0_T1_T2_T3_T4_T5_mmT6_P12ihipStream_tbEUlT_E0_NS1_11comp_targetILNS1_3genE8ELNS1_11target_archE1030ELNS1_3gpuE2ELNS1_3repE0EEENS1_30default_config_static_selectorELNS0_4arch9wavefront6targetE0EEEvS10_
	.p2align	8
	.type	_ZN7rocprim17ROCPRIM_400000_NS6detail17trampoline_kernelINS0_14default_configENS1_21merge_config_selectorINS0_5tupleIJttEEENS0_10empty_typeEEEZNS1_10merge_implIS3_NS0_12zip_iteratorINS5_IJN6thrust23THRUST_200600_302600_NS6detail15normal_iteratorINSC_10device_ptrIKtEEEESI_EEEEESK_NSA_INS5_IJNSE_INSF_ItEEEESM_EEEEEPS7_SP_SP_NSC_11hip_rocprim7__merge17predicate_wrapperIttNSC_4lessItEEEEEE10hipError_tPvRmT0_T1_T2_T3_T4_T5_mmT6_P12ihipStream_tbEUlT_E0_NS1_11comp_targetILNS1_3genE8ELNS1_11target_archE1030ELNS1_3gpuE2ELNS1_3repE0EEENS1_30default_config_static_selectorELNS0_4arch9wavefront6targetE0EEEvS10_,@function
_ZN7rocprim17ROCPRIM_400000_NS6detail17trampoline_kernelINS0_14default_configENS1_21merge_config_selectorINS0_5tupleIJttEEENS0_10empty_typeEEEZNS1_10merge_implIS3_NS0_12zip_iteratorINS5_IJN6thrust23THRUST_200600_302600_NS6detail15normal_iteratorINSC_10device_ptrIKtEEEESI_EEEEESK_NSA_INS5_IJNSE_INSF_ItEEEESM_EEEEEPS7_SP_SP_NSC_11hip_rocprim7__merge17predicate_wrapperIttNSC_4lessItEEEEEE10hipError_tPvRmT0_T1_T2_T3_T4_T5_mmT6_P12ihipStream_tbEUlT_E0_NS1_11comp_targetILNS1_3genE8ELNS1_11target_archE1030ELNS1_3gpuE2ELNS1_3repE0EEENS1_30default_config_static_selectorELNS0_4arch9wavefront6targetE0EEEvS10_: ; @_ZN7rocprim17ROCPRIM_400000_NS6detail17trampoline_kernelINS0_14default_configENS1_21merge_config_selectorINS0_5tupleIJttEEENS0_10empty_typeEEEZNS1_10merge_implIS3_NS0_12zip_iteratorINS5_IJN6thrust23THRUST_200600_302600_NS6detail15normal_iteratorINSC_10device_ptrIKtEEEESI_EEEEESK_NSA_INS5_IJNSE_INSF_ItEEEESM_EEEEEPS7_SP_SP_NSC_11hip_rocprim7__merge17predicate_wrapperIttNSC_4lessItEEEEEE10hipError_tPvRmT0_T1_T2_T3_T4_T5_mmT6_P12ihipStream_tbEUlT_E0_NS1_11comp_targetILNS1_3genE8ELNS1_11target_archE1030ELNS1_3gpuE2ELNS1_3repE0EEENS1_30default_config_static_selectorELNS0_4arch9wavefront6targetE0EEEvS10_
; %bb.0:
	s_clause 0x2
	s_load_dwordx4 s[0:3], s[4:5], 0x58
	s_load_dwordx8 s[8:15], s[4:5], 0x8
	s_load_dwordx4 s[16:19], s[4:5], 0x28
	s_mov_b32 s23, 0
	v_mov_b32_e32 v1, 0
	s_mov_b32 s25, s23
	s_waitcnt lgkmcnt(0)
	s_add_i32 s20, s2, s0
	s_add_i32 s0, s20, 0x1fff
	s_lshr_b32 s0, s0, 13
	s_min_u32 s1, s6, s0
	s_lshl_b32 s1, s1, 2
	s_load_dword s22, s[8:9], s1 offset:0x0
	s_add_i32 s1, s6, 1
	s_min_u32 s0, s1, s0
	s_lshl_b32 s0, s0, 2
	s_load_dword s9, s[8:9], s0 offset:0x0
	s_lshl_b32 s8, s6, 13
	s_add_i32 s0, s8, 0x2000
	s_min_u32 s21, s20, s0
	s_waitcnt lgkmcnt(0)
	s_lshl_b64 s[2:3], s[22:23], 1
	s_sub_i32 s24, s8, s22
	s_add_u32 s0, s10, s2
	s_addc_u32 s1, s11, s3
	s_add_u32 s2, s12, s2
	s_addc_u32 s3, s13, s3
	s_lshl_b64 s[10:11], s[24:25], 1
	s_add_u32 s6, s14, s10
	s_addc_u32 s7, s15, s11
	s_add_u32 s10, s16, s10
	s_addc_u32 s11, s17, s11
	s_add_i32 s12, s24, s9
	s_sub_i32 s9, s9, s22
	s_sub_i32 s14, s21, s12
	s_mov_b32 s15, exec_lo
	s_add_u32 s12, s14, s9
	s_addc_u32 s13, 0, 0
	v_cmpx_le_u32_e64 s9, v0
	s_xor_b32 s15, exec_lo, s15
	s_cbranch_execz .LBB187_4
; %bb.1:
	s_mov_b32 s16, exec_lo
	v_cmpx_gt_u64_e64 s[12:13], v[0:1]
	s_cbranch_execz .LBB187_3
; %bb.2:
	v_subrev_nc_u32_e32 v1, s9, v0
	v_lshlrev_b32_e32 v1, 1, v1
	s_clause 0x1
	global_load_ushort v2, v1, s[6:7]
	global_load_short_d16_hi v2, v1, s[10:11]
	v_lshlrev_b32_e32 v1, 2, v0
	s_waitcnt vmcnt(0)
	ds_write_b32 v1, v2
.LBB187_3:
	s_or_b32 exec_lo, exec_lo, s16
.LBB187_4:
	s_or_saveexec_b32 s15, s15
	v_lshlrev_b32_e32 v12, 1, v0
	v_lshlrev_b32_e32 v9, 2, v0
	s_xor_b32 exec_lo, exec_lo, s15
	s_cbranch_execz .LBB187_6
; %bb.5:
	s_clause 0x1
	global_load_ushort v1, v12, s[0:1]
	global_load_short_d16_hi v1, v12, s[2:3]
	s_waitcnt vmcnt(0)
	ds_write_b32 v9, v1
.LBB187_6:
	s_or_b32 exec_lo, exec_lo, s15
	v_or_b32_e32 v1, 0x400, v0
	v_mov_b32_e32 v2, 0
	s_mov_b32 s15, exec_lo
	v_cmpx_le_u32_e64 s9, v1
	s_xor_b32 s15, exec_lo, s15
	s_cbranch_execz .LBB187_10
; %bb.7:
	s_mov_b32 s16, exec_lo
	v_cmpx_gt_u64_e64 s[12:13], v[1:2]
	s_cbranch_execz .LBB187_9
; %bb.8:
	v_subrev_nc_u32_e32 v2, s9, v1
	v_lshlrev_b32_e32 v2, 1, v2
	s_clause 0x1
	global_load_ushort v3, v2, s[6:7]
	global_load_short_d16_hi v3, v2, s[10:11]
	s_waitcnt vmcnt(0)
	ds_write_b32 v9, v3 offset:4096
.LBB187_9:
	s_or_b32 exec_lo, exec_lo, s16
.LBB187_10:
	s_andn2_saveexec_b32 s15, s15
	s_cbranch_execz .LBB187_12
; %bb.11:
	v_lshlrev_b32_e32 v2, 1, v1
	s_clause 0x1
	global_load_ushort v3, v2, s[0:1]
	global_load_short_d16_hi v3, v2, s[2:3]
	s_waitcnt vmcnt(0)
	ds_write_b32 v9, v3 offset:4096
.LBB187_12:
	s_or_b32 exec_lo, exec_lo, s15
	v_or_b32_e32 v2, 0x800, v0
	v_mov_b32_e32 v3, 0
	s_mov_b32 s15, exec_lo
	v_cmpx_le_u32_e64 s9, v2
	s_xor_b32 s15, exec_lo, s15
	s_cbranch_execz .LBB187_16
; %bb.13:
	s_mov_b32 s16, exec_lo
	v_cmpx_gt_u64_e64 s[12:13], v[2:3]
	s_cbranch_execz .LBB187_15
; %bb.14:
	v_subrev_nc_u32_e32 v3, s9, v2
	v_lshlrev_b32_e32 v3, 1, v3
	s_clause 0x1
	global_load_ushort v4, v3, s[6:7]
	global_load_short_d16_hi v4, v3, s[10:11]
	s_waitcnt vmcnt(0)
	ds_write_b32 v9, v4 offset:8192
.LBB187_15:
	s_or_b32 exec_lo, exec_lo, s16
.LBB187_16:
	s_andn2_saveexec_b32 s15, s15
	s_cbranch_execz .LBB187_18
; %bb.17:
	v_lshlrev_b32_e32 v3, 1, v2
	s_clause 0x1
	global_load_ushort v4, v3, s[0:1]
	global_load_short_d16_hi v4, v3, s[2:3]
	s_waitcnt vmcnt(0)
	ds_write_b32 v9, v4 offset:8192
.LBB187_18:
	;; [unrolled: 32-line block ×6, first 2 shown]
	s_or_b32 exec_lo, exec_lo, s15
	v_or_b32_e32 v7, 0x1c00, v0
	v_mov_b32_e32 v8, 0
	s_mov_b32 s15, exec_lo
	v_cmpx_le_u32_e64 s9, v7
	s_xor_b32 s15, exec_lo, s15
	s_cbranch_execz .LBB187_46
; %bb.43:
	v_cmp_gt_u64_e32 vcc_lo, s[12:13], v[7:8]
	s_and_saveexec_b32 s12, vcc_lo
	s_cbranch_execz .LBB187_45
; %bb.44:
	v_subrev_nc_u32_e32 v8, s9, v7
	v_lshlrev_b32_e32 v8, 1, v8
	s_clause 0x1
	global_load_ushort v10, v8, s[6:7]
	global_load_short_d16_hi v10, v8, s[10:11]
	s_waitcnt vmcnt(0)
	ds_write_b32 v9, v10 offset:28672
.LBB187_45:
	s_or_b32 exec_lo, exec_lo, s12
.LBB187_46:
	s_or_saveexec_b32 s6, s15
	s_load_dwordx2 s[10:11], s[4:5], 0x38
	s_xor_b32 exec_lo, exec_lo, s6
	s_cbranch_execz .LBB187_48
; %bb.47:
	v_lshlrev_b32_e32 v8, 1, v7
	s_clause 0x1
	global_load_ushort v10, v8, s[0:1]
	global_load_short_d16_hi v10, v8, s[2:3]
	s_waitcnt vmcnt(0)
	ds_write_b32 v9, v10 offset:28672
.LBB187_48:
	s_or_b32 exec_lo, exec_lo, s6
	v_lshlrev_b32_e32 v8, 3, v0
	s_mov_b32 s0, exec_lo
	s_waitcnt lgkmcnt(0)
	s_barrier
	buffer_gl0_inv
	v_sub_nc_u32_e64 v15, v8, s14 clamp
	v_min_u32_e32 v10, s9, v8
	v_cmpx_lt_u32_e64 v15, v10
	s_cbranch_execz .LBB187_52
; %bb.49:
	v_lshlrev_b32_e32 v11, 2, v8
	s_mov_b32 s1, 0
	v_lshl_add_u32 v11, s9, 2, v11
	.p2align	6
.LBB187_50:                             ; =>This Inner Loop Header: Depth=1
	v_add_nc_u32_e32 v13, v10, v15
	v_lshrrev_b32_e32 v13, 1, v13
	v_not_b32_e32 v14, v13
	v_lshlrev_b32_e32 v16, 2, v13
	v_add_nc_u32_e32 v17, 1, v13
	v_lshl_add_u32 v14, v14, 2, v11
	ds_read_b32 v16, v16
	ds_read_b32 v14, v14
	s_waitcnt lgkmcnt(0)
	v_cmp_lt_u16_e32 vcc_lo, v14, v16
	v_cndmask_b32_e32 v10, v10, v13, vcc_lo
	v_cndmask_b32_e32 v15, v17, v15, vcc_lo
	v_cmp_ge_u32_e32 vcc_lo, v15, v10
	s_or_b32 s1, vcc_lo, s1
	s_andn2_b32 exec_lo, exec_lo, s1
	s_cbranch_execnz .LBB187_50
; %bb.51:
	s_or_b32 exec_lo, exec_lo, s1
.LBB187_52:
	s_or_b32 exec_lo, exec_lo, s0
	v_add_nc_u32_e32 v11, s9, v8
	s_add_i32 s14, s14, s9
	v_cmp_ge_u32_e32 vcc_lo, s9, v15
	v_mov_b32_e32 v10, 0
	v_mov_b32_e32 v13, 0
	v_sub_nc_u32_e32 v16, v11, v15
	v_mov_b32_e32 v11, 0
	v_mov_b32_e32 v18, 0
	;; [unrolled: 1-line block ×4, first 2 shown]
	v_cmp_ge_u32_e64 s0, s14, v16
	v_mov_b32_e32 v21, 0
	v_mov_b32_e32 v22, 0
	s_or_b32 s0, vcc_lo, s0
	s_and_saveexec_b32 s7, s0
	s_cbranch_execz .LBB187_58
; %bb.53:
	v_cmp_gt_u32_e32 vcc_lo, s9, v15
	v_mov_b32_e32 v10, 0
	v_mov_b32_e32 v13, 0
	;; [unrolled: 1-line block ×3, first 2 shown]
	s_and_saveexec_b32 s0, vcc_lo
	s_cbranch_execz .LBB187_55
; %bb.54:
	v_lshlrev_b32_e32 v11, 2, v15
	ds_read_b32 v13, v11
	s_waitcnt lgkmcnt(0)
	v_lshrrev_b32_e32 v11, 16, v13
.LBB187_55:
	s_or_b32 exec_lo, exec_lo, s0
	v_cmp_le_u32_e64 s0, s14, v16
	v_mov_b32_e32 v14, 0
	s_mov_b32 s2, exec_lo
	v_cmpx_gt_u32_e64 s14, v16
	s_cbranch_execz .LBB187_57
; %bb.56:
	v_lshlrev_b32_e32 v10, 2, v16
	ds_read_b32 v10, v10
	s_waitcnt lgkmcnt(0)
	v_lshrrev_b32_e32 v14, 16, v10
.LBB187_57:
	s_or_b32 exec_lo, exec_lo, s2
	v_cmp_ge_u16_e64 s1, v10, v13
	v_mov_b32_e32 v17, s9
	v_lshlrev_b32_e32 v35, 16, v11
	v_lshlrev_b32_e32 v36, 16, v14
	s_and_b32 s1, vcc_lo, s1
	s_or_b32 vcc_lo, s0, s1
	v_cndmask_b32_e32 v18, v16, v15, vcc_lo
	v_cndmask_b32_e32 v19, s14, v17, vcc_lo
	v_add_nc_u32_e32 v18, 1, v18
	v_add_nc_u32_e32 v19, -1, v19
	v_cndmask_b32_e32 v15, v15, v18, vcc_lo
	v_min_u32_e32 v19, v18, v19
	v_cndmask_b32_e32 v16, v18, v16, vcc_lo
	v_cmp_gt_u32_e64 s0, s9, v15
	v_lshlrev_b32_e32 v19, 2, v19
	v_cmp_le_u32_e64 s2, s14, v16
	ds_read_b32 v19, v19
	s_waitcnt lgkmcnt(0)
	v_cndmask_b32_e32 v20, v19, v10, vcc_lo
	v_cndmask_b32_e32 v21, v13, v19, vcc_lo
	v_or_b32_sdwa v13, v35, v13 dst_sel:DWORD dst_unused:UNUSED_PAD src0_sel:DWORD src1_sel:WORD_0
	v_or_b32_sdwa v10, v36, v10 dst_sel:DWORD dst_unused:UNUSED_PAD src0_sel:DWORD src1_sel:WORD_0
	v_lshrrev_b32_e32 v19, 16, v19
	v_cmp_ge_u16_e64 s1, v20, v21
	v_cndmask_b32_e32 v10, v10, v13, vcc_lo
	v_cndmask_b32_e32 v13, v19, v14, vcc_lo
	;; [unrolled: 1-line block ×3, first 2 shown]
	s_and_b32 s0, s0, s1
	s_or_b32 s0, s2, s0
	v_cndmask_b32_e64 v18, v16, v15, s0
	v_cndmask_b32_e64 v22, s14, v17, s0
	v_lshlrev_b32_e32 v19, 16, v11
	v_add_nc_u32_e32 v18, 1, v18
	v_add_nc_u32_e32 v22, -1, v22
	v_or_b32_sdwa v19, v19, v21 dst_sel:DWORD dst_unused:UNUSED_PAD src0_sel:DWORD src1_sel:WORD_0
	v_cndmask_b32_e64 v15, v15, v18, s0
	v_min_u32_e32 v22, v18, v22
	v_cndmask_b32_e64 v16, v18, v16, s0
	v_cmp_gt_u32_e64 s1, s9, v15
	v_lshlrev_b32_e32 v22, 2, v22
	v_cmp_le_u32_e64 s3, s14, v16
	ds_read_b32 v22, v22
	s_waitcnt lgkmcnt(0)
	v_cndmask_b32_e64 v23, v22, v20, s0
	v_cndmask_b32_e64 v24, v21, v22, s0
	v_cmp_ge_u16_e64 s2, v23, v24
	s_and_b32 s1, s1, s2
	s_or_b32 s1, s3, s1
	v_cndmask_b32_e64 v18, v16, v15, s1
	v_cndmask_b32_e64 v25, s14, v17, s1
	v_add_nc_u32_e32 v18, 1, v18
	v_add_nc_u32_e32 v25, -1, v25
	v_cndmask_b32_e64 v15, v15, v18, s1
	v_min_u32_e32 v25, v18, v25
	v_cndmask_b32_e64 v16, v18, v16, s1
	v_cmp_gt_u32_e64 s2, s9, v15
	v_lshlrev_b32_e32 v25, 2, v25
	v_cmp_le_u32_e64 s4, s14, v16
	ds_read_b32 v25, v25
	s_waitcnt lgkmcnt(0)
	v_cndmask_b32_e64 v26, v25, v23, s1
	v_cndmask_b32_e64 v27, v24, v25, s1
	v_lshrrev_b32_e32 v25, 16, v25
	v_cmp_ge_u16_e64 s3, v26, v27
	s_and_b32 s2, s2, s3
	s_or_b32 s2, s4, s2
	v_cndmask_b32_e64 v18, v16, v15, s2
	v_cndmask_b32_e64 v28, s14, v17, s2
	v_add_nc_u32_e32 v18, 1, v18
	v_add_nc_u32_e32 v28, -1, v28
	v_cndmask_b32_e64 v15, v15, v18, s2
	v_min_u32_e32 v28, v18, v28
	v_cndmask_b32_e64 v16, v18, v16, s2
	v_cmp_gt_u32_e64 s3, s9, v15
	v_lshlrev_b32_e32 v28, 2, v28
	v_cmp_le_u32_e64 s5, s14, v16
	ds_read_b32 v28, v28
	s_waitcnt lgkmcnt(0)
	v_cndmask_b32_e64 v29, v28, v26, s2
	v_cndmask_b32_e64 v30, v27, v28, s2
	v_cmp_ge_u16_e64 s4, v29, v30
	s_and_b32 s3, s3, s4
	s_or_b32 s3, s5, s3
	v_cndmask_b32_e64 v18, v16, v15, s3
	v_cndmask_b32_e64 v31, s14, v17, s3
	v_add_nc_u32_e32 v18, 1, v18
	v_add_nc_u32_e32 v31, -1, v31
	v_cndmask_b32_e64 v15, v15, v18, s3
	v_min_u32_e32 v31, v18, v31
	v_cndmask_b32_e64 v16, v18, v16, s3
	v_cmp_gt_u32_e64 s4, s9, v15
	v_lshlrev_b32_e32 v31, 2, v31
	v_cmp_le_u32_e64 s6, s14, v16
	ds_read_b32 v31, v31
	s_waitcnt lgkmcnt(0)
	v_cndmask_b32_e64 v32, v31, v29, s3
	v_cndmask_b32_e64 v33, v30, v31, s3
	v_cmp_ge_u16_e64 s5, v32, v33
	s_and_b32 s4, s4, s5
	s_or_b32 s4, s6, s4
	v_cndmask_b32_e64 v18, v16, v15, s4
	v_cndmask_b32_e64 v34, s14, v17, s4
	v_add_nc_u32_e32 v18, 1, v18
	v_add_nc_u32_e32 v34, -1, v34
	v_cndmask_b32_e64 v14, v15, v18, s4
	v_min_u32_e32 v34, v18, v34
	v_cndmask_b32_e64 v16, v18, v16, s4
	v_lshrrev_b32_e32 v18, 16, v22
	v_lshlrev_b32_e32 v22, 16, v13
	v_cmp_gt_u32_e32 vcc_lo, s9, v14
	v_lshlrev_b32_e32 v34, 2, v34
	v_cmp_le_u32_e64 s6, s14, v16
	v_cndmask_b32_e64 v13, v18, v13, s0
	v_cndmask_b32_e64 v18, v11, v18, s0
	v_or_b32_sdwa v20, v22, v20 dst_sel:DWORD dst_unused:UNUSED_PAD src0_sel:DWORD src1_sel:WORD_0
	ds_read_b32 v34, v34
	v_lshlrev_b32_e32 v22, 16, v13
	v_lshlrev_b32_e32 v21, 16, v18
	v_cndmask_b32_e64 v18, v18, v25, s1
	s_waitcnt lgkmcnt(0)
	v_cndmask_b32_e64 v15, v34, v32, s4
	v_cndmask_b32_e64 v35, v33, v34, s4
	v_cmp_ge_u16_e64 s5, v15, v35
	s_and_b32 s5, vcc_lo, s5
	s_or_b32 vcc_lo, s6, s5
	v_cndmask_b32_e32 v11, v16, v14, vcc_lo
	v_cndmask_b32_e32 v17, s14, v17, vcc_lo
	v_add_nc_u32_e32 v36, 1, v11
	v_add_nc_u32_e32 v17, -1, v17
	v_cndmask_b32_e64 v11, v20, v19, s0
	v_or_b32_sdwa v19, v21, v24 dst_sel:DWORD dst_unused:UNUSED_PAD src0_sel:DWORD src1_sel:WORD_0
	v_or_b32_sdwa v20, v22, v23 dst_sel:DWORD dst_unused:UNUSED_PAD src0_sel:DWORD src1_sel:WORD_0
	v_cndmask_b32_e64 v21, v25, v13, s1
	v_min_u32_e32 v17, v36, v17
	v_lshrrev_b32_e32 v22, 16, v28
	v_cndmask_b32_e32 v14, v14, v36, vcc_lo
	v_cndmask_b32_e64 v13, v20, v19, s1
	v_lshlrev_b32_e32 v19, 16, v18
	v_lshlrev_b32_e32 v17, 2, v17
	;; [unrolled: 1-line block ×3, first 2 shown]
	v_cndmask_b32_e64 v21, v22, v21, s2
	v_cndmask_b32_e64 v18, v18, v22, s2
	v_lshrrev_b32_e32 v22, 16, v31
	ds_read_b32 v17, v17
	v_or_b32_sdwa v20, v20, v26 dst_sel:DWORD dst_unused:UNUSED_PAD src0_sel:DWORD src1_sel:WORD_0
	v_lshlrev_b32_e32 v24, 16, v21
	v_lshlrev_b32_e32 v23, 16, v18
	v_lshrrev_b32_e32 v26, 16, v34
	v_cndmask_b32_e64 v21, v22, v21, s3
	v_or_b32_sdwa v19, v19, v27 dst_sel:DWORD dst_unused:UNUSED_PAD src0_sel:DWORD src1_sel:WORD_0
	v_cndmask_b32_e64 v25, v18, v22, s3
	v_or_b32_sdwa v22, v23, v30 dst_sel:DWORD dst_unused:UNUSED_PAD src0_sel:DWORD src1_sel:WORD_0
	v_or_b32_sdwa v23, v24, v29 dst_sel:DWORD dst_unused:UNUSED_PAD src0_sel:DWORD src1_sel:WORD_0
	v_cndmask_b32_e64 v24, v26, v21, s4
	v_cndmask_b32_e64 v18, v20, v19, s2
	;; [unrolled: 1-line block ×3, first 2 shown]
	v_lshlrev_b32_e32 v25, 16, v25
	v_cndmask_b32_e64 v19, v23, v22, s3
	v_lshlrev_b32_e32 v23, 16, v24
	v_lshlrev_b32_e32 v21, 16, v21
	;; [unrolled: 1-line block ×3, first 2 shown]
	v_cndmask_b32_e32 v16, v36, v16, vcc_lo
	v_cmp_gt_u32_e64 s0, s9, v14
	s_waitcnt lgkmcnt(0)
	v_lshrrev_b32_e32 v26, 16, v17
	v_or_b32_sdwa v23, v23, v15 dst_sel:DWORD dst_unused:UNUSED_PAD src0_sel:DWORD src1_sel:WORD_0
	v_cndmask_b32_e32 v15, v17, v15, vcc_lo
	v_cndmask_b32_e32 v17, v35, v17, vcc_lo
	v_or_b32_sdwa v25, v25, v33 dst_sel:DWORD dst_unused:UNUSED_PAD src0_sel:DWORD src1_sel:WORD_0
	v_cndmask_b32_e32 v20, v20, v26, vcc_lo
	v_cndmask_b32_e32 v24, v26, v24, vcc_lo
	v_or_b32_sdwa v21, v21, v32 dst_sel:DWORD dst_unused:UNUSED_PAD src0_sel:DWORD src1_sel:WORD_0
	v_cmp_ge_u16_e64 s1, v15, v17
	v_or_b32_sdwa v22, v22, v35 dst_sel:DWORD dst_unused:UNUSED_PAD src0_sel:DWORD src1_sel:WORD_0
	v_lshlrev_b32_e32 v20, 16, v20
	v_lshlrev_b32_e32 v24, 16, v24
	v_cmp_le_u32_e64 s2, s14, v16
	s_and_b32 s0, s0, s1
	v_or_b32_sdwa v14, v20, v17 dst_sel:DWORD dst_unused:UNUSED_PAD src0_sel:DWORD src1_sel:WORD_0
	v_or_b32_sdwa v15, v24, v15 dst_sel:DWORD dst_unused:UNUSED_PAD src0_sel:DWORD src1_sel:WORD_0
	v_cndmask_b32_e64 v20, v21, v25, s4
	v_cndmask_b32_e32 v21, v23, v22, vcc_lo
	s_or_b32 vcc_lo, s2, s0
	v_cndmask_b32_e32 v22, v15, v14, vcc_lo
.LBB187_58:
	s_or_b32 exec_lo, exec_lo, s7
	v_and_b32_e32 v14, 0x3fc, v0
	s_mov_b32 s9, 0
	s_sub_i32 s4, s20, s8
	s_lshl_b64 s[2:3], s[8:9], 1
	v_lshl_add_u32 v23, v8, 2, v14
	s_add_u32 s0, s18, s2
	s_addc_u32 s1, s19, s3
	s_barrier
	buffer_gl0_inv
	ds_write2_b32 v23, v10, v11 offset1:1
	v_lshrrev_b32_e32 v17, 3, v1
	v_lshrrev_b32_e32 v16, 3, v2
	;; [unrolled: 1-line block ×7, first 2 shown]
	s_add_u32 s2, s10, s2
	s_addc_u32 s3, s11, s3
	s_cmpk_gt_u32 s4, 0x1fff
	ds_write2_b32 v23, v13, v18 offset0:2 offset1:3
	ds_write2_b32 v23, v19, v20 offset0:4 offset1:5
	;; [unrolled: 1-line block ×3, first 2 shown]
	s_waitcnt lgkmcnt(0)
	s_cbranch_scc0 .LBB187_60
; %bb.59:
	v_lshrrev_b32_e32 v13, 3, v0
	v_and_b32_e32 v18, 0xfc, v17
	v_and_b32_e32 v19, 0x1fc, v16
	;; [unrolled: 1-line block ×6, first 2 shown]
	s_barrier
	buffer_gl0_inv
	v_and_b32_e32 v23, 0x3fc, v10
	v_add_nc_u32_e32 v13, v13, v9
	v_and_b32_e32 v24, 0x3fc, v8
	v_add_co_u32 v26, s5, s0, v12
	v_add_co_ci_u32_e64 v27, null, s1, 0, s5
	ds_read_b32 v25, v13
	v_add_nc_u32_e32 v13, v18, v9
	v_add_nc_u32_e32 v18, v19, v9
	;; [unrolled: 1-line block ×7, first 2 shown]
	ds_read_b32 v24, v13 offset:4096
	ds_read_b32 v30, v18 offset:8192
	;; [unrolled: 1-line block ×7, first 2 shown]
	v_add_co_u32 v28, s5, s2, v12
	v_add_co_ci_u32_e64 v29, null, s3, 0, s5
	v_add_co_u32 v18, vcc_lo, v26, 0x1000
	v_add_co_ci_u32_e64 v19, null, 0, v27, vcc_lo
	v_add_co_u32 v20, vcc_lo, v28, 0x1000
	v_add_co_ci_u32_e64 v21, null, 0, v29, vcc_lo
	;; [unrolled: 2-line block ×3, first 2 shown]
	s_waitcnt lgkmcnt(7)
	global_store_short v12, v25, s[0:1]
	global_store_short_d16_hi v12, v25, s[2:3]
	s_waitcnt lgkmcnt(6)
	global_store_short v[18:19], v24, off offset:-2048
	global_store_short_d16_hi v[20:21], v24, off offset:-2048
	s_waitcnt lgkmcnt(5)
	global_store_short v[18:19], v30, off
	global_store_short_d16_hi v[20:21], v30, off
	s_waitcnt lgkmcnt(4)
	global_store_short v[22:23], v31, off offset:-2048
	v_add_co_u32 v18, vcc_lo, v28, 0x2000
	v_add_co_ci_u32_e64 v19, null, 0, v29, vcc_lo
	v_add_co_u32 v20, vcc_lo, v26, 0x3000
	v_add_co_ci_u32_e64 v21, null, 0, v27, vcc_lo
	;; [unrolled: 2-line block ×3, first 2 shown]
	global_store_short_d16_hi v[18:19], v31, off offset:-2048
	s_waitcnt lgkmcnt(3)
	global_store_short v[22:23], v32, off
	global_store_short_d16_hi v[18:19], v32, off
	s_waitcnt lgkmcnt(2)
	global_store_short v[20:21], v33, off offset:-2048
	global_store_short_d16_hi v[24:25], v33, off offset:-2048
	s_waitcnt lgkmcnt(1)
	global_store_short v[20:21], v34, off
	s_mov_b32 s9, -1
	global_store_short_d16_hi v[24:25], v34, off
	s_cbranch_execz .LBB187_61
	s_branch .LBB187_70
.LBB187_60:
                                        ; implicit-def: $vgpr13
.LBB187_61:
	s_waitcnt lgkmcnt(0)
	v_and_b32_e32 v13, 0xfc, v17
	v_and_b32_e32 v16, 0x1fc, v16
	;; [unrolled: 1-line block ×5, first 2 shown]
	v_add_nc_u32_e32 v13, v13, v9
	v_and_b32_e32 v10, 0x3fc, v10
	v_and_b32_e32 v8, 0x3fc, v8
	v_add_nc_u32_e32 v16, v16, v9
	v_add_nc_u32_e32 v15, v15, v9
	;; [unrolled: 1-line block ×4, first 2 shown]
	s_barrier
	s_waitcnt_vscnt null, 0x0
	buffer_gl0_inv
	v_add_nc_u32_e32 v10, v10, v9
	v_add_nc_u32_e32 v8, v8, v9
	ds_read_b32 v19, v13 offset:4096
	ds_read_b32 v18, v16 offset:8192
	;; [unrolled: 1-line block ×7, first 2 shown]
	v_add_co_u32 v10, s5, s0, v12
	v_add_co_ci_u32_e64 v11, null, s1, 0, s5
	v_add_co_u32 v8, s5, s2, v12
	v_add_co_ci_u32_e64 v9, null, s3, 0, s5
	s_mov_b32 s5, exec_lo
	v_cmpx_gt_u32_e64 s4, v0
	s_cbranch_execnz .LBB187_73
; %bb.62:
	s_or_b32 exec_lo, exec_lo, s5
	s_mov_b32 s5, exec_lo
	v_cmpx_gt_u32_e64 s4, v1
	s_cbranch_execnz .LBB187_74
.LBB187_63:
	s_or_b32 exec_lo, exec_lo, s5
	s_mov_b32 s5, exec_lo
	v_cmpx_gt_u32_e64 s4, v2
	s_cbranch_execnz .LBB187_75
.LBB187_64:
	s_or_b32 exec_lo, exec_lo, s5
	s_mov_b32 s5, exec_lo
	v_cmpx_gt_u32_e64 s4, v3
	s_cbranch_execnz .LBB187_76
.LBB187_65:
	s_or_b32 exec_lo, exec_lo, s5
	s_mov_b32 s5, exec_lo
	v_cmpx_gt_u32_e64 s4, v4
	s_cbranch_execnz .LBB187_77
.LBB187_66:
	s_or_b32 exec_lo, exec_lo, s5
	s_mov_b32 s5, exec_lo
	v_cmpx_gt_u32_e64 s4, v5
	s_cbranch_execnz .LBB187_78
.LBB187_67:
	s_or_b32 exec_lo, exec_lo, s5
	s_mov_b32 s5, exec_lo
	v_cmpx_gt_u32_e64 s4, v6
	s_cbranch_execz .LBB187_69
.LBB187_68:
	v_add_co_u32 v0, vcc_lo, 0x3000, v10
	v_add_co_ci_u32_e64 v1, null, 0, v11, vcc_lo
	v_add_co_u32 v2, vcc_lo, 0x3000, v8
	v_add_co_ci_u32_e64 v3, null, 0, v9, vcc_lo
	s_waitcnt lgkmcnt(1)
	global_store_short v[0:1], v14, off
	global_store_short_d16_hi v[2:3], v14, off
.LBB187_69:
	s_or_b32 exec_lo, exec_lo, s5
	v_cmp_gt_u32_e64 s9, s4, v7
.LBB187_70:
	s_and_saveexec_b32 s4, s9
	s_cbranch_execnz .LBB187_72
; %bb.71:
	s_endpgm
.LBB187_72:
	v_add_co_u32 v0, s0, s0, v12
	v_add_co_ci_u32_e64 v1, null, s1, 0, s0
	v_add_co_u32 v2, s0, s2, v12
	v_add_co_ci_u32_e64 v3, null, s3, 0, s0
	v_add_co_u32 v0, vcc_lo, 0x3800, v0
	v_add_co_ci_u32_e64 v1, null, 0, v1, vcc_lo
	v_add_co_u32 v2, vcc_lo, 0x3800, v2
	v_add_co_ci_u32_e64 v3, null, 0, v3, vcc_lo
	s_waitcnt lgkmcnt(0)
	global_store_short v[0:1], v13, off
	global_store_short_d16_hi v[2:3], v13, off
	s_endpgm
.LBB187_73:
	v_lshrrev_b32_e32 v20, 3, v0
	v_and_b32_e32 v20, 0x7c, v20
	v_lshl_add_u32 v0, v0, 2, v20
	ds_read_b32 v0, v0
	s_waitcnt lgkmcnt(0)
	global_store_short v[10:11], v0, off
	global_store_short_d16_hi v[8:9], v0, off
	s_or_b32 exec_lo, exec_lo, s5
	s_mov_b32 s5, exec_lo
	v_cmpx_gt_u32_e64 s4, v1
	s_cbranch_execz .LBB187_63
.LBB187_74:
	v_add_co_u32 v0, vcc_lo, 0x800, v10
	v_add_co_ci_u32_e64 v1, null, 0, v11, vcc_lo
	v_add_co_u32 v20, vcc_lo, 0x800, v8
	v_add_co_ci_u32_e64 v21, null, 0, v9, vcc_lo
	s_waitcnt lgkmcnt(6)
	global_store_short v[0:1], v19, off
	global_store_short_d16_hi v[20:21], v19, off
	s_or_b32 exec_lo, exec_lo, s5
	s_mov_b32 s5, exec_lo
	v_cmpx_gt_u32_e64 s4, v2
	s_cbranch_execz .LBB187_64
.LBB187_75:
	v_add_co_u32 v0, vcc_lo, 0x1000, v10
	v_add_co_ci_u32_e64 v1, null, 0, v11, vcc_lo
	s_waitcnt lgkmcnt(6)
	v_add_co_u32 v19, vcc_lo, 0x1000, v8
	v_add_co_ci_u32_e64 v20, null, 0, v9, vcc_lo
	s_waitcnt lgkmcnt(5)
	global_store_short v[0:1], v18, off
	global_store_short_d16_hi v[19:20], v18, off
	s_or_b32 exec_lo, exec_lo, s5
	s_mov_b32 s5, exec_lo
	v_cmpx_gt_u32_e64 s4, v3
	s_cbranch_execz .LBB187_65
.LBB187_76:
	v_add_co_u32 v0, vcc_lo, 0x1800, v10
	v_add_co_ci_u32_e64 v1, null, 0, v11, vcc_lo
	v_add_co_u32 v2, vcc_lo, 0x1800, v8
	v_add_co_ci_u32_e64 v3, null, 0, v9, vcc_lo
	s_waitcnt lgkmcnt(4)
	global_store_short v[0:1], v17, off
	global_store_short_d16_hi v[2:3], v17, off
	s_or_b32 exec_lo, exec_lo, s5
	s_mov_b32 s5, exec_lo
	v_cmpx_gt_u32_e64 s4, v4
	s_cbranch_execz .LBB187_66
.LBB187_77:
	v_add_co_u32 v0, vcc_lo, 0x2000, v10
	v_add_co_ci_u32_e64 v1, null, 0, v11, vcc_lo
	v_add_co_u32 v2, vcc_lo, 0x2000, v8
	v_add_co_ci_u32_e64 v3, null, 0, v9, vcc_lo
	s_waitcnt lgkmcnt(3)
	global_store_short v[0:1], v16, off
	global_store_short_d16_hi v[2:3], v16, off
	s_or_b32 exec_lo, exec_lo, s5
	s_mov_b32 s5, exec_lo
	v_cmpx_gt_u32_e64 s4, v5
	s_cbranch_execz .LBB187_67
.LBB187_78:
	v_add_co_u32 v0, vcc_lo, 0x2800, v10
	v_add_co_ci_u32_e64 v1, null, 0, v11, vcc_lo
	v_add_co_u32 v2, vcc_lo, 0x2800, v8
	v_add_co_ci_u32_e64 v3, null, 0, v9, vcc_lo
	s_waitcnt lgkmcnt(2)
	global_store_short v[0:1], v15, off
	global_store_short_d16_hi v[2:3], v15, off
	s_or_b32 exec_lo, exec_lo, s5
	s_mov_b32 s5, exec_lo
	v_cmpx_gt_u32_e64 s4, v6
	s_cbranch_execnz .LBB187_68
	s_branch .LBB187_69
	.section	.rodata,"a",@progbits
	.p2align	6, 0x0
	.amdhsa_kernel _ZN7rocprim17ROCPRIM_400000_NS6detail17trampoline_kernelINS0_14default_configENS1_21merge_config_selectorINS0_5tupleIJttEEENS0_10empty_typeEEEZNS1_10merge_implIS3_NS0_12zip_iteratorINS5_IJN6thrust23THRUST_200600_302600_NS6detail15normal_iteratorINSC_10device_ptrIKtEEEESI_EEEEESK_NSA_INS5_IJNSE_INSF_ItEEEESM_EEEEEPS7_SP_SP_NSC_11hip_rocprim7__merge17predicate_wrapperIttNSC_4lessItEEEEEE10hipError_tPvRmT0_T1_T2_T3_T4_T5_mmT6_P12ihipStream_tbEUlT_E0_NS1_11comp_targetILNS1_3genE8ELNS1_11target_archE1030ELNS1_3gpuE2ELNS1_3repE0EEENS1_30default_config_static_selectorELNS0_4arch9wavefront6targetE0EEEvS10_
		.amdhsa_group_segment_fixed_size 33792
		.amdhsa_private_segment_fixed_size 0
		.amdhsa_kernarg_size 112
		.amdhsa_user_sgpr_count 6
		.amdhsa_user_sgpr_private_segment_buffer 1
		.amdhsa_user_sgpr_dispatch_ptr 0
		.amdhsa_user_sgpr_queue_ptr 0
		.amdhsa_user_sgpr_kernarg_segment_ptr 1
		.amdhsa_user_sgpr_dispatch_id 0
		.amdhsa_user_sgpr_flat_scratch_init 0
		.amdhsa_user_sgpr_private_segment_size 0
		.amdhsa_wavefront_size32 1
		.amdhsa_uses_dynamic_stack 0
		.amdhsa_system_sgpr_private_segment_wavefront_offset 0
		.amdhsa_system_sgpr_workgroup_id_x 1
		.amdhsa_system_sgpr_workgroup_id_y 0
		.amdhsa_system_sgpr_workgroup_id_z 0
		.amdhsa_system_sgpr_workgroup_info 0
		.amdhsa_system_vgpr_workitem_id 0
		.amdhsa_next_free_vgpr 37
		.amdhsa_next_free_sgpr 26
		.amdhsa_reserve_vcc 1
		.amdhsa_reserve_flat_scratch 0
		.amdhsa_float_round_mode_32 0
		.amdhsa_float_round_mode_16_64 0
		.amdhsa_float_denorm_mode_32 3
		.amdhsa_float_denorm_mode_16_64 3
		.amdhsa_dx10_clamp 1
		.amdhsa_ieee_mode 1
		.amdhsa_fp16_overflow 0
		.amdhsa_workgroup_processor_mode 1
		.amdhsa_memory_ordered 1
		.amdhsa_forward_progress 1
		.amdhsa_shared_vgpr_count 0
		.amdhsa_exception_fp_ieee_invalid_op 0
		.amdhsa_exception_fp_denorm_src 0
		.amdhsa_exception_fp_ieee_div_zero 0
		.amdhsa_exception_fp_ieee_overflow 0
		.amdhsa_exception_fp_ieee_underflow 0
		.amdhsa_exception_fp_ieee_inexact 0
		.amdhsa_exception_int_div_zero 0
	.end_amdhsa_kernel
	.section	.text._ZN7rocprim17ROCPRIM_400000_NS6detail17trampoline_kernelINS0_14default_configENS1_21merge_config_selectorINS0_5tupleIJttEEENS0_10empty_typeEEEZNS1_10merge_implIS3_NS0_12zip_iteratorINS5_IJN6thrust23THRUST_200600_302600_NS6detail15normal_iteratorINSC_10device_ptrIKtEEEESI_EEEEESK_NSA_INS5_IJNSE_INSF_ItEEEESM_EEEEEPS7_SP_SP_NSC_11hip_rocprim7__merge17predicate_wrapperIttNSC_4lessItEEEEEE10hipError_tPvRmT0_T1_T2_T3_T4_T5_mmT6_P12ihipStream_tbEUlT_E0_NS1_11comp_targetILNS1_3genE8ELNS1_11target_archE1030ELNS1_3gpuE2ELNS1_3repE0EEENS1_30default_config_static_selectorELNS0_4arch9wavefront6targetE0EEEvS10_,"axG",@progbits,_ZN7rocprim17ROCPRIM_400000_NS6detail17trampoline_kernelINS0_14default_configENS1_21merge_config_selectorINS0_5tupleIJttEEENS0_10empty_typeEEEZNS1_10merge_implIS3_NS0_12zip_iteratorINS5_IJN6thrust23THRUST_200600_302600_NS6detail15normal_iteratorINSC_10device_ptrIKtEEEESI_EEEEESK_NSA_INS5_IJNSE_INSF_ItEEEESM_EEEEEPS7_SP_SP_NSC_11hip_rocprim7__merge17predicate_wrapperIttNSC_4lessItEEEEEE10hipError_tPvRmT0_T1_T2_T3_T4_T5_mmT6_P12ihipStream_tbEUlT_E0_NS1_11comp_targetILNS1_3genE8ELNS1_11target_archE1030ELNS1_3gpuE2ELNS1_3repE0EEENS1_30default_config_static_selectorELNS0_4arch9wavefront6targetE0EEEvS10_,comdat
.Lfunc_end187:
	.size	_ZN7rocprim17ROCPRIM_400000_NS6detail17trampoline_kernelINS0_14default_configENS1_21merge_config_selectorINS0_5tupleIJttEEENS0_10empty_typeEEEZNS1_10merge_implIS3_NS0_12zip_iteratorINS5_IJN6thrust23THRUST_200600_302600_NS6detail15normal_iteratorINSC_10device_ptrIKtEEEESI_EEEEESK_NSA_INS5_IJNSE_INSF_ItEEEESM_EEEEEPS7_SP_SP_NSC_11hip_rocprim7__merge17predicate_wrapperIttNSC_4lessItEEEEEE10hipError_tPvRmT0_T1_T2_T3_T4_T5_mmT6_P12ihipStream_tbEUlT_E0_NS1_11comp_targetILNS1_3genE8ELNS1_11target_archE1030ELNS1_3gpuE2ELNS1_3repE0EEENS1_30default_config_static_selectorELNS0_4arch9wavefront6targetE0EEEvS10_, .Lfunc_end187-_ZN7rocprim17ROCPRIM_400000_NS6detail17trampoline_kernelINS0_14default_configENS1_21merge_config_selectorINS0_5tupleIJttEEENS0_10empty_typeEEEZNS1_10merge_implIS3_NS0_12zip_iteratorINS5_IJN6thrust23THRUST_200600_302600_NS6detail15normal_iteratorINSC_10device_ptrIKtEEEESI_EEEEESK_NSA_INS5_IJNSE_INSF_ItEEEESM_EEEEEPS7_SP_SP_NSC_11hip_rocprim7__merge17predicate_wrapperIttNSC_4lessItEEEEEE10hipError_tPvRmT0_T1_T2_T3_T4_T5_mmT6_P12ihipStream_tbEUlT_E0_NS1_11comp_targetILNS1_3genE8ELNS1_11target_archE1030ELNS1_3gpuE2ELNS1_3repE0EEENS1_30default_config_static_selectorELNS0_4arch9wavefront6targetE0EEEvS10_
                                        ; -- End function
	.set _ZN7rocprim17ROCPRIM_400000_NS6detail17trampoline_kernelINS0_14default_configENS1_21merge_config_selectorINS0_5tupleIJttEEENS0_10empty_typeEEEZNS1_10merge_implIS3_NS0_12zip_iteratorINS5_IJN6thrust23THRUST_200600_302600_NS6detail15normal_iteratorINSC_10device_ptrIKtEEEESI_EEEEESK_NSA_INS5_IJNSE_INSF_ItEEEESM_EEEEEPS7_SP_SP_NSC_11hip_rocprim7__merge17predicate_wrapperIttNSC_4lessItEEEEEE10hipError_tPvRmT0_T1_T2_T3_T4_T5_mmT6_P12ihipStream_tbEUlT_E0_NS1_11comp_targetILNS1_3genE8ELNS1_11target_archE1030ELNS1_3gpuE2ELNS1_3repE0EEENS1_30default_config_static_selectorELNS0_4arch9wavefront6targetE0EEEvS10_.num_vgpr, 37
	.set _ZN7rocprim17ROCPRIM_400000_NS6detail17trampoline_kernelINS0_14default_configENS1_21merge_config_selectorINS0_5tupleIJttEEENS0_10empty_typeEEEZNS1_10merge_implIS3_NS0_12zip_iteratorINS5_IJN6thrust23THRUST_200600_302600_NS6detail15normal_iteratorINSC_10device_ptrIKtEEEESI_EEEEESK_NSA_INS5_IJNSE_INSF_ItEEEESM_EEEEEPS7_SP_SP_NSC_11hip_rocprim7__merge17predicate_wrapperIttNSC_4lessItEEEEEE10hipError_tPvRmT0_T1_T2_T3_T4_T5_mmT6_P12ihipStream_tbEUlT_E0_NS1_11comp_targetILNS1_3genE8ELNS1_11target_archE1030ELNS1_3gpuE2ELNS1_3repE0EEENS1_30default_config_static_selectorELNS0_4arch9wavefront6targetE0EEEvS10_.num_agpr, 0
	.set _ZN7rocprim17ROCPRIM_400000_NS6detail17trampoline_kernelINS0_14default_configENS1_21merge_config_selectorINS0_5tupleIJttEEENS0_10empty_typeEEEZNS1_10merge_implIS3_NS0_12zip_iteratorINS5_IJN6thrust23THRUST_200600_302600_NS6detail15normal_iteratorINSC_10device_ptrIKtEEEESI_EEEEESK_NSA_INS5_IJNSE_INSF_ItEEEESM_EEEEEPS7_SP_SP_NSC_11hip_rocprim7__merge17predicate_wrapperIttNSC_4lessItEEEEEE10hipError_tPvRmT0_T1_T2_T3_T4_T5_mmT6_P12ihipStream_tbEUlT_E0_NS1_11comp_targetILNS1_3genE8ELNS1_11target_archE1030ELNS1_3gpuE2ELNS1_3repE0EEENS1_30default_config_static_selectorELNS0_4arch9wavefront6targetE0EEEvS10_.numbered_sgpr, 26
	.set _ZN7rocprim17ROCPRIM_400000_NS6detail17trampoline_kernelINS0_14default_configENS1_21merge_config_selectorINS0_5tupleIJttEEENS0_10empty_typeEEEZNS1_10merge_implIS3_NS0_12zip_iteratorINS5_IJN6thrust23THRUST_200600_302600_NS6detail15normal_iteratorINSC_10device_ptrIKtEEEESI_EEEEESK_NSA_INS5_IJNSE_INSF_ItEEEESM_EEEEEPS7_SP_SP_NSC_11hip_rocprim7__merge17predicate_wrapperIttNSC_4lessItEEEEEE10hipError_tPvRmT0_T1_T2_T3_T4_T5_mmT6_P12ihipStream_tbEUlT_E0_NS1_11comp_targetILNS1_3genE8ELNS1_11target_archE1030ELNS1_3gpuE2ELNS1_3repE0EEENS1_30default_config_static_selectorELNS0_4arch9wavefront6targetE0EEEvS10_.num_named_barrier, 0
	.set _ZN7rocprim17ROCPRIM_400000_NS6detail17trampoline_kernelINS0_14default_configENS1_21merge_config_selectorINS0_5tupleIJttEEENS0_10empty_typeEEEZNS1_10merge_implIS3_NS0_12zip_iteratorINS5_IJN6thrust23THRUST_200600_302600_NS6detail15normal_iteratorINSC_10device_ptrIKtEEEESI_EEEEESK_NSA_INS5_IJNSE_INSF_ItEEEESM_EEEEEPS7_SP_SP_NSC_11hip_rocprim7__merge17predicate_wrapperIttNSC_4lessItEEEEEE10hipError_tPvRmT0_T1_T2_T3_T4_T5_mmT6_P12ihipStream_tbEUlT_E0_NS1_11comp_targetILNS1_3genE8ELNS1_11target_archE1030ELNS1_3gpuE2ELNS1_3repE0EEENS1_30default_config_static_selectorELNS0_4arch9wavefront6targetE0EEEvS10_.private_seg_size, 0
	.set _ZN7rocprim17ROCPRIM_400000_NS6detail17trampoline_kernelINS0_14default_configENS1_21merge_config_selectorINS0_5tupleIJttEEENS0_10empty_typeEEEZNS1_10merge_implIS3_NS0_12zip_iteratorINS5_IJN6thrust23THRUST_200600_302600_NS6detail15normal_iteratorINSC_10device_ptrIKtEEEESI_EEEEESK_NSA_INS5_IJNSE_INSF_ItEEEESM_EEEEEPS7_SP_SP_NSC_11hip_rocprim7__merge17predicate_wrapperIttNSC_4lessItEEEEEE10hipError_tPvRmT0_T1_T2_T3_T4_T5_mmT6_P12ihipStream_tbEUlT_E0_NS1_11comp_targetILNS1_3genE8ELNS1_11target_archE1030ELNS1_3gpuE2ELNS1_3repE0EEENS1_30default_config_static_selectorELNS0_4arch9wavefront6targetE0EEEvS10_.uses_vcc, 1
	.set _ZN7rocprim17ROCPRIM_400000_NS6detail17trampoline_kernelINS0_14default_configENS1_21merge_config_selectorINS0_5tupleIJttEEENS0_10empty_typeEEEZNS1_10merge_implIS3_NS0_12zip_iteratorINS5_IJN6thrust23THRUST_200600_302600_NS6detail15normal_iteratorINSC_10device_ptrIKtEEEESI_EEEEESK_NSA_INS5_IJNSE_INSF_ItEEEESM_EEEEEPS7_SP_SP_NSC_11hip_rocprim7__merge17predicate_wrapperIttNSC_4lessItEEEEEE10hipError_tPvRmT0_T1_T2_T3_T4_T5_mmT6_P12ihipStream_tbEUlT_E0_NS1_11comp_targetILNS1_3genE8ELNS1_11target_archE1030ELNS1_3gpuE2ELNS1_3repE0EEENS1_30default_config_static_selectorELNS0_4arch9wavefront6targetE0EEEvS10_.uses_flat_scratch, 0
	.set _ZN7rocprim17ROCPRIM_400000_NS6detail17trampoline_kernelINS0_14default_configENS1_21merge_config_selectorINS0_5tupleIJttEEENS0_10empty_typeEEEZNS1_10merge_implIS3_NS0_12zip_iteratorINS5_IJN6thrust23THRUST_200600_302600_NS6detail15normal_iteratorINSC_10device_ptrIKtEEEESI_EEEEESK_NSA_INS5_IJNSE_INSF_ItEEEESM_EEEEEPS7_SP_SP_NSC_11hip_rocprim7__merge17predicate_wrapperIttNSC_4lessItEEEEEE10hipError_tPvRmT0_T1_T2_T3_T4_T5_mmT6_P12ihipStream_tbEUlT_E0_NS1_11comp_targetILNS1_3genE8ELNS1_11target_archE1030ELNS1_3gpuE2ELNS1_3repE0EEENS1_30default_config_static_selectorELNS0_4arch9wavefront6targetE0EEEvS10_.has_dyn_sized_stack, 0
	.set _ZN7rocprim17ROCPRIM_400000_NS6detail17trampoline_kernelINS0_14default_configENS1_21merge_config_selectorINS0_5tupleIJttEEENS0_10empty_typeEEEZNS1_10merge_implIS3_NS0_12zip_iteratorINS5_IJN6thrust23THRUST_200600_302600_NS6detail15normal_iteratorINSC_10device_ptrIKtEEEESI_EEEEESK_NSA_INS5_IJNSE_INSF_ItEEEESM_EEEEEPS7_SP_SP_NSC_11hip_rocprim7__merge17predicate_wrapperIttNSC_4lessItEEEEEE10hipError_tPvRmT0_T1_T2_T3_T4_T5_mmT6_P12ihipStream_tbEUlT_E0_NS1_11comp_targetILNS1_3genE8ELNS1_11target_archE1030ELNS1_3gpuE2ELNS1_3repE0EEENS1_30default_config_static_selectorELNS0_4arch9wavefront6targetE0EEEvS10_.has_recursion, 0
	.set _ZN7rocprim17ROCPRIM_400000_NS6detail17trampoline_kernelINS0_14default_configENS1_21merge_config_selectorINS0_5tupleIJttEEENS0_10empty_typeEEEZNS1_10merge_implIS3_NS0_12zip_iteratorINS5_IJN6thrust23THRUST_200600_302600_NS6detail15normal_iteratorINSC_10device_ptrIKtEEEESI_EEEEESK_NSA_INS5_IJNSE_INSF_ItEEEESM_EEEEEPS7_SP_SP_NSC_11hip_rocprim7__merge17predicate_wrapperIttNSC_4lessItEEEEEE10hipError_tPvRmT0_T1_T2_T3_T4_T5_mmT6_P12ihipStream_tbEUlT_E0_NS1_11comp_targetILNS1_3genE8ELNS1_11target_archE1030ELNS1_3gpuE2ELNS1_3repE0EEENS1_30default_config_static_selectorELNS0_4arch9wavefront6targetE0EEEvS10_.has_indirect_call, 0
	.section	.AMDGPU.csdata,"",@progbits
; Kernel info:
; codeLenInByte = 4348
; TotalNumSgprs: 28
; NumVgprs: 37
; ScratchSize: 0
; MemoryBound: 0
; FloatMode: 240
; IeeeMode: 1
; LDSByteSize: 33792 bytes/workgroup (compile time only)
; SGPRBlocks: 0
; VGPRBlocks: 4
; NumSGPRsForWavesPerEU: 28
; NumVGPRsForWavesPerEU: 37
; Occupancy: 16
; WaveLimiterHint : 1
; COMPUTE_PGM_RSRC2:SCRATCH_EN: 0
; COMPUTE_PGM_RSRC2:USER_SGPR: 6
; COMPUTE_PGM_RSRC2:TRAP_HANDLER: 0
; COMPUTE_PGM_RSRC2:TGID_X_EN: 1
; COMPUTE_PGM_RSRC2:TGID_Y_EN: 0
; COMPUTE_PGM_RSRC2:TGID_Z_EN: 0
; COMPUTE_PGM_RSRC2:TIDIG_COMP_CNT: 0
	.section	.text._ZN7rocprim17ROCPRIM_400000_NS6detail17trampoline_kernelINS0_14default_configENS1_22reduce_config_selectorIN6thrust23THRUST_200600_302600_NS5tupleIblNS6_9null_typeES8_S8_S8_S8_S8_S8_S8_EEEEZNS1_11reduce_implILb1ES3_NS6_12zip_iteratorINS7_INS6_11hip_rocprim26transform_input_iterator_tIbNSD_35transform_pair_of_input_iterators_tIbNS6_6detail15normal_iteratorINS6_10device_ptrIKtEEEESL_NS6_8equal_toItEEEENSG_9not_fun_tINSD_8identityEEEEENSD_19counting_iterator_tIlEES8_S8_S8_S8_S8_S8_S8_S8_EEEEPS9_S9_NSD_9__find_if7functorIS9_EEEE10hipError_tPvRmT1_T2_T3_mT4_P12ihipStream_tbEUlT_E0_NS1_11comp_targetILNS1_3genE0ELNS1_11target_archE4294967295ELNS1_3gpuE0ELNS1_3repE0EEENS1_30default_config_static_selectorELNS0_4arch9wavefront6targetE0EEEvS14_,"axG",@progbits,_ZN7rocprim17ROCPRIM_400000_NS6detail17trampoline_kernelINS0_14default_configENS1_22reduce_config_selectorIN6thrust23THRUST_200600_302600_NS5tupleIblNS6_9null_typeES8_S8_S8_S8_S8_S8_S8_EEEEZNS1_11reduce_implILb1ES3_NS6_12zip_iteratorINS7_INS6_11hip_rocprim26transform_input_iterator_tIbNSD_35transform_pair_of_input_iterators_tIbNS6_6detail15normal_iteratorINS6_10device_ptrIKtEEEESL_NS6_8equal_toItEEEENSG_9not_fun_tINSD_8identityEEEEENSD_19counting_iterator_tIlEES8_S8_S8_S8_S8_S8_S8_S8_EEEEPS9_S9_NSD_9__find_if7functorIS9_EEEE10hipError_tPvRmT1_T2_T3_mT4_P12ihipStream_tbEUlT_E0_NS1_11comp_targetILNS1_3genE0ELNS1_11target_archE4294967295ELNS1_3gpuE0ELNS1_3repE0EEENS1_30default_config_static_selectorELNS0_4arch9wavefront6targetE0EEEvS14_,comdat
	.protected	_ZN7rocprim17ROCPRIM_400000_NS6detail17trampoline_kernelINS0_14default_configENS1_22reduce_config_selectorIN6thrust23THRUST_200600_302600_NS5tupleIblNS6_9null_typeES8_S8_S8_S8_S8_S8_S8_EEEEZNS1_11reduce_implILb1ES3_NS6_12zip_iteratorINS7_INS6_11hip_rocprim26transform_input_iterator_tIbNSD_35transform_pair_of_input_iterators_tIbNS6_6detail15normal_iteratorINS6_10device_ptrIKtEEEESL_NS6_8equal_toItEEEENSG_9not_fun_tINSD_8identityEEEEENSD_19counting_iterator_tIlEES8_S8_S8_S8_S8_S8_S8_S8_EEEEPS9_S9_NSD_9__find_if7functorIS9_EEEE10hipError_tPvRmT1_T2_T3_mT4_P12ihipStream_tbEUlT_E0_NS1_11comp_targetILNS1_3genE0ELNS1_11target_archE4294967295ELNS1_3gpuE0ELNS1_3repE0EEENS1_30default_config_static_selectorELNS0_4arch9wavefront6targetE0EEEvS14_ ; -- Begin function _ZN7rocprim17ROCPRIM_400000_NS6detail17trampoline_kernelINS0_14default_configENS1_22reduce_config_selectorIN6thrust23THRUST_200600_302600_NS5tupleIblNS6_9null_typeES8_S8_S8_S8_S8_S8_S8_EEEEZNS1_11reduce_implILb1ES3_NS6_12zip_iteratorINS7_INS6_11hip_rocprim26transform_input_iterator_tIbNSD_35transform_pair_of_input_iterators_tIbNS6_6detail15normal_iteratorINS6_10device_ptrIKtEEEESL_NS6_8equal_toItEEEENSG_9not_fun_tINSD_8identityEEEEENSD_19counting_iterator_tIlEES8_S8_S8_S8_S8_S8_S8_S8_EEEEPS9_S9_NSD_9__find_if7functorIS9_EEEE10hipError_tPvRmT1_T2_T3_mT4_P12ihipStream_tbEUlT_E0_NS1_11comp_targetILNS1_3genE0ELNS1_11target_archE4294967295ELNS1_3gpuE0ELNS1_3repE0EEENS1_30default_config_static_selectorELNS0_4arch9wavefront6targetE0EEEvS14_
	.globl	_ZN7rocprim17ROCPRIM_400000_NS6detail17trampoline_kernelINS0_14default_configENS1_22reduce_config_selectorIN6thrust23THRUST_200600_302600_NS5tupleIblNS6_9null_typeES8_S8_S8_S8_S8_S8_S8_EEEEZNS1_11reduce_implILb1ES3_NS6_12zip_iteratorINS7_INS6_11hip_rocprim26transform_input_iterator_tIbNSD_35transform_pair_of_input_iterators_tIbNS6_6detail15normal_iteratorINS6_10device_ptrIKtEEEESL_NS6_8equal_toItEEEENSG_9not_fun_tINSD_8identityEEEEENSD_19counting_iterator_tIlEES8_S8_S8_S8_S8_S8_S8_S8_EEEEPS9_S9_NSD_9__find_if7functorIS9_EEEE10hipError_tPvRmT1_T2_T3_mT4_P12ihipStream_tbEUlT_E0_NS1_11comp_targetILNS1_3genE0ELNS1_11target_archE4294967295ELNS1_3gpuE0ELNS1_3repE0EEENS1_30default_config_static_selectorELNS0_4arch9wavefront6targetE0EEEvS14_
	.p2align	8
	.type	_ZN7rocprim17ROCPRIM_400000_NS6detail17trampoline_kernelINS0_14default_configENS1_22reduce_config_selectorIN6thrust23THRUST_200600_302600_NS5tupleIblNS6_9null_typeES8_S8_S8_S8_S8_S8_S8_EEEEZNS1_11reduce_implILb1ES3_NS6_12zip_iteratorINS7_INS6_11hip_rocprim26transform_input_iterator_tIbNSD_35transform_pair_of_input_iterators_tIbNS6_6detail15normal_iteratorINS6_10device_ptrIKtEEEESL_NS6_8equal_toItEEEENSG_9not_fun_tINSD_8identityEEEEENSD_19counting_iterator_tIlEES8_S8_S8_S8_S8_S8_S8_S8_EEEEPS9_S9_NSD_9__find_if7functorIS9_EEEE10hipError_tPvRmT1_T2_T3_mT4_P12ihipStream_tbEUlT_E0_NS1_11comp_targetILNS1_3genE0ELNS1_11target_archE4294967295ELNS1_3gpuE0ELNS1_3repE0EEENS1_30default_config_static_selectorELNS0_4arch9wavefront6targetE0EEEvS14_,@function
_ZN7rocprim17ROCPRIM_400000_NS6detail17trampoline_kernelINS0_14default_configENS1_22reduce_config_selectorIN6thrust23THRUST_200600_302600_NS5tupleIblNS6_9null_typeES8_S8_S8_S8_S8_S8_S8_EEEEZNS1_11reduce_implILb1ES3_NS6_12zip_iteratorINS7_INS6_11hip_rocprim26transform_input_iterator_tIbNSD_35transform_pair_of_input_iterators_tIbNS6_6detail15normal_iteratorINS6_10device_ptrIKtEEEESL_NS6_8equal_toItEEEENSG_9not_fun_tINSD_8identityEEEEENSD_19counting_iterator_tIlEES8_S8_S8_S8_S8_S8_S8_S8_EEEEPS9_S9_NSD_9__find_if7functorIS9_EEEE10hipError_tPvRmT1_T2_T3_mT4_P12ihipStream_tbEUlT_E0_NS1_11comp_targetILNS1_3genE0ELNS1_11target_archE4294967295ELNS1_3gpuE0ELNS1_3repE0EEENS1_30default_config_static_selectorELNS0_4arch9wavefront6targetE0EEEvS14_: ; @_ZN7rocprim17ROCPRIM_400000_NS6detail17trampoline_kernelINS0_14default_configENS1_22reduce_config_selectorIN6thrust23THRUST_200600_302600_NS5tupleIblNS6_9null_typeES8_S8_S8_S8_S8_S8_S8_EEEEZNS1_11reduce_implILb1ES3_NS6_12zip_iteratorINS7_INS6_11hip_rocprim26transform_input_iterator_tIbNSD_35transform_pair_of_input_iterators_tIbNS6_6detail15normal_iteratorINS6_10device_ptrIKtEEEESL_NS6_8equal_toItEEEENSG_9not_fun_tINSD_8identityEEEEENSD_19counting_iterator_tIlEES8_S8_S8_S8_S8_S8_S8_S8_EEEEPS9_S9_NSD_9__find_if7functorIS9_EEEE10hipError_tPvRmT1_T2_T3_mT4_P12ihipStream_tbEUlT_E0_NS1_11comp_targetILNS1_3genE0ELNS1_11target_archE4294967295ELNS1_3gpuE0ELNS1_3repE0EEENS1_30default_config_static_selectorELNS0_4arch9wavefront6targetE0EEEvS14_
; %bb.0:
	.section	.rodata,"a",@progbits
	.p2align	6, 0x0
	.amdhsa_kernel _ZN7rocprim17ROCPRIM_400000_NS6detail17trampoline_kernelINS0_14default_configENS1_22reduce_config_selectorIN6thrust23THRUST_200600_302600_NS5tupleIblNS6_9null_typeES8_S8_S8_S8_S8_S8_S8_EEEEZNS1_11reduce_implILb1ES3_NS6_12zip_iteratorINS7_INS6_11hip_rocprim26transform_input_iterator_tIbNSD_35transform_pair_of_input_iterators_tIbNS6_6detail15normal_iteratorINS6_10device_ptrIKtEEEESL_NS6_8equal_toItEEEENSG_9not_fun_tINSD_8identityEEEEENSD_19counting_iterator_tIlEES8_S8_S8_S8_S8_S8_S8_S8_EEEEPS9_S9_NSD_9__find_if7functorIS9_EEEE10hipError_tPvRmT1_T2_T3_mT4_P12ihipStream_tbEUlT_E0_NS1_11comp_targetILNS1_3genE0ELNS1_11target_archE4294967295ELNS1_3gpuE0ELNS1_3repE0EEENS1_30default_config_static_selectorELNS0_4arch9wavefront6targetE0EEEvS14_
		.amdhsa_group_segment_fixed_size 0
		.amdhsa_private_segment_fixed_size 0
		.amdhsa_kernarg_size 104
		.amdhsa_user_sgpr_count 6
		.amdhsa_user_sgpr_private_segment_buffer 1
		.amdhsa_user_sgpr_dispatch_ptr 0
		.amdhsa_user_sgpr_queue_ptr 0
		.amdhsa_user_sgpr_kernarg_segment_ptr 1
		.amdhsa_user_sgpr_dispatch_id 0
		.amdhsa_user_sgpr_flat_scratch_init 0
		.amdhsa_user_sgpr_private_segment_size 0
		.amdhsa_wavefront_size32 1
		.amdhsa_uses_dynamic_stack 0
		.amdhsa_system_sgpr_private_segment_wavefront_offset 0
		.amdhsa_system_sgpr_workgroup_id_x 1
		.amdhsa_system_sgpr_workgroup_id_y 0
		.amdhsa_system_sgpr_workgroup_id_z 0
		.amdhsa_system_sgpr_workgroup_info 0
		.amdhsa_system_vgpr_workitem_id 0
		.amdhsa_next_free_vgpr 1
		.amdhsa_next_free_sgpr 1
		.amdhsa_reserve_vcc 0
		.amdhsa_reserve_flat_scratch 0
		.amdhsa_float_round_mode_32 0
		.amdhsa_float_round_mode_16_64 0
		.amdhsa_float_denorm_mode_32 3
		.amdhsa_float_denorm_mode_16_64 3
		.amdhsa_dx10_clamp 1
		.amdhsa_ieee_mode 1
		.amdhsa_fp16_overflow 0
		.amdhsa_workgroup_processor_mode 1
		.amdhsa_memory_ordered 1
		.amdhsa_forward_progress 1
		.amdhsa_shared_vgpr_count 0
		.amdhsa_exception_fp_ieee_invalid_op 0
		.amdhsa_exception_fp_denorm_src 0
		.amdhsa_exception_fp_ieee_div_zero 0
		.amdhsa_exception_fp_ieee_overflow 0
		.amdhsa_exception_fp_ieee_underflow 0
		.amdhsa_exception_fp_ieee_inexact 0
		.amdhsa_exception_int_div_zero 0
	.end_amdhsa_kernel
	.section	.text._ZN7rocprim17ROCPRIM_400000_NS6detail17trampoline_kernelINS0_14default_configENS1_22reduce_config_selectorIN6thrust23THRUST_200600_302600_NS5tupleIblNS6_9null_typeES8_S8_S8_S8_S8_S8_S8_EEEEZNS1_11reduce_implILb1ES3_NS6_12zip_iteratorINS7_INS6_11hip_rocprim26transform_input_iterator_tIbNSD_35transform_pair_of_input_iterators_tIbNS6_6detail15normal_iteratorINS6_10device_ptrIKtEEEESL_NS6_8equal_toItEEEENSG_9not_fun_tINSD_8identityEEEEENSD_19counting_iterator_tIlEES8_S8_S8_S8_S8_S8_S8_S8_EEEEPS9_S9_NSD_9__find_if7functorIS9_EEEE10hipError_tPvRmT1_T2_T3_mT4_P12ihipStream_tbEUlT_E0_NS1_11comp_targetILNS1_3genE0ELNS1_11target_archE4294967295ELNS1_3gpuE0ELNS1_3repE0EEENS1_30default_config_static_selectorELNS0_4arch9wavefront6targetE0EEEvS14_,"axG",@progbits,_ZN7rocprim17ROCPRIM_400000_NS6detail17trampoline_kernelINS0_14default_configENS1_22reduce_config_selectorIN6thrust23THRUST_200600_302600_NS5tupleIblNS6_9null_typeES8_S8_S8_S8_S8_S8_S8_EEEEZNS1_11reduce_implILb1ES3_NS6_12zip_iteratorINS7_INS6_11hip_rocprim26transform_input_iterator_tIbNSD_35transform_pair_of_input_iterators_tIbNS6_6detail15normal_iteratorINS6_10device_ptrIKtEEEESL_NS6_8equal_toItEEEENSG_9not_fun_tINSD_8identityEEEEENSD_19counting_iterator_tIlEES8_S8_S8_S8_S8_S8_S8_S8_EEEEPS9_S9_NSD_9__find_if7functorIS9_EEEE10hipError_tPvRmT1_T2_T3_mT4_P12ihipStream_tbEUlT_E0_NS1_11comp_targetILNS1_3genE0ELNS1_11target_archE4294967295ELNS1_3gpuE0ELNS1_3repE0EEENS1_30default_config_static_selectorELNS0_4arch9wavefront6targetE0EEEvS14_,comdat
.Lfunc_end188:
	.size	_ZN7rocprim17ROCPRIM_400000_NS6detail17trampoline_kernelINS0_14default_configENS1_22reduce_config_selectorIN6thrust23THRUST_200600_302600_NS5tupleIblNS6_9null_typeES8_S8_S8_S8_S8_S8_S8_EEEEZNS1_11reduce_implILb1ES3_NS6_12zip_iteratorINS7_INS6_11hip_rocprim26transform_input_iterator_tIbNSD_35transform_pair_of_input_iterators_tIbNS6_6detail15normal_iteratorINS6_10device_ptrIKtEEEESL_NS6_8equal_toItEEEENSG_9not_fun_tINSD_8identityEEEEENSD_19counting_iterator_tIlEES8_S8_S8_S8_S8_S8_S8_S8_EEEEPS9_S9_NSD_9__find_if7functorIS9_EEEE10hipError_tPvRmT1_T2_T3_mT4_P12ihipStream_tbEUlT_E0_NS1_11comp_targetILNS1_3genE0ELNS1_11target_archE4294967295ELNS1_3gpuE0ELNS1_3repE0EEENS1_30default_config_static_selectorELNS0_4arch9wavefront6targetE0EEEvS14_, .Lfunc_end188-_ZN7rocprim17ROCPRIM_400000_NS6detail17trampoline_kernelINS0_14default_configENS1_22reduce_config_selectorIN6thrust23THRUST_200600_302600_NS5tupleIblNS6_9null_typeES8_S8_S8_S8_S8_S8_S8_EEEEZNS1_11reduce_implILb1ES3_NS6_12zip_iteratorINS7_INS6_11hip_rocprim26transform_input_iterator_tIbNSD_35transform_pair_of_input_iterators_tIbNS6_6detail15normal_iteratorINS6_10device_ptrIKtEEEESL_NS6_8equal_toItEEEENSG_9not_fun_tINSD_8identityEEEEENSD_19counting_iterator_tIlEES8_S8_S8_S8_S8_S8_S8_S8_EEEEPS9_S9_NSD_9__find_if7functorIS9_EEEE10hipError_tPvRmT1_T2_T3_mT4_P12ihipStream_tbEUlT_E0_NS1_11comp_targetILNS1_3genE0ELNS1_11target_archE4294967295ELNS1_3gpuE0ELNS1_3repE0EEENS1_30default_config_static_selectorELNS0_4arch9wavefront6targetE0EEEvS14_
                                        ; -- End function
	.set _ZN7rocprim17ROCPRIM_400000_NS6detail17trampoline_kernelINS0_14default_configENS1_22reduce_config_selectorIN6thrust23THRUST_200600_302600_NS5tupleIblNS6_9null_typeES8_S8_S8_S8_S8_S8_S8_EEEEZNS1_11reduce_implILb1ES3_NS6_12zip_iteratorINS7_INS6_11hip_rocprim26transform_input_iterator_tIbNSD_35transform_pair_of_input_iterators_tIbNS6_6detail15normal_iteratorINS6_10device_ptrIKtEEEESL_NS6_8equal_toItEEEENSG_9not_fun_tINSD_8identityEEEEENSD_19counting_iterator_tIlEES8_S8_S8_S8_S8_S8_S8_S8_EEEEPS9_S9_NSD_9__find_if7functorIS9_EEEE10hipError_tPvRmT1_T2_T3_mT4_P12ihipStream_tbEUlT_E0_NS1_11comp_targetILNS1_3genE0ELNS1_11target_archE4294967295ELNS1_3gpuE0ELNS1_3repE0EEENS1_30default_config_static_selectorELNS0_4arch9wavefront6targetE0EEEvS14_.num_vgpr, 0
	.set _ZN7rocprim17ROCPRIM_400000_NS6detail17trampoline_kernelINS0_14default_configENS1_22reduce_config_selectorIN6thrust23THRUST_200600_302600_NS5tupleIblNS6_9null_typeES8_S8_S8_S8_S8_S8_S8_EEEEZNS1_11reduce_implILb1ES3_NS6_12zip_iteratorINS7_INS6_11hip_rocprim26transform_input_iterator_tIbNSD_35transform_pair_of_input_iterators_tIbNS6_6detail15normal_iteratorINS6_10device_ptrIKtEEEESL_NS6_8equal_toItEEEENSG_9not_fun_tINSD_8identityEEEEENSD_19counting_iterator_tIlEES8_S8_S8_S8_S8_S8_S8_S8_EEEEPS9_S9_NSD_9__find_if7functorIS9_EEEE10hipError_tPvRmT1_T2_T3_mT4_P12ihipStream_tbEUlT_E0_NS1_11comp_targetILNS1_3genE0ELNS1_11target_archE4294967295ELNS1_3gpuE0ELNS1_3repE0EEENS1_30default_config_static_selectorELNS0_4arch9wavefront6targetE0EEEvS14_.num_agpr, 0
	.set _ZN7rocprim17ROCPRIM_400000_NS6detail17trampoline_kernelINS0_14default_configENS1_22reduce_config_selectorIN6thrust23THRUST_200600_302600_NS5tupleIblNS6_9null_typeES8_S8_S8_S8_S8_S8_S8_EEEEZNS1_11reduce_implILb1ES3_NS6_12zip_iteratorINS7_INS6_11hip_rocprim26transform_input_iterator_tIbNSD_35transform_pair_of_input_iterators_tIbNS6_6detail15normal_iteratorINS6_10device_ptrIKtEEEESL_NS6_8equal_toItEEEENSG_9not_fun_tINSD_8identityEEEEENSD_19counting_iterator_tIlEES8_S8_S8_S8_S8_S8_S8_S8_EEEEPS9_S9_NSD_9__find_if7functorIS9_EEEE10hipError_tPvRmT1_T2_T3_mT4_P12ihipStream_tbEUlT_E0_NS1_11comp_targetILNS1_3genE0ELNS1_11target_archE4294967295ELNS1_3gpuE0ELNS1_3repE0EEENS1_30default_config_static_selectorELNS0_4arch9wavefront6targetE0EEEvS14_.numbered_sgpr, 0
	.set _ZN7rocprim17ROCPRIM_400000_NS6detail17trampoline_kernelINS0_14default_configENS1_22reduce_config_selectorIN6thrust23THRUST_200600_302600_NS5tupleIblNS6_9null_typeES8_S8_S8_S8_S8_S8_S8_EEEEZNS1_11reduce_implILb1ES3_NS6_12zip_iteratorINS7_INS6_11hip_rocprim26transform_input_iterator_tIbNSD_35transform_pair_of_input_iterators_tIbNS6_6detail15normal_iteratorINS6_10device_ptrIKtEEEESL_NS6_8equal_toItEEEENSG_9not_fun_tINSD_8identityEEEEENSD_19counting_iterator_tIlEES8_S8_S8_S8_S8_S8_S8_S8_EEEEPS9_S9_NSD_9__find_if7functorIS9_EEEE10hipError_tPvRmT1_T2_T3_mT4_P12ihipStream_tbEUlT_E0_NS1_11comp_targetILNS1_3genE0ELNS1_11target_archE4294967295ELNS1_3gpuE0ELNS1_3repE0EEENS1_30default_config_static_selectorELNS0_4arch9wavefront6targetE0EEEvS14_.num_named_barrier, 0
	.set _ZN7rocprim17ROCPRIM_400000_NS6detail17trampoline_kernelINS0_14default_configENS1_22reduce_config_selectorIN6thrust23THRUST_200600_302600_NS5tupleIblNS6_9null_typeES8_S8_S8_S8_S8_S8_S8_EEEEZNS1_11reduce_implILb1ES3_NS6_12zip_iteratorINS7_INS6_11hip_rocprim26transform_input_iterator_tIbNSD_35transform_pair_of_input_iterators_tIbNS6_6detail15normal_iteratorINS6_10device_ptrIKtEEEESL_NS6_8equal_toItEEEENSG_9not_fun_tINSD_8identityEEEEENSD_19counting_iterator_tIlEES8_S8_S8_S8_S8_S8_S8_S8_EEEEPS9_S9_NSD_9__find_if7functorIS9_EEEE10hipError_tPvRmT1_T2_T3_mT4_P12ihipStream_tbEUlT_E0_NS1_11comp_targetILNS1_3genE0ELNS1_11target_archE4294967295ELNS1_3gpuE0ELNS1_3repE0EEENS1_30default_config_static_selectorELNS0_4arch9wavefront6targetE0EEEvS14_.private_seg_size, 0
	.set _ZN7rocprim17ROCPRIM_400000_NS6detail17trampoline_kernelINS0_14default_configENS1_22reduce_config_selectorIN6thrust23THRUST_200600_302600_NS5tupleIblNS6_9null_typeES8_S8_S8_S8_S8_S8_S8_EEEEZNS1_11reduce_implILb1ES3_NS6_12zip_iteratorINS7_INS6_11hip_rocprim26transform_input_iterator_tIbNSD_35transform_pair_of_input_iterators_tIbNS6_6detail15normal_iteratorINS6_10device_ptrIKtEEEESL_NS6_8equal_toItEEEENSG_9not_fun_tINSD_8identityEEEEENSD_19counting_iterator_tIlEES8_S8_S8_S8_S8_S8_S8_S8_EEEEPS9_S9_NSD_9__find_if7functorIS9_EEEE10hipError_tPvRmT1_T2_T3_mT4_P12ihipStream_tbEUlT_E0_NS1_11comp_targetILNS1_3genE0ELNS1_11target_archE4294967295ELNS1_3gpuE0ELNS1_3repE0EEENS1_30default_config_static_selectorELNS0_4arch9wavefront6targetE0EEEvS14_.uses_vcc, 0
	.set _ZN7rocprim17ROCPRIM_400000_NS6detail17trampoline_kernelINS0_14default_configENS1_22reduce_config_selectorIN6thrust23THRUST_200600_302600_NS5tupleIblNS6_9null_typeES8_S8_S8_S8_S8_S8_S8_EEEEZNS1_11reduce_implILb1ES3_NS6_12zip_iteratorINS7_INS6_11hip_rocprim26transform_input_iterator_tIbNSD_35transform_pair_of_input_iterators_tIbNS6_6detail15normal_iteratorINS6_10device_ptrIKtEEEESL_NS6_8equal_toItEEEENSG_9not_fun_tINSD_8identityEEEEENSD_19counting_iterator_tIlEES8_S8_S8_S8_S8_S8_S8_S8_EEEEPS9_S9_NSD_9__find_if7functorIS9_EEEE10hipError_tPvRmT1_T2_T3_mT4_P12ihipStream_tbEUlT_E0_NS1_11comp_targetILNS1_3genE0ELNS1_11target_archE4294967295ELNS1_3gpuE0ELNS1_3repE0EEENS1_30default_config_static_selectorELNS0_4arch9wavefront6targetE0EEEvS14_.uses_flat_scratch, 0
	.set _ZN7rocprim17ROCPRIM_400000_NS6detail17trampoline_kernelINS0_14default_configENS1_22reduce_config_selectorIN6thrust23THRUST_200600_302600_NS5tupleIblNS6_9null_typeES8_S8_S8_S8_S8_S8_S8_EEEEZNS1_11reduce_implILb1ES3_NS6_12zip_iteratorINS7_INS6_11hip_rocprim26transform_input_iterator_tIbNSD_35transform_pair_of_input_iterators_tIbNS6_6detail15normal_iteratorINS6_10device_ptrIKtEEEESL_NS6_8equal_toItEEEENSG_9not_fun_tINSD_8identityEEEEENSD_19counting_iterator_tIlEES8_S8_S8_S8_S8_S8_S8_S8_EEEEPS9_S9_NSD_9__find_if7functorIS9_EEEE10hipError_tPvRmT1_T2_T3_mT4_P12ihipStream_tbEUlT_E0_NS1_11comp_targetILNS1_3genE0ELNS1_11target_archE4294967295ELNS1_3gpuE0ELNS1_3repE0EEENS1_30default_config_static_selectorELNS0_4arch9wavefront6targetE0EEEvS14_.has_dyn_sized_stack, 0
	.set _ZN7rocprim17ROCPRIM_400000_NS6detail17trampoline_kernelINS0_14default_configENS1_22reduce_config_selectorIN6thrust23THRUST_200600_302600_NS5tupleIblNS6_9null_typeES8_S8_S8_S8_S8_S8_S8_EEEEZNS1_11reduce_implILb1ES3_NS6_12zip_iteratorINS7_INS6_11hip_rocprim26transform_input_iterator_tIbNSD_35transform_pair_of_input_iterators_tIbNS6_6detail15normal_iteratorINS6_10device_ptrIKtEEEESL_NS6_8equal_toItEEEENSG_9not_fun_tINSD_8identityEEEEENSD_19counting_iterator_tIlEES8_S8_S8_S8_S8_S8_S8_S8_EEEEPS9_S9_NSD_9__find_if7functorIS9_EEEE10hipError_tPvRmT1_T2_T3_mT4_P12ihipStream_tbEUlT_E0_NS1_11comp_targetILNS1_3genE0ELNS1_11target_archE4294967295ELNS1_3gpuE0ELNS1_3repE0EEENS1_30default_config_static_selectorELNS0_4arch9wavefront6targetE0EEEvS14_.has_recursion, 0
	.set _ZN7rocprim17ROCPRIM_400000_NS6detail17trampoline_kernelINS0_14default_configENS1_22reduce_config_selectorIN6thrust23THRUST_200600_302600_NS5tupleIblNS6_9null_typeES8_S8_S8_S8_S8_S8_S8_EEEEZNS1_11reduce_implILb1ES3_NS6_12zip_iteratorINS7_INS6_11hip_rocprim26transform_input_iterator_tIbNSD_35transform_pair_of_input_iterators_tIbNS6_6detail15normal_iteratorINS6_10device_ptrIKtEEEESL_NS6_8equal_toItEEEENSG_9not_fun_tINSD_8identityEEEEENSD_19counting_iterator_tIlEES8_S8_S8_S8_S8_S8_S8_S8_EEEEPS9_S9_NSD_9__find_if7functorIS9_EEEE10hipError_tPvRmT1_T2_T3_mT4_P12ihipStream_tbEUlT_E0_NS1_11comp_targetILNS1_3genE0ELNS1_11target_archE4294967295ELNS1_3gpuE0ELNS1_3repE0EEENS1_30default_config_static_selectorELNS0_4arch9wavefront6targetE0EEEvS14_.has_indirect_call, 0
	.section	.AMDGPU.csdata,"",@progbits
; Kernel info:
; codeLenInByte = 0
; TotalNumSgprs: 0
; NumVgprs: 0
; ScratchSize: 0
; MemoryBound: 0
; FloatMode: 240
; IeeeMode: 1
; LDSByteSize: 0 bytes/workgroup (compile time only)
; SGPRBlocks: 0
; VGPRBlocks: 0
; NumSGPRsForWavesPerEU: 1
; NumVGPRsForWavesPerEU: 1
; Occupancy: 16
; WaveLimiterHint : 0
; COMPUTE_PGM_RSRC2:SCRATCH_EN: 0
; COMPUTE_PGM_RSRC2:USER_SGPR: 6
; COMPUTE_PGM_RSRC2:TRAP_HANDLER: 0
; COMPUTE_PGM_RSRC2:TGID_X_EN: 1
; COMPUTE_PGM_RSRC2:TGID_Y_EN: 0
; COMPUTE_PGM_RSRC2:TGID_Z_EN: 0
; COMPUTE_PGM_RSRC2:TIDIG_COMP_CNT: 0
	.section	.text._ZN7rocprim17ROCPRIM_400000_NS6detail17trampoline_kernelINS0_14default_configENS1_22reduce_config_selectorIN6thrust23THRUST_200600_302600_NS5tupleIblNS6_9null_typeES8_S8_S8_S8_S8_S8_S8_EEEEZNS1_11reduce_implILb1ES3_NS6_12zip_iteratorINS7_INS6_11hip_rocprim26transform_input_iterator_tIbNSD_35transform_pair_of_input_iterators_tIbNS6_6detail15normal_iteratorINS6_10device_ptrIKtEEEESL_NS6_8equal_toItEEEENSG_9not_fun_tINSD_8identityEEEEENSD_19counting_iterator_tIlEES8_S8_S8_S8_S8_S8_S8_S8_EEEEPS9_S9_NSD_9__find_if7functorIS9_EEEE10hipError_tPvRmT1_T2_T3_mT4_P12ihipStream_tbEUlT_E0_NS1_11comp_targetILNS1_3genE5ELNS1_11target_archE942ELNS1_3gpuE9ELNS1_3repE0EEENS1_30default_config_static_selectorELNS0_4arch9wavefront6targetE0EEEvS14_,"axG",@progbits,_ZN7rocprim17ROCPRIM_400000_NS6detail17trampoline_kernelINS0_14default_configENS1_22reduce_config_selectorIN6thrust23THRUST_200600_302600_NS5tupleIblNS6_9null_typeES8_S8_S8_S8_S8_S8_S8_EEEEZNS1_11reduce_implILb1ES3_NS6_12zip_iteratorINS7_INS6_11hip_rocprim26transform_input_iterator_tIbNSD_35transform_pair_of_input_iterators_tIbNS6_6detail15normal_iteratorINS6_10device_ptrIKtEEEESL_NS6_8equal_toItEEEENSG_9not_fun_tINSD_8identityEEEEENSD_19counting_iterator_tIlEES8_S8_S8_S8_S8_S8_S8_S8_EEEEPS9_S9_NSD_9__find_if7functorIS9_EEEE10hipError_tPvRmT1_T2_T3_mT4_P12ihipStream_tbEUlT_E0_NS1_11comp_targetILNS1_3genE5ELNS1_11target_archE942ELNS1_3gpuE9ELNS1_3repE0EEENS1_30default_config_static_selectorELNS0_4arch9wavefront6targetE0EEEvS14_,comdat
	.protected	_ZN7rocprim17ROCPRIM_400000_NS6detail17trampoline_kernelINS0_14default_configENS1_22reduce_config_selectorIN6thrust23THRUST_200600_302600_NS5tupleIblNS6_9null_typeES8_S8_S8_S8_S8_S8_S8_EEEEZNS1_11reduce_implILb1ES3_NS6_12zip_iteratorINS7_INS6_11hip_rocprim26transform_input_iterator_tIbNSD_35transform_pair_of_input_iterators_tIbNS6_6detail15normal_iteratorINS6_10device_ptrIKtEEEESL_NS6_8equal_toItEEEENSG_9not_fun_tINSD_8identityEEEEENSD_19counting_iterator_tIlEES8_S8_S8_S8_S8_S8_S8_S8_EEEEPS9_S9_NSD_9__find_if7functorIS9_EEEE10hipError_tPvRmT1_T2_T3_mT4_P12ihipStream_tbEUlT_E0_NS1_11comp_targetILNS1_3genE5ELNS1_11target_archE942ELNS1_3gpuE9ELNS1_3repE0EEENS1_30default_config_static_selectorELNS0_4arch9wavefront6targetE0EEEvS14_ ; -- Begin function _ZN7rocprim17ROCPRIM_400000_NS6detail17trampoline_kernelINS0_14default_configENS1_22reduce_config_selectorIN6thrust23THRUST_200600_302600_NS5tupleIblNS6_9null_typeES8_S8_S8_S8_S8_S8_S8_EEEEZNS1_11reduce_implILb1ES3_NS6_12zip_iteratorINS7_INS6_11hip_rocprim26transform_input_iterator_tIbNSD_35transform_pair_of_input_iterators_tIbNS6_6detail15normal_iteratorINS6_10device_ptrIKtEEEESL_NS6_8equal_toItEEEENSG_9not_fun_tINSD_8identityEEEEENSD_19counting_iterator_tIlEES8_S8_S8_S8_S8_S8_S8_S8_EEEEPS9_S9_NSD_9__find_if7functorIS9_EEEE10hipError_tPvRmT1_T2_T3_mT4_P12ihipStream_tbEUlT_E0_NS1_11comp_targetILNS1_3genE5ELNS1_11target_archE942ELNS1_3gpuE9ELNS1_3repE0EEENS1_30default_config_static_selectorELNS0_4arch9wavefront6targetE0EEEvS14_
	.globl	_ZN7rocprim17ROCPRIM_400000_NS6detail17trampoline_kernelINS0_14default_configENS1_22reduce_config_selectorIN6thrust23THRUST_200600_302600_NS5tupleIblNS6_9null_typeES8_S8_S8_S8_S8_S8_S8_EEEEZNS1_11reduce_implILb1ES3_NS6_12zip_iteratorINS7_INS6_11hip_rocprim26transform_input_iterator_tIbNSD_35transform_pair_of_input_iterators_tIbNS6_6detail15normal_iteratorINS6_10device_ptrIKtEEEESL_NS6_8equal_toItEEEENSG_9not_fun_tINSD_8identityEEEEENSD_19counting_iterator_tIlEES8_S8_S8_S8_S8_S8_S8_S8_EEEEPS9_S9_NSD_9__find_if7functorIS9_EEEE10hipError_tPvRmT1_T2_T3_mT4_P12ihipStream_tbEUlT_E0_NS1_11comp_targetILNS1_3genE5ELNS1_11target_archE942ELNS1_3gpuE9ELNS1_3repE0EEENS1_30default_config_static_selectorELNS0_4arch9wavefront6targetE0EEEvS14_
	.p2align	8
	.type	_ZN7rocprim17ROCPRIM_400000_NS6detail17trampoline_kernelINS0_14default_configENS1_22reduce_config_selectorIN6thrust23THRUST_200600_302600_NS5tupleIblNS6_9null_typeES8_S8_S8_S8_S8_S8_S8_EEEEZNS1_11reduce_implILb1ES3_NS6_12zip_iteratorINS7_INS6_11hip_rocprim26transform_input_iterator_tIbNSD_35transform_pair_of_input_iterators_tIbNS6_6detail15normal_iteratorINS6_10device_ptrIKtEEEESL_NS6_8equal_toItEEEENSG_9not_fun_tINSD_8identityEEEEENSD_19counting_iterator_tIlEES8_S8_S8_S8_S8_S8_S8_S8_EEEEPS9_S9_NSD_9__find_if7functorIS9_EEEE10hipError_tPvRmT1_T2_T3_mT4_P12ihipStream_tbEUlT_E0_NS1_11comp_targetILNS1_3genE5ELNS1_11target_archE942ELNS1_3gpuE9ELNS1_3repE0EEENS1_30default_config_static_selectorELNS0_4arch9wavefront6targetE0EEEvS14_,@function
_ZN7rocprim17ROCPRIM_400000_NS6detail17trampoline_kernelINS0_14default_configENS1_22reduce_config_selectorIN6thrust23THRUST_200600_302600_NS5tupleIblNS6_9null_typeES8_S8_S8_S8_S8_S8_S8_EEEEZNS1_11reduce_implILb1ES3_NS6_12zip_iteratorINS7_INS6_11hip_rocprim26transform_input_iterator_tIbNSD_35transform_pair_of_input_iterators_tIbNS6_6detail15normal_iteratorINS6_10device_ptrIKtEEEESL_NS6_8equal_toItEEEENSG_9not_fun_tINSD_8identityEEEEENSD_19counting_iterator_tIlEES8_S8_S8_S8_S8_S8_S8_S8_EEEEPS9_S9_NSD_9__find_if7functorIS9_EEEE10hipError_tPvRmT1_T2_T3_mT4_P12ihipStream_tbEUlT_E0_NS1_11comp_targetILNS1_3genE5ELNS1_11target_archE942ELNS1_3gpuE9ELNS1_3repE0EEENS1_30default_config_static_selectorELNS0_4arch9wavefront6targetE0EEEvS14_: ; @_ZN7rocprim17ROCPRIM_400000_NS6detail17trampoline_kernelINS0_14default_configENS1_22reduce_config_selectorIN6thrust23THRUST_200600_302600_NS5tupleIblNS6_9null_typeES8_S8_S8_S8_S8_S8_S8_EEEEZNS1_11reduce_implILb1ES3_NS6_12zip_iteratorINS7_INS6_11hip_rocprim26transform_input_iterator_tIbNSD_35transform_pair_of_input_iterators_tIbNS6_6detail15normal_iteratorINS6_10device_ptrIKtEEEESL_NS6_8equal_toItEEEENSG_9not_fun_tINSD_8identityEEEEENSD_19counting_iterator_tIlEES8_S8_S8_S8_S8_S8_S8_S8_EEEEPS9_S9_NSD_9__find_if7functorIS9_EEEE10hipError_tPvRmT1_T2_T3_mT4_P12ihipStream_tbEUlT_E0_NS1_11comp_targetILNS1_3genE5ELNS1_11target_archE942ELNS1_3gpuE9ELNS1_3repE0EEENS1_30default_config_static_selectorELNS0_4arch9wavefront6targetE0EEEvS14_
; %bb.0:
	.section	.rodata,"a",@progbits
	.p2align	6, 0x0
	.amdhsa_kernel _ZN7rocprim17ROCPRIM_400000_NS6detail17trampoline_kernelINS0_14default_configENS1_22reduce_config_selectorIN6thrust23THRUST_200600_302600_NS5tupleIblNS6_9null_typeES8_S8_S8_S8_S8_S8_S8_EEEEZNS1_11reduce_implILb1ES3_NS6_12zip_iteratorINS7_INS6_11hip_rocprim26transform_input_iterator_tIbNSD_35transform_pair_of_input_iterators_tIbNS6_6detail15normal_iteratorINS6_10device_ptrIKtEEEESL_NS6_8equal_toItEEEENSG_9not_fun_tINSD_8identityEEEEENSD_19counting_iterator_tIlEES8_S8_S8_S8_S8_S8_S8_S8_EEEEPS9_S9_NSD_9__find_if7functorIS9_EEEE10hipError_tPvRmT1_T2_T3_mT4_P12ihipStream_tbEUlT_E0_NS1_11comp_targetILNS1_3genE5ELNS1_11target_archE942ELNS1_3gpuE9ELNS1_3repE0EEENS1_30default_config_static_selectorELNS0_4arch9wavefront6targetE0EEEvS14_
		.amdhsa_group_segment_fixed_size 0
		.amdhsa_private_segment_fixed_size 0
		.amdhsa_kernarg_size 104
		.amdhsa_user_sgpr_count 6
		.amdhsa_user_sgpr_private_segment_buffer 1
		.amdhsa_user_sgpr_dispatch_ptr 0
		.amdhsa_user_sgpr_queue_ptr 0
		.amdhsa_user_sgpr_kernarg_segment_ptr 1
		.amdhsa_user_sgpr_dispatch_id 0
		.amdhsa_user_sgpr_flat_scratch_init 0
		.amdhsa_user_sgpr_private_segment_size 0
		.amdhsa_wavefront_size32 1
		.amdhsa_uses_dynamic_stack 0
		.amdhsa_system_sgpr_private_segment_wavefront_offset 0
		.amdhsa_system_sgpr_workgroup_id_x 1
		.amdhsa_system_sgpr_workgroup_id_y 0
		.amdhsa_system_sgpr_workgroup_id_z 0
		.amdhsa_system_sgpr_workgroup_info 0
		.amdhsa_system_vgpr_workitem_id 0
		.amdhsa_next_free_vgpr 1
		.amdhsa_next_free_sgpr 1
		.amdhsa_reserve_vcc 0
		.amdhsa_reserve_flat_scratch 0
		.amdhsa_float_round_mode_32 0
		.amdhsa_float_round_mode_16_64 0
		.amdhsa_float_denorm_mode_32 3
		.amdhsa_float_denorm_mode_16_64 3
		.amdhsa_dx10_clamp 1
		.amdhsa_ieee_mode 1
		.amdhsa_fp16_overflow 0
		.amdhsa_workgroup_processor_mode 1
		.amdhsa_memory_ordered 1
		.amdhsa_forward_progress 1
		.amdhsa_shared_vgpr_count 0
		.amdhsa_exception_fp_ieee_invalid_op 0
		.amdhsa_exception_fp_denorm_src 0
		.amdhsa_exception_fp_ieee_div_zero 0
		.amdhsa_exception_fp_ieee_overflow 0
		.amdhsa_exception_fp_ieee_underflow 0
		.amdhsa_exception_fp_ieee_inexact 0
		.amdhsa_exception_int_div_zero 0
	.end_amdhsa_kernel
	.section	.text._ZN7rocprim17ROCPRIM_400000_NS6detail17trampoline_kernelINS0_14default_configENS1_22reduce_config_selectorIN6thrust23THRUST_200600_302600_NS5tupleIblNS6_9null_typeES8_S8_S8_S8_S8_S8_S8_EEEEZNS1_11reduce_implILb1ES3_NS6_12zip_iteratorINS7_INS6_11hip_rocprim26transform_input_iterator_tIbNSD_35transform_pair_of_input_iterators_tIbNS6_6detail15normal_iteratorINS6_10device_ptrIKtEEEESL_NS6_8equal_toItEEEENSG_9not_fun_tINSD_8identityEEEEENSD_19counting_iterator_tIlEES8_S8_S8_S8_S8_S8_S8_S8_EEEEPS9_S9_NSD_9__find_if7functorIS9_EEEE10hipError_tPvRmT1_T2_T3_mT4_P12ihipStream_tbEUlT_E0_NS1_11comp_targetILNS1_3genE5ELNS1_11target_archE942ELNS1_3gpuE9ELNS1_3repE0EEENS1_30default_config_static_selectorELNS0_4arch9wavefront6targetE0EEEvS14_,"axG",@progbits,_ZN7rocprim17ROCPRIM_400000_NS6detail17trampoline_kernelINS0_14default_configENS1_22reduce_config_selectorIN6thrust23THRUST_200600_302600_NS5tupleIblNS6_9null_typeES8_S8_S8_S8_S8_S8_S8_EEEEZNS1_11reduce_implILb1ES3_NS6_12zip_iteratorINS7_INS6_11hip_rocprim26transform_input_iterator_tIbNSD_35transform_pair_of_input_iterators_tIbNS6_6detail15normal_iteratorINS6_10device_ptrIKtEEEESL_NS6_8equal_toItEEEENSG_9not_fun_tINSD_8identityEEEEENSD_19counting_iterator_tIlEES8_S8_S8_S8_S8_S8_S8_S8_EEEEPS9_S9_NSD_9__find_if7functorIS9_EEEE10hipError_tPvRmT1_T2_T3_mT4_P12ihipStream_tbEUlT_E0_NS1_11comp_targetILNS1_3genE5ELNS1_11target_archE942ELNS1_3gpuE9ELNS1_3repE0EEENS1_30default_config_static_selectorELNS0_4arch9wavefront6targetE0EEEvS14_,comdat
.Lfunc_end189:
	.size	_ZN7rocprim17ROCPRIM_400000_NS6detail17trampoline_kernelINS0_14default_configENS1_22reduce_config_selectorIN6thrust23THRUST_200600_302600_NS5tupleIblNS6_9null_typeES8_S8_S8_S8_S8_S8_S8_EEEEZNS1_11reduce_implILb1ES3_NS6_12zip_iteratorINS7_INS6_11hip_rocprim26transform_input_iterator_tIbNSD_35transform_pair_of_input_iterators_tIbNS6_6detail15normal_iteratorINS6_10device_ptrIKtEEEESL_NS6_8equal_toItEEEENSG_9not_fun_tINSD_8identityEEEEENSD_19counting_iterator_tIlEES8_S8_S8_S8_S8_S8_S8_S8_EEEEPS9_S9_NSD_9__find_if7functorIS9_EEEE10hipError_tPvRmT1_T2_T3_mT4_P12ihipStream_tbEUlT_E0_NS1_11comp_targetILNS1_3genE5ELNS1_11target_archE942ELNS1_3gpuE9ELNS1_3repE0EEENS1_30default_config_static_selectorELNS0_4arch9wavefront6targetE0EEEvS14_, .Lfunc_end189-_ZN7rocprim17ROCPRIM_400000_NS6detail17trampoline_kernelINS0_14default_configENS1_22reduce_config_selectorIN6thrust23THRUST_200600_302600_NS5tupleIblNS6_9null_typeES8_S8_S8_S8_S8_S8_S8_EEEEZNS1_11reduce_implILb1ES3_NS6_12zip_iteratorINS7_INS6_11hip_rocprim26transform_input_iterator_tIbNSD_35transform_pair_of_input_iterators_tIbNS6_6detail15normal_iteratorINS6_10device_ptrIKtEEEESL_NS6_8equal_toItEEEENSG_9not_fun_tINSD_8identityEEEEENSD_19counting_iterator_tIlEES8_S8_S8_S8_S8_S8_S8_S8_EEEEPS9_S9_NSD_9__find_if7functorIS9_EEEE10hipError_tPvRmT1_T2_T3_mT4_P12ihipStream_tbEUlT_E0_NS1_11comp_targetILNS1_3genE5ELNS1_11target_archE942ELNS1_3gpuE9ELNS1_3repE0EEENS1_30default_config_static_selectorELNS0_4arch9wavefront6targetE0EEEvS14_
                                        ; -- End function
	.set _ZN7rocprim17ROCPRIM_400000_NS6detail17trampoline_kernelINS0_14default_configENS1_22reduce_config_selectorIN6thrust23THRUST_200600_302600_NS5tupleIblNS6_9null_typeES8_S8_S8_S8_S8_S8_S8_EEEEZNS1_11reduce_implILb1ES3_NS6_12zip_iteratorINS7_INS6_11hip_rocprim26transform_input_iterator_tIbNSD_35transform_pair_of_input_iterators_tIbNS6_6detail15normal_iteratorINS6_10device_ptrIKtEEEESL_NS6_8equal_toItEEEENSG_9not_fun_tINSD_8identityEEEEENSD_19counting_iterator_tIlEES8_S8_S8_S8_S8_S8_S8_S8_EEEEPS9_S9_NSD_9__find_if7functorIS9_EEEE10hipError_tPvRmT1_T2_T3_mT4_P12ihipStream_tbEUlT_E0_NS1_11comp_targetILNS1_3genE5ELNS1_11target_archE942ELNS1_3gpuE9ELNS1_3repE0EEENS1_30default_config_static_selectorELNS0_4arch9wavefront6targetE0EEEvS14_.num_vgpr, 0
	.set _ZN7rocprim17ROCPRIM_400000_NS6detail17trampoline_kernelINS0_14default_configENS1_22reduce_config_selectorIN6thrust23THRUST_200600_302600_NS5tupleIblNS6_9null_typeES8_S8_S8_S8_S8_S8_S8_EEEEZNS1_11reduce_implILb1ES3_NS6_12zip_iteratorINS7_INS6_11hip_rocprim26transform_input_iterator_tIbNSD_35transform_pair_of_input_iterators_tIbNS6_6detail15normal_iteratorINS6_10device_ptrIKtEEEESL_NS6_8equal_toItEEEENSG_9not_fun_tINSD_8identityEEEEENSD_19counting_iterator_tIlEES8_S8_S8_S8_S8_S8_S8_S8_EEEEPS9_S9_NSD_9__find_if7functorIS9_EEEE10hipError_tPvRmT1_T2_T3_mT4_P12ihipStream_tbEUlT_E0_NS1_11comp_targetILNS1_3genE5ELNS1_11target_archE942ELNS1_3gpuE9ELNS1_3repE0EEENS1_30default_config_static_selectorELNS0_4arch9wavefront6targetE0EEEvS14_.num_agpr, 0
	.set _ZN7rocprim17ROCPRIM_400000_NS6detail17trampoline_kernelINS0_14default_configENS1_22reduce_config_selectorIN6thrust23THRUST_200600_302600_NS5tupleIblNS6_9null_typeES8_S8_S8_S8_S8_S8_S8_EEEEZNS1_11reduce_implILb1ES3_NS6_12zip_iteratorINS7_INS6_11hip_rocprim26transform_input_iterator_tIbNSD_35transform_pair_of_input_iterators_tIbNS6_6detail15normal_iteratorINS6_10device_ptrIKtEEEESL_NS6_8equal_toItEEEENSG_9not_fun_tINSD_8identityEEEEENSD_19counting_iterator_tIlEES8_S8_S8_S8_S8_S8_S8_S8_EEEEPS9_S9_NSD_9__find_if7functorIS9_EEEE10hipError_tPvRmT1_T2_T3_mT4_P12ihipStream_tbEUlT_E0_NS1_11comp_targetILNS1_3genE5ELNS1_11target_archE942ELNS1_3gpuE9ELNS1_3repE0EEENS1_30default_config_static_selectorELNS0_4arch9wavefront6targetE0EEEvS14_.numbered_sgpr, 0
	.set _ZN7rocprim17ROCPRIM_400000_NS6detail17trampoline_kernelINS0_14default_configENS1_22reduce_config_selectorIN6thrust23THRUST_200600_302600_NS5tupleIblNS6_9null_typeES8_S8_S8_S8_S8_S8_S8_EEEEZNS1_11reduce_implILb1ES3_NS6_12zip_iteratorINS7_INS6_11hip_rocprim26transform_input_iterator_tIbNSD_35transform_pair_of_input_iterators_tIbNS6_6detail15normal_iteratorINS6_10device_ptrIKtEEEESL_NS6_8equal_toItEEEENSG_9not_fun_tINSD_8identityEEEEENSD_19counting_iterator_tIlEES8_S8_S8_S8_S8_S8_S8_S8_EEEEPS9_S9_NSD_9__find_if7functorIS9_EEEE10hipError_tPvRmT1_T2_T3_mT4_P12ihipStream_tbEUlT_E0_NS1_11comp_targetILNS1_3genE5ELNS1_11target_archE942ELNS1_3gpuE9ELNS1_3repE0EEENS1_30default_config_static_selectorELNS0_4arch9wavefront6targetE0EEEvS14_.num_named_barrier, 0
	.set _ZN7rocprim17ROCPRIM_400000_NS6detail17trampoline_kernelINS0_14default_configENS1_22reduce_config_selectorIN6thrust23THRUST_200600_302600_NS5tupleIblNS6_9null_typeES8_S8_S8_S8_S8_S8_S8_EEEEZNS1_11reduce_implILb1ES3_NS6_12zip_iteratorINS7_INS6_11hip_rocprim26transform_input_iterator_tIbNSD_35transform_pair_of_input_iterators_tIbNS6_6detail15normal_iteratorINS6_10device_ptrIKtEEEESL_NS6_8equal_toItEEEENSG_9not_fun_tINSD_8identityEEEEENSD_19counting_iterator_tIlEES8_S8_S8_S8_S8_S8_S8_S8_EEEEPS9_S9_NSD_9__find_if7functorIS9_EEEE10hipError_tPvRmT1_T2_T3_mT4_P12ihipStream_tbEUlT_E0_NS1_11comp_targetILNS1_3genE5ELNS1_11target_archE942ELNS1_3gpuE9ELNS1_3repE0EEENS1_30default_config_static_selectorELNS0_4arch9wavefront6targetE0EEEvS14_.private_seg_size, 0
	.set _ZN7rocprim17ROCPRIM_400000_NS6detail17trampoline_kernelINS0_14default_configENS1_22reduce_config_selectorIN6thrust23THRUST_200600_302600_NS5tupleIblNS6_9null_typeES8_S8_S8_S8_S8_S8_S8_EEEEZNS1_11reduce_implILb1ES3_NS6_12zip_iteratorINS7_INS6_11hip_rocprim26transform_input_iterator_tIbNSD_35transform_pair_of_input_iterators_tIbNS6_6detail15normal_iteratorINS6_10device_ptrIKtEEEESL_NS6_8equal_toItEEEENSG_9not_fun_tINSD_8identityEEEEENSD_19counting_iterator_tIlEES8_S8_S8_S8_S8_S8_S8_S8_EEEEPS9_S9_NSD_9__find_if7functorIS9_EEEE10hipError_tPvRmT1_T2_T3_mT4_P12ihipStream_tbEUlT_E0_NS1_11comp_targetILNS1_3genE5ELNS1_11target_archE942ELNS1_3gpuE9ELNS1_3repE0EEENS1_30default_config_static_selectorELNS0_4arch9wavefront6targetE0EEEvS14_.uses_vcc, 0
	.set _ZN7rocprim17ROCPRIM_400000_NS6detail17trampoline_kernelINS0_14default_configENS1_22reduce_config_selectorIN6thrust23THRUST_200600_302600_NS5tupleIblNS6_9null_typeES8_S8_S8_S8_S8_S8_S8_EEEEZNS1_11reduce_implILb1ES3_NS6_12zip_iteratorINS7_INS6_11hip_rocprim26transform_input_iterator_tIbNSD_35transform_pair_of_input_iterators_tIbNS6_6detail15normal_iteratorINS6_10device_ptrIKtEEEESL_NS6_8equal_toItEEEENSG_9not_fun_tINSD_8identityEEEEENSD_19counting_iterator_tIlEES8_S8_S8_S8_S8_S8_S8_S8_EEEEPS9_S9_NSD_9__find_if7functorIS9_EEEE10hipError_tPvRmT1_T2_T3_mT4_P12ihipStream_tbEUlT_E0_NS1_11comp_targetILNS1_3genE5ELNS1_11target_archE942ELNS1_3gpuE9ELNS1_3repE0EEENS1_30default_config_static_selectorELNS0_4arch9wavefront6targetE0EEEvS14_.uses_flat_scratch, 0
	.set _ZN7rocprim17ROCPRIM_400000_NS6detail17trampoline_kernelINS0_14default_configENS1_22reduce_config_selectorIN6thrust23THRUST_200600_302600_NS5tupleIblNS6_9null_typeES8_S8_S8_S8_S8_S8_S8_EEEEZNS1_11reduce_implILb1ES3_NS6_12zip_iteratorINS7_INS6_11hip_rocprim26transform_input_iterator_tIbNSD_35transform_pair_of_input_iterators_tIbNS6_6detail15normal_iteratorINS6_10device_ptrIKtEEEESL_NS6_8equal_toItEEEENSG_9not_fun_tINSD_8identityEEEEENSD_19counting_iterator_tIlEES8_S8_S8_S8_S8_S8_S8_S8_EEEEPS9_S9_NSD_9__find_if7functorIS9_EEEE10hipError_tPvRmT1_T2_T3_mT4_P12ihipStream_tbEUlT_E0_NS1_11comp_targetILNS1_3genE5ELNS1_11target_archE942ELNS1_3gpuE9ELNS1_3repE0EEENS1_30default_config_static_selectorELNS0_4arch9wavefront6targetE0EEEvS14_.has_dyn_sized_stack, 0
	.set _ZN7rocprim17ROCPRIM_400000_NS6detail17trampoline_kernelINS0_14default_configENS1_22reduce_config_selectorIN6thrust23THRUST_200600_302600_NS5tupleIblNS6_9null_typeES8_S8_S8_S8_S8_S8_S8_EEEEZNS1_11reduce_implILb1ES3_NS6_12zip_iteratorINS7_INS6_11hip_rocprim26transform_input_iterator_tIbNSD_35transform_pair_of_input_iterators_tIbNS6_6detail15normal_iteratorINS6_10device_ptrIKtEEEESL_NS6_8equal_toItEEEENSG_9not_fun_tINSD_8identityEEEEENSD_19counting_iterator_tIlEES8_S8_S8_S8_S8_S8_S8_S8_EEEEPS9_S9_NSD_9__find_if7functorIS9_EEEE10hipError_tPvRmT1_T2_T3_mT4_P12ihipStream_tbEUlT_E0_NS1_11comp_targetILNS1_3genE5ELNS1_11target_archE942ELNS1_3gpuE9ELNS1_3repE0EEENS1_30default_config_static_selectorELNS0_4arch9wavefront6targetE0EEEvS14_.has_recursion, 0
	.set _ZN7rocprim17ROCPRIM_400000_NS6detail17trampoline_kernelINS0_14default_configENS1_22reduce_config_selectorIN6thrust23THRUST_200600_302600_NS5tupleIblNS6_9null_typeES8_S8_S8_S8_S8_S8_S8_EEEEZNS1_11reduce_implILb1ES3_NS6_12zip_iteratorINS7_INS6_11hip_rocprim26transform_input_iterator_tIbNSD_35transform_pair_of_input_iterators_tIbNS6_6detail15normal_iteratorINS6_10device_ptrIKtEEEESL_NS6_8equal_toItEEEENSG_9not_fun_tINSD_8identityEEEEENSD_19counting_iterator_tIlEES8_S8_S8_S8_S8_S8_S8_S8_EEEEPS9_S9_NSD_9__find_if7functorIS9_EEEE10hipError_tPvRmT1_T2_T3_mT4_P12ihipStream_tbEUlT_E0_NS1_11comp_targetILNS1_3genE5ELNS1_11target_archE942ELNS1_3gpuE9ELNS1_3repE0EEENS1_30default_config_static_selectorELNS0_4arch9wavefront6targetE0EEEvS14_.has_indirect_call, 0
	.section	.AMDGPU.csdata,"",@progbits
; Kernel info:
; codeLenInByte = 0
; TotalNumSgprs: 0
; NumVgprs: 0
; ScratchSize: 0
; MemoryBound: 0
; FloatMode: 240
; IeeeMode: 1
; LDSByteSize: 0 bytes/workgroup (compile time only)
; SGPRBlocks: 0
; VGPRBlocks: 0
; NumSGPRsForWavesPerEU: 1
; NumVGPRsForWavesPerEU: 1
; Occupancy: 16
; WaveLimiterHint : 0
; COMPUTE_PGM_RSRC2:SCRATCH_EN: 0
; COMPUTE_PGM_RSRC2:USER_SGPR: 6
; COMPUTE_PGM_RSRC2:TRAP_HANDLER: 0
; COMPUTE_PGM_RSRC2:TGID_X_EN: 1
; COMPUTE_PGM_RSRC2:TGID_Y_EN: 0
; COMPUTE_PGM_RSRC2:TGID_Z_EN: 0
; COMPUTE_PGM_RSRC2:TIDIG_COMP_CNT: 0
	.section	.text._ZN7rocprim17ROCPRIM_400000_NS6detail17trampoline_kernelINS0_14default_configENS1_22reduce_config_selectorIN6thrust23THRUST_200600_302600_NS5tupleIblNS6_9null_typeES8_S8_S8_S8_S8_S8_S8_EEEEZNS1_11reduce_implILb1ES3_NS6_12zip_iteratorINS7_INS6_11hip_rocprim26transform_input_iterator_tIbNSD_35transform_pair_of_input_iterators_tIbNS6_6detail15normal_iteratorINS6_10device_ptrIKtEEEESL_NS6_8equal_toItEEEENSG_9not_fun_tINSD_8identityEEEEENSD_19counting_iterator_tIlEES8_S8_S8_S8_S8_S8_S8_S8_EEEEPS9_S9_NSD_9__find_if7functorIS9_EEEE10hipError_tPvRmT1_T2_T3_mT4_P12ihipStream_tbEUlT_E0_NS1_11comp_targetILNS1_3genE4ELNS1_11target_archE910ELNS1_3gpuE8ELNS1_3repE0EEENS1_30default_config_static_selectorELNS0_4arch9wavefront6targetE0EEEvS14_,"axG",@progbits,_ZN7rocprim17ROCPRIM_400000_NS6detail17trampoline_kernelINS0_14default_configENS1_22reduce_config_selectorIN6thrust23THRUST_200600_302600_NS5tupleIblNS6_9null_typeES8_S8_S8_S8_S8_S8_S8_EEEEZNS1_11reduce_implILb1ES3_NS6_12zip_iteratorINS7_INS6_11hip_rocprim26transform_input_iterator_tIbNSD_35transform_pair_of_input_iterators_tIbNS6_6detail15normal_iteratorINS6_10device_ptrIKtEEEESL_NS6_8equal_toItEEEENSG_9not_fun_tINSD_8identityEEEEENSD_19counting_iterator_tIlEES8_S8_S8_S8_S8_S8_S8_S8_EEEEPS9_S9_NSD_9__find_if7functorIS9_EEEE10hipError_tPvRmT1_T2_T3_mT4_P12ihipStream_tbEUlT_E0_NS1_11comp_targetILNS1_3genE4ELNS1_11target_archE910ELNS1_3gpuE8ELNS1_3repE0EEENS1_30default_config_static_selectorELNS0_4arch9wavefront6targetE0EEEvS14_,comdat
	.protected	_ZN7rocprim17ROCPRIM_400000_NS6detail17trampoline_kernelINS0_14default_configENS1_22reduce_config_selectorIN6thrust23THRUST_200600_302600_NS5tupleIblNS6_9null_typeES8_S8_S8_S8_S8_S8_S8_EEEEZNS1_11reduce_implILb1ES3_NS6_12zip_iteratorINS7_INS6_11hip_rocprim26transform_input_iterator_tIbNSD_35transform_pair_of_input_iterators_tIbNS6_6detail15normal_iteratorINS6_10device_ptrIKtEEEESL_NS6_8equal_toItEEEENSG_9not_fun_tINSD_8identityEEEEENSD_19counting_iterator_tIlEES8_S8_S8_S8_S8_S8_S8_S8_EEEEPS9_S9_NSD_9__find_if7functorIS9_EEEE10hipError_tPvRmT1_T2_T3_mT4_P12ihipStream_tbEUlT_E0_NS1_11comp_targetILNS1_3genE4ELNS1_11target_archE910ELNS1_3gpuE8ELNS1_3repE0EEENS1_30default_config_static_selectorELNS0_4arch9wavefront6targetE0EEEvS14_ ; -- Begin function _ZN7rocprim17ROCPRIM_400000_NS6detail17trampoline_kernelINS0_14default_configENS1_22reduce_config_selectorIN6thrust23THRUST_200600_302600_NS5tupleIblNS6_9null_typeES8_S8_S8_S8_S8_S8_S8_EEEEZNS1_11reduce_implILb1ES3_NS6_12zip_iteratorINS7_INS6_11hip_rocprim26transform_input_iterator_tIbNSD_35transform_pair_of_input_iterators_tIbNS6_6detail15normal_iteratorINS6_10device_ptrIKtEEEESL_NS6_8equal_toItEEEENSG_9not_fun_tINSD_8identityEEEEENSD_19counting_iterator_tIlEES8_S8_S8_S8_S8_S8_S8_S8_EEEEPS9_S9_NSD_9__find_if7functorIS9_EEEE10hipError_tPvRmT1_T2_T3_mT4_P12ihipStream_tbEUlT_E0_NS1_11comp_targetILNS1_3genE4ELNS1_11target_archE910ELNS1_3gpuE8ELNS1_3repE0EEENS1_30default_config_static_selectorELNS0_4arch9wavefront6targetE0EEEvS14_
	.globl	_ZN7rocprim17ROCPRIM_400000_NS6detail17trampoline_kernelINS0_14default_configENS1_22reduce_config_selectorIN6thrust23THRUST_200600_302600_NS5tupleIblNS6_9null_typeES8_S8_S8_S8_S8_S8_S8_EEEEZNS1_11reduce_implILb1ES3_NS6_12zip_iteratorINS7_INS6_11hip_rocprim26transform_input_iterator_tIbNSD_35transform_pair_of_input_iterators_tIbNS6_6detail15normal_iteratorINS6_10device_ptrIKtEEEESL_NS6_8equal_toItEEEENSG_9not_fun_tINSD_8identityEEEEENSD_19counting_iterator_tIlEES8_S8_S8_S8_S8_S8_S8_S8_EEEEPS9_S9_NSD_9__find_if7functorIS9_EEEE10hipError_tPvRmT1_T2_T3_mT4_P12ihipStream_tbEUlT_E0_NS1_11comp_targetILNS1_3genE4ELNS1_11target_archE910ELNS1_3gpuE8ELNS1_3repE0EEENS1_30default_config_static_selectorELNS0_4arch9wavefront6targetE0EEEvS14_
	.p2align	8
	.type	_ZN7rocprim17ROCPRIM_400000_NS6detail17trampoline_kernelINS0_14default_configENS1_22reduce_config_selectorIN6thrust23THRUST_200600_302600_NS5tupleIblNS6_9null_typeES8_S8_S8_S8_S8_S8_S8_EEEEZNS1_11reduce_implILb1ES3_NS6_12zip_iteratorINS7_INS6_11hip_rocprim26transform_input_iterator_tIbNSD_35transform_pair_of_input_iterators_tIbNS6_6detail15normal_iteratorINS6_10device_ptrIKtEEEESL_NS6_8equal_toItEEEENSG_9not_fun_tINSD_8identityEEEEENSD_19counting_iterator_tIlEES8_S8_S8_S8_S8_S8_S8_S8_EEEEPS9_S9_NSD_9__find_if7functorIS9_EEEE10hipError_tPvRmT1_T2_T3_mT4_P12ihipStream_tbEUlT_E0_NS1_11comp_targetILNS1_3genE4ELNS1_11target_archE910ELNS1_3gpuE8ELNS1_3repE0EEENS1_30default_config_static_selectorELNS0_4arch9wavefront6targetE0EEEvS14_,@function
_ZN7rocprim17ROCPRIM_400000_NS6detail17trampoline_kernelINS0_14default_configENS1_22reduce_config_selectorIN6thrust23THRUST_200600_302600_NS5tupleIblNS6_9null_typeES8_S8_S8_S8_S8_S8_S8_EEEEZNS1_11reduce_implILb1ES3_NS6_12zip_iteratorINS7_INS6_11hip_rocprim26transform_input_iterator_tIbNSD_35transform_pair_of_input_iterators_tIbNS6_6detail15normal_iteratorINS6_10device_ptrIKtEEEESL_NS6_8equal_toItEEEENSG_9not_fun_tINSD_8identityEEEEENSD_19counting_iterator_tIlEES8_S8_S8_S8_S8_S8_S8_S8_EEEEPS9_S9_NSD_9__find_if7functorIS9_EEEE10hipError_tPvRmT1_T2_T3_mT4_P12ihipStream_tbEUlT_E0_NS1_11comp_targetILNS1_3genE4ELNS1_11target_archE910ELNS1_3gpuE8ELNS1_3repE0EEENS1_30default_config_static_selectorELNS0_4arch9wavefront6targetE0EEEvS14_: ; @_ZN7rocprim17ROCPRIM_400000_NS6detail17trampoline_kernelINS0_14default_configENS1_22reduce_config_selectorIN6thrust23THRUST_200600_302600_NS5tupleIblNS6_9null_typeES8_S8_S8_S8_S8_S8_S8_EEEEZNS1_11reduce_implILb1ES3_NS6_12zip_iteratorINS7_INS6_11hip_rocprim26transform_input_iterator_tIbNSD_35transform_pair_of_input_iterators_tIbNS6_6detail15normal_iteratorINS6_10device_ptrIKtEEEESL_NS6_8equal_toItEEEENSG_9not_fun_tINSD_8identityEEEEENSD_19counting_iterator_tIlEES8_S8_S8_S8_S8_S8_S8_S8_EEEEPS9_S9_NSD_9__find_if7functorIS9_EEEE10hipError_tPvRmT1_T2_T3_mT4_P12ihipStream_tbEUlT_E0_NS1_11comp_targetILNS1_3genE4ELNS1_11target_archE910ELNS1_3gpuE8ELNS1_3repE0EEENS1_30default_config_static_selectorELNS0_4arch9wavefront6targetE0EEEvS14_
; %bb.0:
	.section	.rodata,"a",@progbits
	.p2align	6, 0x0
	.amdhsa_kernel _ZN7rocprim17ROCPRIM_400000_NS6detail17trampoline_kernelINS0_14default_configENS1_22reduce_config_selectorIN6thrust23THRUST_200600_302600_NS5tupleIblNS6_9null_typeES8_S8_S8_S8_S8_S8_S8_EEEEZNS1_11reduce_implILb1ES3_NS6_12zip_iteratorINS7_INS6_11hip_rocprim26transform_input_iterator_tIbNSD_35transform_pair_of_input_iterators_tIbNS6_6detail15normal_iteratorINS6_10device_ptrIKtEEEESL_NS6_8equal_toItEEEENSG_9not_fun_tINSD_8identityEEEEENSD_19counting_iterator_tIlEES8_S8_S8_S8_S8_S8_S8_S8_EEEEPS9_S9_NSD_9__find_if7functorIS9_EEEE10hipError_tPvRmT1_T2_T3_mT4_P12ihipStream_tbEUlT_E0_NS1_11comp_targetILNS1_3genE4ELNS1_11target_archE910ELNS1_3gpuE8ELNS1_3repE0EEENS1_30default_config_static_selectorELNS0_4arch9wavefront6targetE0EEEvS14_
		.amdhsa_group_segment_fixed_size 0
		.amdhsa_private_segment_fixed_size 0
		.amdhsa_kernarg_size 104
		.amdhsa_user_sgpr_count 6
		.amdhsa_user_sgpr_private_segment_buffer 1
		.amdhsa_user_sgpr_dispatch_ptr 0
		.amdhsa_user_sgpr_queue_ptr 0
		.amdhsa_user_sgpr_kernarg_segment_ptr 1
		.amdhsa_user_sgpr_dispatch_id 0
		.amdhsa_user_sgpr_flat_scratch_init 0
		.amdhsa_user_sgpr_private_segment_size 0
		.amdhsa_wavefront_size32 1
		.amdhsa_uses_dynamic_stack 0
		.amdhsa_system_sgpr_private_segment_wavefront_offset 0
		.amdhsa_system_sgpr_workgroup_id_x 1
		.amdhsa_system_sgpr_workgroup_id_y 0
		.amdhsa_system_sgpr_workgroup_id_z 0
		.amdhsa_system_sgpr_workgroup_info 0
		.amdhsa_system_vgpr_workitem_id 0
		.amdhsa_next_free_vgpr 1
		.amdhsa_next_free_sgpr 1
		.amdhsa_reserve_vcc 0
		.amdhsa_reserve_flat_scratch 0
		.amdhsa_float_round_mode_32 0
		.amdhsa_float_round_mode_16_64 0
		.amdhsa_float_denorm_mode_32 3
		.amdhsa_float_denorm_mode_16_64 3
		.amdhsa_dx10_clamp 1
		.amdhsa_ieee_mode 1
		.amdhsa_fp16_overflow 0
		.amdhsa_workgroup_processor_mode 1
		.amdhsa_memory_ordered 1
		.amdhsa_forward_progress 1
		.amdhsa_shared_vgpr_count 0
		.amdhsa_exception_fp_ieee_invalid_op 0
		.amdhsa_exception_fp_denorm_src 0
		.amdhsa_exception_fp_ieee_div_zero 0
		.amdhsa_exception_fp_ieee_overflow 0
		.amdhsa_exception_fp_ieee_underflow 0
		.amdhsa_exception_fp_ieee_inexact 0
		.amdhsa_exception_int_div_zero 0
	.end_amdhsa_kernel
	.section	.text._ZN7rocprim17ROCPRIM_400000_NS6detail17trampoline_kernelINS0_14default_configENS1_22reduce_config_selectorIN6thrust23THRUST_200600_302600_NS5tupleIblNS6_9null_typeES8_S8_S8_S8_S8_S8_S8_EEEEZNS1_11reduce_implILb1ES3_NS6_12zip_iteratorINS7_INS6_11hip_rocprim26transform_input_iterator_tIbNSD_35transform_pair_of_input_iterators_tIbNS6_6detail15normal_iteratorINS6_10device_ptrIKtEEEESL_NS6_8equal_toItEEEENSG_9not_fun_tINSD_8identityEEEEENSD_19counting_iterator_tIlEES8_S8_S8_S8_S8_S8_S8_S8_EEEEPS9_S9_NSD_9__find_if7functorIS9_EEEE10hipError_tPvRmT1_T2_T3_mT4_P12ihipStream_tbEUlT_E0_NS1_11comp_targetILNS1_3genE4ELNS1_11target_archE910ELNS1_3gpuE8ELNS1_3repE0EEENS1_30default_config_static_selectorELNS0_4arch9wavefront6targetE0EEEvS14_,"axG",@progbits,_ZN7rocprim17ROCPRIM_400000_NS6detail17trampoline_kernelINS0_14default_configENS1_22reduce_config_selectorIN6thrust23THRUST_200600_302600_NS5tupleIblNS6_9null_typeES8_S8_S8_S8_S8_S8_S8_EEEEZNS1_11reduce_implILb1ES3_NS6_12zip_iteratorINS7_INS6_11hip_rocprim26transform_input_iterator_tIbNSD_35transform_pair_of_input_iterators_tIbNS6_6detail15normal_iteratorINS6_10device_ptrIKtEEEESL_NS6_8equal_toItEEEENSG_9not_fun_tINSD_8identityEEEEENSD_19counting_iterator_tIlEES8_S8_S8_S8_S8_S8_S8_S8_EEEEPS9_S9_NSD_9__find_if7functorIS9_EEEE10hipError_tPvRmT1_T2_T3_mT4_P12ihipStream_tbEUlT_E0_NS1_11comp_targetILNS1_3genE4ELNS1_11target_archE910ELNS1_3gpuE8ELNS1_3repE0EEENS1_30default_config_static_selectorELNS0_4arch9wavefront6targetE0EEEvS14_,comdat
.Lfunc_end190:
	.size	_ZN7rocprim17ROCPRIM_400000_NS6detail17trampoline_kernelINS0_14default_configENS1_22reduce_config_selectorIN6thrust23THRUST_200600_302600_NS5tupleIblNS6_9null_typeES8_S8_S8_S8_S8_S8_S8_EEEEZNS1_11reduce_implILb1ES3_NS6_12zip_iteratorINS7_INS6_11hip_rocprim26transform_input_iterator_tIbNSD_35transform_pair_of_input_iterators_tIbNS6_6detail15normal_iteratorINS6_10device_ptrIKtEEEESL_NS6_8equal_toItEEEENSG_9not_fun_tINSD_8identityEEEEENSD_19counting_iterator_tIlEES8_S8_S8_S8_S8_S8_S8_S8_EEEEPS9_S9_NSD_9__find_if7functorIS9_EEEE10hipError_tPvRmT1_T2_T3_mT4_P12ihipStream_tbEUlT_E0_NS1_11comp_targetILNS1_3genE4ELNS1_11target_archE910ELNS1_3gpuE8ELNS1_3repE0EEENS1_30default_config_static_selectorELNS0_4arch9wavefront6targetE0EEEvS14_, .Lfunc_end190-_ZN7rocprim17ROCPRIM_400000_NS6detail17trampoline_kernelINS0_14default_configENS1_22reduce_config_selectorIN6thrust23THRUST_200600_302600_NS5tupleIblNS6_9null_typeES8_S8_S8_S8_S8_S8_S8_EEEEZNS1_11reduce_implILb1ES3_NS6_12zip_iteratorINS7_INS6_11hip_rocprim26transform_input_iterator_tIbNSD_35transform_pair_of_input_iterators_tIbNS6_6detail15normal_iteratorINS6_10device_ptrIKtEEEESL_NS6_8equal_toItEEEENSG_9not_fun_tINSD_8identityEEEEENSD_19counting_iterator_tIlEES8_S8_S8_S8_S8_S8_S8_S8_EEEEPS9_S9_NSD_9__find_if7functorIS9_EEEE10hipError_tPvRmT1_T2_T3_mT4_P12ihipStream_tbEUlT_E0_NS1_11comp_targetILNS1_3genE4ELNS1_11target_archE910ELNS1_3gpuE8ELNS1_3repE0EEENS1_30default_config_static_selectorELNS0_4arch9wavefront6targetE0EEEvS14_
                                        ; -- End function
	.set _ZN7rocprim17ROCPRIM_400000_NS6detail17trampoline_kernelINS0_14default_configENS1_22reduce_config_selectorIN6thrust23THRUST_200600_302600_NS5tupleIblNS6_9null_typeES8_S8_S8_S8_S8_S8_S8_EEEEZNS1_11reduce_implILb1ES3_NS6_12zip_iteratorINS7_INS6_11hip_rocprim26transform_input_iterator_tIbNSD_35transform_pair_of_input_iterators_tIbNS6_6detail15normal_iteratorINS6_10device_ptrIKtEEEESL_NS6_8equal_toItEEEENSG_9not_fun_tINSD_8identityEEEEENSD_19counting_iterator_tIlEES8_S8_S8_S8_S8_S8_S8_S8_EEEEPS9_S9_NSD_9__find_if7functorIS9_EEEE10hipError_tPvRmT1_T2_T3_mT4_P12ihipStream_tbEUlT_E0_NS1_11comp_targetILNS1_3genE4ELNS1_11target_archE910ELNS1_3gpuE8ELNS1_3repE0EEENS1_30default_config_static_selectorELNS0_4arch9wavefront6targetE0EEEvS14_.num_vgpr, 0
	.set _ZN7rocprim17ROCPRIM_400000_NS6detail17trampoline_kernelINS0_14default_configENS1_22reduce_config_selectorIN6thrust23THRUST_200600_302600_NS5tupleIblNS6_9null_typeES8_S8_S8_S8_S8_S8_S8_EEEEZNS1_11reduce_implILb1ES3_NS6_12zip_iteratorINS7_INS6_11hip_rocprim26transform_input_iterator_tIbNSD_35transform_pair_of_input_iterators_tIbNS6_6detail15normal_iteratorINS6_10device_ptrIKtEEEESL_NS6_8equal_toItEEEENSG_9not_fun_tINSD_8identityEEEEENSD_19counting_iterator_tIlEES8_S8_S8_S8_S8_S8_S8_S8_EEEEPS9_S9_NSD_9__find_if7functorIS9_EEEE10hipError_tPvRmT1_T2_T3_mT4_P12ihipStream_tbEUlT_E0_NS1_11comp_targetILNS1_3genE4ELNS1_11target_archE910ELNS1_3gpuE8ELNS1_3repE0EEENS1_30default_config_static_selectorELNS0_4arch9wavefront6targetE0EEEvS14_.num_agpr, 0
	.set _ZN7rocprim17ROCPRIM_400000_NS6detail17trampoline_kernelINS0_14default_configENS1_22reduce_config_selectorIN6thrust23THRUST_200600_302600_NS5tupleIblNS6_9null_typeES8_S8_S8_S8_S8_S8_S8_EEEEZNS1_11reduce_implILb1ES3_NS6_12zip_iteratorINS7_INS6_11hip_rocprim26transform_input_iterator_tIbNSD_35transform_pair_of_input_iterators_tIbNS6_6detail15normal_iteratorINS6_10device_ptrIKtEEEESL_NS6_8equal_toItEEEENSG_9not_fun_tINSD_8identityEEEEENSD_19counting_iterator_tIlEES8_S8_S8_S8_S8_S8_S8_S8_EEEEPS9_S9_NSD_9__find_if7functorIS9_EEEE10hipError_tPvRmT1_T2_T3_mT4_P12ihipStream_tbEUlT_E0_NS1_11comp_targetILNS1_3genE4ELNS1_11target_archE910ELNS1_3gpuE8ELNS1_3repE0EEENS1_30default_config_static_selectorELNS0_4arch9wavefront6targetE0EEEvS14_.numbered_sgpr, 0
	.set _ZN7rocprim17ROCPRIM_400000_NS6detail17trampoline_kernelINS0_14default_configENS1_22reduce_config_selectorIN6thrust23THRUST_200600_302600_NS5tupleIblNS6_9null_typeES8_S8_S8_S8_S8_S8_S8_EEEEZNS1_11reduce_implILb1ES3_NS6_12zip_iteratorINS7_INS6_11hip_rocprim26transform_input_iterator_tIbNSD_35transform_pair_of_input_iterators_tIbNS6_6detail15normal_iteratorINS6_10device_ptrIKtEEEESL_NS6_8equal_toItEEEENSG_9not_fun_tINSD_8identityEEEEENSD_19counting_iterator_tIlEES8_S8_S8_S8_S8_S8_S8_S8_EEEEPS9_S9_NSD_9__find_if7functorIS9_EEEE10hipError_tPvRmT1_T2_T3_mT4_P12ihipStream_tbEUlT_E0_NS1_11comp_targetILNS1_3genE4ELNS1_11target_archE910ELNS1_3gpuE8ELNS1_3repE0EEENS1_30default_config_static_selectorELNS0_4arch9wavefront6targetE0EEEvS14_.num_named_barrier, 0
	.set _ZN7rocprim17ROCPRIM_400000_NS6detail17trampoline_kernelINS0_14default_configENS1_22reduce_config_selectorIN6thrust23THRUST_200600_302600_NS5tupleIblNS6_9null_typeES8_S8_S8_S8_S8_S8_S8_EEEEZNS1_11reduce_implILb1ES3_NS6_12zip_iteratorINS7_INS6_11hip_rocprim26transform_input_iterator_tIbNSD_35transform_pair_of_input_iterators_tIbNS6_6detail15normal_iteratorINS6_10device_ptrIKtEEEESL_NS6_8equal_toItEEEENSG_9not_fun_tINSD_8identityEEEEENSD_19counting_iterator_tIlEES8_S8_S8_S8_S8_S8_S8_S8_EEEEPS9_S9_NSD_9__find_if7functorIS9_EEEE10hipError_tPvRmT1_T2_T3_mT4_P12ihipStream_tbEUlT_E0_NS1_11comp_targetILNS1_3genE4ELNS1_11target_archE910ELNS1_3gpuE8ELNS1_3repE0EEENS1_30default_config_static_selectorELNS0_4arch9wavefront6targetE0EEEvS14_.private_seg_size, 0
	.set _ZN7rocprim17ROCPRIM_400000_NS6detail17trampoline_kernelINS0_14default_configENS1_22reduce_config_selectorIN6thrust23THRUST_200600_302600_NS5tupleIblNS6_9null_typeES8_S8_S8_S8_S8_S8_S8_EEEEZNS1_11reduce_implILb1ES3_NS6_12zip_iteratorINS7_INS6_11hip_rocprim26transform_input_iterator_tIbNSD_35transform_pair_of_input_iterators_tIbNS6_6detail15normal_iteratorINS6_10device_ptrIKtEEEESL_NS6_8equal_toItEEEENSG_9not_fun_tINSD_8identityEEEEENSD_19counting_iterator_tIlEES8_S8_S8_S8_S8_S8_S8_S8_EEEEPS9_S9_NSD_9__find_if7functorIS9_EEEE10hipError_tPvRmT1_T2_T3_mT4_P12ihipStream_tbEUlT_E0_NS1_11comp_targetILNS1_3genE4ELNS1_11target_archE910ELNS1_3gpuE8ELNS1_3repE0EEENS1_30default_config_static_selectorELNS0_4arch9wavefront6targetE0EEEvS14_.uses_vcc, 0
	.set _ZN7rocprim17ROCPRIM_400000_NS6detail17trampoline_kernelINS0_14default_configENS1_22reduce_config_selectorIN6thrust23THRUST_200600_302600_NS5tupleIblNS6_9null_typeES8_S8_S8_S8_S8_S8_S8_EEEEZNS1_11reduce_implILb1ES3_NS6_12zip_iteratorINS7_INS6_11hip_rocprim26transform_input_iterator_tIbNSD_35transform_pair_of_input_iterators_tIbNS6_6detail15normal_iteratorINS6_10device_ptrIKtEEEESL_NS6_8equal_toItEEEENSG_9not_fun_tINSD_8identityEEEEENSD_19counting_iterator_tIlEES8_S8_S8_S8_S8_S8_S8_S8_EEEEPS9_S9_NSD_9__find_if7functorIS9_EEEE10hipError_tPvRmT1_T2_T3_mT4_P12ihipStream_tbEUlT_E0_NS1_11comp_targetILNS1_3genE4ELNS1_11target_archE910ELNS1_3gpuE8ELNS1_3repE0EEENS1_30default_config_static_selectorELNS0_4arch9wavefront6targetE0EEEvS14_.uses_flat_scratch, 0
	.set _ZN7rocprim17ROCPRIM_400000_NS6detail17trampoline_kernelINS0_14default_configENS1_22reduce_config_selectorIN6thrust23THRUST_200600_302600_NS5tupleIblNS6_9null_typeES8_S8_S8_S8_S8_S8_S8_EEEEZNS1_11reduce_implILb1ES3_NS6_12zip_iteratorINS7_INS6_11hip_rocprim26transform_input_iterator_tIbNSD_35transform_pair_of_input_iterators_tIbNS6_6detail15normal_iteratorINS6_10device_ptrIKtEEEESL_NS6_8equal_toItEEEENSG_9not_fun_tINSD_8identityEEEEENSD_19counting_iterator_tIlEES8_S8_S8_S8_S8_S8_S8_S8_EEEEPS9_S9_NSD_9__find_if7functorIS9_EEEE10hipError_tPvRmT1_T2_T3_mT4_P12ihipStream_tbEUlT_E0_NS1_11comp_targetILNS1_3genE4ELNS1_11target_archE910ELNS1_3gpuE8ELNS1_3repE0EEENS1_30default_config_static_selectorELNS0_4arch9wavefront6targetE0EEEvS14_.has_dyn_sized_stack, 0
	.set _ZN7rocprim17ROCPRIM_400000_NS6detail17trampoline_kernelINS0_14default_configENS1_22reduce_config_selectorIN6thrust23THRUST_200600_302600_NS5tupleIblNS6_9null_typeES8_S8_S8_S8_S8_S8_S8_EEEEZNS1_11reduce_implILb1ES3_NS6_12zip_iteratorINS7_INS6_11hip_rocprim26transform_input_iterator_tIbNSD_35transform_pair_of_input_iterators_tIbNS6_6detail15normal_iteratorINS6_10device_ptrIKtEEEESL_NS6_8equal_toItEEEENSG_9not_fun_tINSD_8identityEEEEENSD_19counting_iterator_tIlEES8_S8_S8_S8_S8_S8_S8_S8_EEEEPS9_S9_NSD_9__find_if7functorIS9_EEEE10hipError_tPvRmT1_T2_T3_mT4_P12ihipStream_tbEUlT_E0_NS1_11comp_targetILNS1_3genE4ELNS1_11target_archE910ELNS1_3gpuE8ELNS1_3repE0EEENS1_30default_config_static_selectorELNS0_4arch9wavefront6targetE0EEEvS14_.has_recursion, 0
	.set _ZN7rocprim17ROCPRIM_400000_NS6detail17trampoline_kernelINS0_14default_configENS1_22reduce_config_selectorIN6thrust23THRUST_200600_302600_NS5tupleIblNS6_9null_typeES8_S8_S8_S8_S8_S8_S8_EEEEZNS1_11reduce_implILb1ES3_NS6_12zip_iteratorINS7_INS6_11hip_rocprim26transform_input_iterator_tIbNSD_35transform_pair_of_input_iterators_tIbNS6_6detail15normal_iteratorINS6_10device_ptrIKtEEEESL_NS6_8equal_toItEEEENSG_9not_fun_tINSD_8identityEEEEENSD_19counting_iterator_tIlEES8_S8_S8_S8_S8_S8_S8_S8_EEEEPS9_S9_NSD_9__find_if7functorIS9_EEEE10hipError_tPvRmT1_T2_T3_mT4_P12ihipStream_tbEUlT_E0_NS1_11comp_targetILNS1_3genE4ELNS1_11target_archE910ELNS1_3gpuE8ELNS1_3repE0EEENS1_30default_config_static_selectorELNS0_4arch9wavefront6targetE0EEEvS14_.has_indirect_call, 0
	.section	.AMDGPU.csdata,"",@progbits
; Kernel info:
; codeLenInByte = 0
; TotalNumSgprs: 0
; NumVgprs: 0
; ScratchSize: 0
; MemoryBound: 0
; FloatMode: 240
; IeeeMode: 1
; LDSByteSize: 0 bytes/workgroup (compile time only)
; SGPRBlocks: 0
; VGPRBlocks: 0
; NumSGPRsForWavesPerEU: 1
; NumVGPRsForWavesPerEU: 1
; Occupancy: 16
; WaveLimiterHint : 0
; COMPUTE_PGM_RSRC2:SCRATCH_EN: 0
; COMPUTE_PGM_RSRC2:USER_SGPR: 6
; COMPUTE_PGM_RSRC2:TRAP_HANDLER: 0
; COMPUTE_PGM_RSRC2:TGID_X_EN: 1
; COMPUTE_PGM_RSRC2:TGID_Y_EN: 0
; COMPUTE_PGM_RSRC2:TGID_Z_EN: 0
; COMPUTE_PGM_RSRC2:TIDIG_COMP_CNT: 0
	.section	.text._ZN7rocprim17ROCPRIM_400000_NS6detail17trampoline_kernelINS0_14default_configENS1_22reduce_config_selectorIN6thrust23THRUST_200600_302600_NS5tupleIblNS6_9null_typeES8_S8_S8_S8_S8_S8_S8_EEEEZNS1_11reduce_implILb1ES3_NS6_12zip_iteratorINS7_INS6_11hip_rocprim26transform_input_iterator_tIbNSD_35transform_pair_of_input_iterators_tIbNS6_6detail15normal_iteratorINS6_10device_ptrIKtEEEESL_NS6_8equal_toItEEEENSG_9not_fun_tINSD_8identityEEEEENSD_19counting_iterator_tIlEES8_S8_S8_S8_S8_S8_S8_S8_EEEEPS9_S9_NSD_9__find_if7functorIS9_EEEE10hipError_tPvRmT1_T2_T3_mT4_P12ihipStream_tbEUlT_E0_NS1_11comp_targetILNS1_3genE3ELNS1_11target_archE908ELNS1_3gpuE7ELNS1_3repE0EEENS1_30default_config_static_selectorELNS0_4arch9wavefront6targetE0EEEvS14_,"axG",@progbits,_ZN7rocprim17ROCPRIM_400000_NS6detail17trampoline_kernelINS0_14default_configENS1_22reduce_config_selectorIN6thrust23THRUST_200600_302600_NS5tupleIblNS6_9null_typeES8_S8_S8_S8_S8_S8_S8_EEEEZNS1_11reduce_implILb1ES3_NS6_12zip_iteratorINS7_INS6_11hip_rocprim26transform_input_iterator_tIbNSD_35transform_pair_of_input_iterators_tIbNS6_6detail15normal_iteratorINS6_10device_ptrIKtEEEESL_NS6_8equal_toItEEEENSG_9not_fun_tINSD_8identityEEEEENSD_19counting_iterator_tIlEES8_S8_S8_S8_S8_S8_S8_S8_EEEEPS9_S9_NSD_9__find_if7functorIS9_EEEE10hipError_tPvRmT1_T2_T3_mT4_P12ihipStream_tbEUlT_E0_NS1_11comp_targetILNS1_3genE3ELNS1_11target_archE908ELNS1_3gpuE7ELNS1_3repE0EEENS1_30default_config_static_selectorELNS0_4arch9wavefront6targetE0EEEvS14_,comdat
	.protected	_ZN7rocprim17ROCPRIM_400000_NS6detail17trampoline_kernelINS0_14default_configENS1_22reduce_config_selectorIN6thrust23THRUST_200600_302600_NS5tupleIblNS6_9null_typeES8_S8_S8_S8_S8_S8_S8_EEEEZNS1_11reduce_implILb1ES3_NS6_12zip_iteratorINS7_INS6_11hip_rocprim26transform_input_iterator_tIbNSD_35transform_pair_of_input_iterators_tIbNS6_6detail15normal_iteratorINS6_10device_ptrIKtEEEESL_NS6_8equal_toItEEEENSG_9not_fun_tINSD_8identityEEEEENSD_19counting_iterator_tIlEES8_S8_S8_S8_S8_S8_S8_S8_EEEEPS9_S9_NSD_9__find_if7functorIS9_EEEE10hipError_tPvRmT1_T2_T3_mT4_P12ihipStream_tbEUlT_E0_NS1_11comp_targetILNS1_3genE3ELNS1_11target_archE908ELNS1_3gpuE7ELNS1_3repE0EEENS1_30default_config_static_selectorELNS0_4arch9wavefront6targetE0EEEvS14_ ; -- Begin function _ZN7rocprim17ROCPRIM_400000_NS6detail17trampoline_kernelINS0_14default_configENS1_22reduce_config_selectorIN6thrust23THRUST_200600_302600_NS5tupleIblNS6_9null_typeES8_S8_S8_S8_S8_S8_S8_EEEEZNS1_11reduce_implILb1ES3_NS6_12zip_iteratorINS7_INS6_11hip_rocprim26transform_input_iterator_tIbNSD_35transform_pair_of_input_iterators_tIbNS6_6detail15normal_iteratorINS6_10device_ptrIKtEEEESL_NS6_8equal_toItEEEENSG_9not_fun_tINSD_8identityEEEEENSD_19counting_iterator_tIlEES8_S8_S8_S8_S8_S8_S8_S8_EEEEPS9_S9_NSD_9__find_if7functorIS9_EEEE10hipError_tPvRmT1_T2_T3_mT4_P12ihipStream_tbEUlT_E0_NS1_11comp_targetILNS1_3genE3ELNS1_11target_archE908ELNS1_3gpuE7ELNS1_3repE0EEENS1_30default_config_static_selectorELNS0_4arch9wavefront6targetE0EEEvS14_
	.globl	_ZN7rocprim17ROCPRIM_400000_NS6detail17trampoline_kernelINS0_14default_configENS1_22reduce_config_selectorIN6thrust23THRUST_200600_302600_NS5tupleIblNS6_9null_typeES8_S8_S8_S8_S8_S8_S8_EEEEZNS1_11reduce_implILb1ES3_NS6_12zip_iteratorINS7_INS6_11hip_rocprim26transform_input_iterator_tIbNSD_35transform_pair_of_input_iterators_tIbNS6_6detail15normal_iteratorINS6_10device_ptrIKtEEEESL_NS6_8equal_toItEEEENSG_9not_fun_tINSD_8identityEEEEENSD_19counting_iterator_tIlEES8_S8_S8_S8_S8_S8_S8_S8_EEEEPS9_S9_NSD_9__find_if7functorIS9_EEEE10hipError_tPvRmT1_T2_T3_mT4_P12ihipStream_tbEUlT_E0_NS1_11comp_targetILNS1_3genE3ELNS1_11target_archE908ELNS1_3gpuE7ELNS1_3repE0EEENS1_30default_config_static_selectorELNS0_4arch9wavefront6targetE0EEEvS14_
	.p2align	8
	.type	_ZN7rocprim17ROCPRIM_400000_NS6detail17trampoline_kernelINS0_14default_configENS1_22reduce_config_selectorIN6thrust23THRUST_200600_302600_NS5tupleIblNS6_9null_typeES8_S8_S8_S8_S8_S8_S8_EEEEZNS1_11reduce_implILb1ES3_NS6_12zip_iteratorINS7_INS6_11hip_rocprim26transform_input_iterator_tIbNSD_35transform_pair_of_input_iterators_tIbNS6_6detail15normal_iteratorINS6_10device_ptrIKtEEEESL_NS6_8equal_toItEEEENSG_9not_fun_tINSD_8identityEEEEENSD_19counting_iterator_tIlEES8_S8_S8_S8_S8_S8_S8_S8_EEEEPS9_S9_NSD_9__find_if7functorIS9_EEEE10hipError_tPvRmT1_T2_T3_mT4_P12ihipStream_tbEUlT_E0_NS1_11comp_targetILNS1_3genE3ELNS1_11target_archE908ELNS1_3gpuE7ELNS1_3repE0EEENS1_30default_config_static_selectorELNS0_4arch9wavefront6targetE0EEEvS14_,@function
_ZN7rocprim17ROCPRIM_400000_NS6detail17trampoline_kernelINS0_14default_configENS1_22reduce_config_selectorIN6thrust23THRUST_200600_302600_NS5tupleIblNS6_9null_typeES8_S8_S8_S8_S8_S8_S8_EEEEZNS1_11reduce_implILb1ES3_NS6_12zip_iteratorINS7_INS6_11hip_rocprim26transform_input_iterator_tIbNSD_35transform_pair_of_input_iterators_tIbNS6_6detail15normal_iteratorINS6_10device_ptrIKtEEEESL_NS6_8equal_toItEEEENSG_9not_fun_tINSD_8identityEEEEENSD_19counting_iterator_tIlEES8_S8_S8_S8_S8_S8_S8_S8_EEEEPS9_S9_NSD_9__find_if7functorIS9_EEEE10hipError_tPvRmT1_T2_T3_mT4_P12ihipStream_tbEUlT_E0_NS1_11comp_targetILNS1_3genE3ELNS1_11target_archE908ELNS1_3gpuE7ELNS1_3repE0EEENS1_30default_config_static_selectorELNS0_4arch9wavefront6targetE0EEEvS14_: ; @_ZN7rocprim17ROCPRIM_400000_NS6detail17trampoline_kernelINS0_14default_configENS1_22reduce_config_selectorIN6thrust23THRUST_200600_302600_NS5tupleIblNS6_9null_typeES8_S8_S8_S8_S8_S8_S8_EEEEZNS1_11reduce_implILb1ES3_NS6_12zip_iteratorINS7_INS6_11hip_rocprim26transform_input_iterator_tIbNSD_35transform_pair_of_input_iterators_tIbNS6_6detail15normal_iteratorINS6_10device_ptrIKtEEEESL_NS6_8equal_toItEEEENSG_9not_fun_tINSD_8identityEEEEENSD_19counting_iterator_tIlEES8_S8_S8_S8_S8_S8_S8_S8_EEEEPS9_S9_NSD_9__find_if7functorIS9_EEEE10hipError_tPvRmT1_T2_T3_mT4_P12ihipStream_tbEUlT_E0_NS1_11comp_targetILNS1_3genE3ELNS1_11target_archE908ELNS1_3gpuE7ELNS1_3repE0EEENS1_30default_config_static_selectorELNS0_4arch9wavefront6targetE0EEEvS14_
; %bb.0:
	.section	.rodata,"a",@progbits
	.p2align	6, 0x0
	.amdhsa_kernel _ZN7rocprim17ROCPRIM_400000_NS6detail17trampoline_kernelINS0_14default_configENS1_22reduce_config_selectorIN6thrust23THRUST_200600_302600_NS5tupleIblNS6_9null_typeES8_S8_S8_S8_S8_S8_S8_EEEEZNS1_11reduce_implILb1ES3_NS6_12zip_iteratorINS7_INS6_11hip_rocprim26transform_input_iterator_tIbNSD_35transform_pair_of_input_iterators_tIbNS6_6detail15normal_iteratorINS6_10device_ptrIKtEEEESL_NS6_8equal_toItEEEENSG_9not_fun_tINSD_8identityEEEEENSD_19counting_iterator_tIlEES8_S8_S8_S8_S8_S8_S8_S8_EEEEPS9_S9_NSD_9__find_if7functorIS9_EEEE10hipError_tPvRmT1_T2_T3_mT4_P12ihipStream_tbEUlT_E0_NS1_11comp_targetILNS1_3genE3ELNS1_11target_archE908ELNS1_3gpuE7ELNS1_3repE0EEENS1_30default_config_static_selectorELNS0_4arch9wavefront6targetE0EEEvS14_
		.amdhsa_group_segment_fixed_size 0
		.amdhsa_private_segment_fixed_size 0
		.amdhsa_kernarg_size 104
		.amdhsa_user_sgpr_count 6
		.amdhsa_user_sgpr_private_segment_buffer 1
		.amdhsa_user_sgpr_dispatch_ptr 0
		.amdhsa_user_sgpr_queue_ptr 0
		.amdhsa_user_sgpr_kernarg_segment_ptr 1
		.amdhsa_user_sgpr_dispatch_id 0
		.amdhsa_user_sgpr_flat_scratch_init 0
		.amdhsa_user_sgpr_private_segment_size 0
		.amdhsa_wavefront_size32 1
		.amdhsa_uses_dynamic_stack 0
		.amdhsa_system_sgpr_private_segment_wavefront_offset 0
		.amdhsa_system_sgpr_workgroup_id_x 1
		.amdhsa_system_sgpr_workgroup_id_y 0
		.amdhsa_system_sgpr_workgroup_id_z 0
		.amdhsa_system_sgpr_workgroup_info 0
		.amdhsa_system_vgpr_workitem_id 0
		.amdhsa_next_free_vgpr 1
		.amdhsa_next_free_sgpr 1
		.amdhsa_reserve_vcc 0
		.amdhsa_reserve_flat_scratch 0
		.amdhsa_float_round_mode_32 0
		.amdhsa_float_round_mode_16_64 0
		.amdhsa_float_denorm_mode_32 3
		.amdhsa_float_denorm_mode_16_64 3
		.amdhsa_dx10_clamp 1
		.amdhsa_ieee_mode 1
		.amdhsa_fp16_overflow 0
		.amdhsa_workgroup_processor_mode 1
		.amdhsa_memory_ordered 1
		.amdhsa_forward_progress 1
		.amdhsa_shared_vgpr_count 0
		.amdhsa_exception_fp_ieee_invalid_op 0
		.amdhsa_exception_fp_denorm_src 0
		.amdhsa_exception_fp_ieee_div_zero 0
		.amdhsa_exception_fp_ieee_overflow 0
		.amdhsa_exception_fp_ieee_underflow 0
		.amdhsa_exception_fp_ieee_inexact 0
		.amdhsa_exception_int_div_zero 0
	.end_amdhsa_kernel
	.section	.text._ZN7rocprim17ROCPRIM_400000_NS6detail17trampoline_kernelINS0_14default_configENS1_22reduce_config_selectorIN6thrust23THRUST_200600_302600_NS5tupleIblNS6_9null_typeES8_S8_S8_S8_S8_S8_S8_EEEEZNS1_11reduce_implILb1ES3_NS6_12zip_iteratorINS7_INS6_11hip_rocprim26transform_input_iterator_tIbNSD_35transform_pair_of_input_iterators_tIbNS6_6detail15normal_iteratorINS6_10device_ptrIKtEEEESL_NS6_8equal_toItEEEENSG_9not_fun_tINSD_8identityEEEEENSD_19counting_iterator_tIlEES8_S8_S8_S8_S8_S8_S8_S8_EEEEPS9_S9_NSD_9__find_if7functorIS9_EEEE10hipError_tPvRmT1_T2_T3_mT4_P12ihipStream_tbEUlT_E0_NS1_11comp_targetILNS1_3genE3ELNS1_11target_archE908ELNS1_3gpuE7ELNS1_3repE0EEENS1_30default_config_static_selectorELNS0_4arch9wavefront6targetE0EEEvS14_,"axG",@progbits,_ZN7rocprim17ROCPRIM_400000_NS6detail17trampoline_kernelINS0_14default_configENS1_22reduce_config_selectorIN6thrust23THRUST_200600_302600_NS5tupleIblNS6_9null_typeES8_S8_S8_S8_S8_S8_S8_EEEEZNS1_11reduce_implILb1ES3_NS6_12zip_iteratorINS7_INS6_11hip_rocprim26transform_input_iterator_tIbNSD_35transform_pair_of_input_iterators_tIbNS6_6detail15normal_iteratorINS6_10device_ptrIKtEEEESL_NS6_8equal_toItEEEENSG_9not_fun_tINSD_8identityEEEEENSD_19counting_iterator_tIlEES8_S8_S8_S8_S8_S8_S8_S8_EEEEPS9_S9_NSD_9__find_if7functorIS9_EEEE10hipError_tPvRmT1_T2_T3_mT4_P12ihipStream_tbEUlT_E0_NS1_11comp_targetILNS1_3genE3ELNS1_11target_archE908ELNS1_3gpuE7ELNS1_3repE0EEENS1_30default_config_static_selectorELNS0_4arch9wavefront6targetE0EEEvS14_,comdat
.Lfunc_end191:
	.size	_ZN7rocprim17ROCPRIM_400000_NS6detail17trampoline_kernelINS0_14default_configENS1_22reduce_config_selectorIN6thrust23THRUST_200600_302600_NS5tupleIblNS6_9null_typeES8_S8_S8_S8_S8_S8_S8_EEEEZNS1_11reduce_implILb1ES3_NS6_12zip_iteratorINS7_INS6_11hip_rocprim26transform_input_iterator_tIbNSD_35transform_pair_of_input_iterators_tIbNS6_6detail15normal_iteratorINS6_10device_ptrIKtEEEESL_NS6_8equal_toItEEEENSG_9not_fun_tINSD_8identityEEEEENSD_19counting_iterator_tIlEES8_S8_S8_S8_S8_S8_S8_S8_EEEEPS9_S9_NSD_9__find_if7functorIS9_EEEE10hipError_tPvRmT1_T2_T3_mT4_P12ihipStream_tbEUlT_E0_NS1_11comp_targetILNS1_3genE3ELNS1_11target_archE908ELNS1_3gpuE7ELNS1_3repE0EEENS1_30default_config_static_selectorELNS0_4arch9wavefront6targetE0EEEvS14_, .Lfunc_end191-_ZN7rocprim17ROCPRIM_400000_NS6detail17trampoline_kernelINS0_14default_configENS1_22reduce_config_selectorIN6thrust23THRUST_200600_302600_NS5tupleIblNS6_9null_typeES8_S8_S8_S8_S8_S8_S8_EEEEZNS1_11reduce_implILb1ES3_NS6_12zip_iteratorINS7_INS6_11hip_rocprim26transform_input_iterator_tIbNSD_35transform_pair_of_input_iterators_tIbNS6_6detail15normal_iteratorINS6_10device_ptrIKtEEEESL_NS6_8equal_toItEEEENSG_9not_fun_tINSD_8identityEEEEENSD_19counting_iterator_tIlEES8_S8_S8_S8_S8_S8_S8_S8_EEEEPS9_S9_NSD_9__find_if7functorIS9_EEEE10hipError_tPvRmT1_T2_T3_mT4_P12ihipStream_tbEUlT_E0_NS1_11comp_targetILNS1_3genE3ELNS1_11target_archE908ELNS1_3gpuE7ELNS1_3repE0EEENS1_30default_config_static_selectorELNS0_4arch9wavefront6targetE0EEEvS14_
                                        ; -- End function
	.set _ZN7rocprim17ROCPRIM_400000_NS6detail17trampoline_kernelINS0_14default_configENS1_22reduce_config_selectorIN6thrust23THRUST_200600_302600_NS5tupleIblNS6_9null_typeES8_S8_S8_S8_S8_S8_S8_EEEEZNS1_11reduce_implILb1ES3_NS6_12zip_iteratorINS7_INS6_11hip_rocprim26transform_input_iterator_tIbNSD_35transform_pair_of_input_iterators_tIbNS6_6detail15normal_iteratorINS6_10device_ptrIKtEEEESL_NS6_8equal_toItEEEENSG_9not_fun_tINSD_8identityEEEEENSD_19counting_iterator_tIlEES8_S8_S8_S8_S8_S8_S8_S8_EEEEPS9_S9_NSD_9__find_if7functorIS9_EEEE10hipError_tPvRmT1_T2_T3_mT4_P12ihipStream_tbEUlT_E0_NS1_11comp_targetILNS1_3genE3ELNS1_11target_archE908ELNS1_3gpuE7ELNS1_3repE0EEENS1_30default_config_static_selectorELNS0_4arch9wavefront6targetE0EEEvS14_.num_vgpr, 0
	.set _ZN7rocprim17ROCPRIM_400000_NS6detail17trampoline_kernelINS0_14default_configENS1_22reduce_config_selectorIN6thrust23THRUST_200600_302600_NS5tupleIblNS6_9null_typeES8_S8_S8_S8_S8_S8_S8_EEEEZNS1_11reduce_implILb1ES3_NS6_12zip_iteratorINS7_INS6_11hip_rocprim26transform_input_iterator_tIbNSD_35transform_pair_of_input_iterators_tIbNS6_6detail15normal_iteratorINS6_10device_ptrIKtEEEESL_NS6_8equal_toItEEEENSG_9not_fun_tINSD_8identityEEEEENSD_19counting_iterator_tIlEES8_S8_S8_S8_S8_S8_S8_S8_EEEEPS9_S9_NSD_9__find_if7functorIS9_EEEE10hipError_tPvRmT1_T2_T3_mT4_P12ihipStream_tbEUlT_E0_NS1_11comp_targetILNS1_3genE3ELNS1_11target_archE908ELNS1_3gpuE7ELNS1_3repE0EEENS1_30default_config_static_selectorELNS0_4arch9wavefront6targetE0EEEvS14_.num_agpr, 0
	.set _ZN7rocprim17ROCPRIM_400000_NS6detail17trampoline_kernelINS0_14default_configENS1_22reduce_config_selectorIN6thrust23THRUST_200600_302600_NS5tupleIblNS6_9null_typeES8_S8_S8_S8_S8_S8_S8_EEEEZNS1_11reduce_implILb1ES3_NS6_12zip_iteratorINS7_INS6_11hip_rocprim26transform_input_iterator_tIbNSD_35transform_pair_of_input_iterators_tIbNS6_6detail15normal_iteratorINS6_10device_ptrIKtEEEESL_NS6_8equal_toItEEEENSG_9not_fun_tINSD_8identityEEEEENSD_19counting_iterator_tIlEES8_S8_S8_S8_S8_S8_S8_S8_EEEEPS9_S9_NSD_9__find_if7functorIS9_EEEE10hipError_tPvRmT1_T2_T3_mT4_P12ihipStream_tbEUlT_E0_NS1_11comp_targetILNS1_3genE3ELNS1_11target_archE908ELNS1_3gpuE7ELNS1_3repE0EEENS1_30default_config_static_selectorELNS0_4arch9wavefront6targetE0EEEvS14_.numbered_sgpr, 0
	.set _ZN7rocprim17ROCPRIM_400000_NS6detail17trampoline_kernelINS0_14default_configENS1_22reduce_config_selectorIN6thrust23THRUST_200600_302600_NS5tupleIblNS6_9null_typeES8_S8_S8_S8_S8_S8_S8_EEEEZNS1_11reduce_implILb1ES3_NS6_12zip_iteratorINS7_INS6_11hip_rocprim26transform_input_iterator_tIbNSD_35transform_pair_of_input_iterators_tIbNS6_6detail15normal_iteratorINS6_10device_ptrIKtEEEESL_NS6_8equal_toItEEEENSG_9not_fun_tINSD_8identityEEEEENSD_19counting_iterator_tIlEES8_S8_S8_S8_S8_S8_S8_S8_EEEEPS9_S9_NSD_9__find_if7functorIS9_EEEE10hipError_tPvRmT1_T2_T3_mT4_P12ihipStream_tbEUlT_E0_NS1_11comp_targetILNS1_3genE3ELNS1_11target_archE908ELNS1_3gpuE7ELNS1_3repE0EEENS1_30default_config_static_selectorELNS0_4arch9wavefront6targetE0EEEvS14_.num_named_barrier, 0
	.set _ZN7rocprim17ROCPRIM_400000_NS6detail17trampoline_kernelINS0_14default_configENS1_22reduce_config_selectorIN6thrust23THRUST_200600_302600_NS5tupleIblNS6_9null_typeES8_S8_S8_S8_S8_S8_S8_EEEEZNS1_11reduce_implILb1ES3_NS6_12zip_iteratorINS7_INS6_11hip_rocprim26transform_input_iterator_tIbNSD_35transform_pair_of_input_iterators_tIbNS6_6detail15normal_iteratorINS6_10device_ptrIKtEEEESL_NS6_8equal_toItEEEENSG_9not_fun_tINSD_8identityEEEEENSD_19counting_iterator_tIlEES8_S8_S8_S8_S8_S8_S8_S8_EEEEPS9_S9_NSD_9__find_if7functorIS9_EEEE10hipError_tPvRmT1_T2_T3_mT4_P12ihipStream_tbEUlT_E0_NS1_11comp_targetILNS1_3genE3ELNS1_11target_archE908ELNS1_3gpuE7ELNS1_3repE0EEENS1_30default_config_static_selectorELNS0_4arch9wavefront6targetE0EEEvS14_.private_seg_size, 0
	.set _ZN7rocprim17ROCPRIM_400000_NS6detail17trampoline_kernelINS0_14default_configENS1_22reduce_config_selectorIN6thrust23THRUST_200600_302600_NS5tupleIblNS6_9null_typeES8_S8_S8_S8_S8_S8_S8_EEEEZNS1_11reduce_implILb1ES3_NS6_12zip_iteratorINS7_INS6_11hip_rocprim26transform_input_iterator_tIbNSD_35transform_pair_of_input_iterators_tIbNS6_6detail15normal_iteratorINS6_10device_ptrIKtEEEESL_NS6_8equal_toItEEEENSG_9not_fun_tINSD_8identityEEEEENSD_19counting_iterator_tIlEES8_S8_S8_S8_S8_S8_S8_S8_EEEEPS9_S9_NSD_9__find_if7functorIS9_EEEE10hipError_tPvRmT1_T2_T3_mT4_P12ihipStream_tbEUlT_E0_NS1_11comp_targetILNS1_3genE3ELNS1_11target_archE908ELNS1_3gpuE7ELNS1_3repE0EEENS1_30default_config_static_selectorELNS0_4arch9wavefront6targetE0EEEvS14_.uses_vcc, 0
	.set _ZN7rocprim17ROCPRIM_400000_NS6detail17trampoline_kernelINS0_14default_configENS1_22reduce_config_selectorIN6thrust23THRUST_200600_302600_NS5tupleIblNS6_9null_typeES8_S8_S8_S8_S8_S8_S8_EEEEZNS1_11reduce_implILb1ES3_NS6_12zip_iteratorINS7_INS6_11hip_rocprim26transform_input_iterator_tIbNSD_35transform_pair_of_input_iterators_tIbNS6_6detail15normal_iteratorINS6_10device_ptrIKtEEEESL_NS6_8equal_toItEEEENSG_9not_fun_tINSD_8identityEEEEENSD_19counting_iterator_tIlEES8_S8_S8_S8_S8_S8_S8_S8_EEEEPS9_S9_NSD_9__find_if7functorIS9_EEEE10hipError_tPvRmT1_T2_T3_mT4_P12ihipStream_tbEUlT_E0_NS1_11comp_targetILNS1_3genE3ELNS1_11target_archE908ELNS1_3gpuE7ELNS1_3repE0EEENS1_30default_config_static_selectorELNS0_4arch9wavefront6targetE0EEEvS14_.uses_flat_scratch, 0
	.set _ZN7rocprim17ROCPRIM_400000_NS6detail17trampoline_kernelINS0_14default_configENS1_22reduce_config_selectorIN6thrust23THRUST_200600_302600_NS5tupleIblNS6_9null_typeES8_S8_S8_S8_S8_S8_S8_EEEEZNS1_11reduce_implILb1ES3_NS6_12zip_iteratorINS7_INS6_11hip_rocprim26transform_input_iterator_tIbNSD_35transform_pair_of_input_iterators_tIbNS6_6detail15normal_iteratorINS6_10device_ptrIKtEEEESL_NS6_8equal_toItEEEENSG_9not_fun_tINSD_8identityEEEEENSD_19counting_iterator_tIlEES8_S8_S8_S8_S8_S8_S8_S8_EEEEPS9_S9_NSD_9__find_if7functorIS9_EEEE10hipError_tPvRmT1_T2_T3_mT4_P12ihipStream_tbEUlT_E0_NS1_11comp_targetILNS1_3genE3ELNS1_11target_archE908ELNS1_3gpuE7ELNS1_3repE0EEENS1_30default_config_static_selectorELNS0_4arch9wavefront6targetE0EEEvS14_.has_dyn_sized_stack, 0
	.set _ZN7rocprim17ROCPRIM_400000_NS6detail17trampoline_kernelINS0_14default_configENS1_22reduce_config_selectorIN6thrust23THRUST_200600_302600_NS5tupleIblNS6_9null_typeES8_S8_S8_S8_S8_S8_S8_EEEEZNS1_11reduce_implILb1ES3_NS6_12zip_iteratorINS7_INS6_11hip_rocprim26transform_input_iterator_tIbNSD_35transform_pair_of_input_iterators_tIbNS6_6detail15normal_iteratorINS6_10device_ptrIKtEEEESL_NS6_8equal_toItEEEENSG_9not_fun_tINSD_8identityEEEEENSD_19counting_iterator_tIlEES8_S8_S8_S8_S8_S8_S8_S8_EEEEPS9_S9_NSD_9__find_if7functorIS9_EEEE10hipError_tPvRmT1_T2_T3_mT4_P12ihipStream_tbEUlT_E0_NS1_11comp_targetILNS1_3genE3ELNS1_11target_archE908ELNS1_3gpuE7ELNS1_3repE0EEENS1_30default_config_static_selectorELNS0_4arch9wavefront6targetE0EEEvS14_.has_recursion, 0
	.set _ZN7rocprim17ROCPRIM_400000_NS6detail17trampoline_kernelINS0_14default_configENS1_22reduce_config_selectorIN6thrust23THRUST_200600_302600_NS5tupleIblNS6_9null_typeES8_S8_S8_S8_S8_S8_S8_EEEEZNS1_11reduce_implILb1ES3_NS6_12zip_iteratorINS7_INS6_11hip_rocprim26transform_input_iterator_tIbNSD_35transform_pair_of_input_iterators_tIbNS6_6detail15normal_iteratorINS6_10device_ptrIKtEEEESL_NS6_8equal_toItEEEENSG_9not_fun_tINSD_8identityEEEEENSD_19counting_iterator_tIlEES8_S8_S8_S8_S8_S8_S8_S8_EEEEPS9_S9_NSD_9__find_if7functorIS9_EEEE10hipError_tPvRmT1_T2_T3_mT4_P12ihipStream_tbEUlT_E0_NS1_11comp_targetILNS1_3genE3ELNS1_11target_archE908ELNS1_3gpuE7ELNS1_3repE0EEENS1_30default_config_static_selectorELNS0_4arch9wavefront6targetE0EEEvS14_.has_indirect_call, 0
	.section	.AMDGPU.csdata,"",@progbits
; Kernel info:
; codeLenInByte = 0
; TotalNumSgprs: 0
; NumVgprs: 0
; ScratchSize: 0
; MemoryBound: 0
; FloatMode: 240
; IeeeMode: 1
; LDSByteSize: 0 bytes/workgroup (compile time only)
; SGPRBlocks: 0
; VGPRBlocks: 0
; NumSGPRsForWavesPerEU: 1
; NumVGPRsForWavesPerEU: 1
; Occupancy: 16
; WaveLimiterHint : 0
; COMPUTE_PGM_RSRC2:SCRATCH_EN: 0
; COMPUTE_PGM_RSRC2:USER_SGPR: 6
; COMPUTE_PGM_RSRC2:TRAP_HANDLER: 0
; COMPUTE_PGM_RSRC2:TGID_X_EN: 1
; COMPUTE_PGM_RSRC2:TGID_Y_EN: 0
; COMPUTE_PGM_RSRC2:TGID_Z_EN: 0
; COMPUTE_PGM_RSRC2:TIDIG_COMP_CNT: 0
	.section	.text._ZN7rocprim17ROCPRIM_400000_NS6detail17trampoline_kernelINS0_14default_configENS1_22reduce_config_selectorIN6thrust23THRUST_200600_302600_NS5tupleIblNS6_9null_typeES8_S8_S8_S8_S8_S8_S8_EEEEZNS1_11reduce_implILb1ES3_NS6_12zip_iteratorINS7_INS6_11hip_rocprim26transform_input_iterator_tIbNSD_35transform_pair_of_input_iterators_tIbNS6_6detail15normal_iteratorINS6_10device_ptrIKtEEEESL_NS6_8equal_toItEEEENSG_9not_fun_tINSD_8identityEEEEENSD_19counting_iterator_tIlEES8_S8_S8_S8_S8_S8_S8_S8_EEEEPS9_S9_NSD_9__find_if7functorIS9_EEEE10hipError_tPvRmT1_T2_T3_mT4_P12ihipStream_tbEUlT_E0_NS1_11comp_targetILNS1_3genE2ELNS1_11target_archE906ELNS1_3gpuE6ELNS1_3repE0EEENS1_30default_config_static_selectorELNS0_4arch9wavefront6targetE0EEEvS14_,"axG",@progbits,_ZN7rocprim17ROCPRIM_400000_NS6detail17trampoline_kernelINS0_14default_configENS1_22reduce_config_selectorIN6thrust23THRUST_200600_302600_NS5tupleIblNS6_9null_typeES8_S8_S8_S8_S8_S8_S8_EEEEZNS1_11reduce_implILb1ES3_NS6_12zip_iteratorINS7_INS6_11hip_rocprim26transform_input_iterator_tIbNSD_35transform_pair_of_input_iterators_tIbNS6_6detail15normal_iteratorINS6_10device_ptrIKtEEEESL_NS6_8equal_toItEEEENSG_9not_fun_tINSD_8identityEEEEENSD_19counting_iterator_tIlEES8_S8_S8_S8_S8_S8_S8_S8_EEEEPS9_S9_NSD_9__find_if7functorIS9_EEEE10hipError_tPvRmT1_T2_T3_mT4_P12ihipStream_tbEUlT_E0_NS1_11comp_targetILNS1_3genE2ELNS1_11target_archE906ELNS1_3gpuE6ELNS1_3repE0EEENS1_30default_config_static_selectorELNS0_4arch9wavefront6targetE0EEEvS14_,comdat
	.protected	_ZN7rocprim17ROCPRIM_400000_NS6detail17trampoline_kernelINS0_14default_configENS1_22reduce_config_selectorIN6thrust23THRUST_200600_302600_NS5tupleIblNS6_9null_typeES8_S8_S8_S8_S8_S8_S8_EEEEZNS1_11reduce_implILb1ES3_NS6_12zip_iteratorINS7_INS6_11hip_rocprim26transform_input_iterator_tIbNSD_35transform_pair_of_input_iterators_tIbNS6_6detail15normal_iteratorINS6_10device_ptrIKtEEEESL_NS6_8equal_toItEEEENSG_9not_fun_tINSD_8identityEEEEENSD_19counting_iterator_tIlEES8_S8_S8_S8_S8_S8_S8_S8_EEEEPS9_S9_NSD_9__find_if7functorIS9_EEEE10hipError_tPvRmT1_T2_T3_mT4_P12ihipStream_tbEUlT_E0_NS1_11comp_targetILNS1_3genE2ELNS1_11target_archE906ELNS1_3gpuE6ELNS1_3repE0EEENS1_30default_config_static_selectorELNS0_4arch9wavefront6targetE0EEEvS14_ ; -- Begin function _ZN7rocprim17ROCPRIM_400000_NS6detail17trampoline_kernelINS0_14default_configENS1_22reduce_config_selectorIN6thrust23THRUST_200600_302600_NS5tupleIblNS6_9null_typeES8_S8_S8_S8_S8_S8_S8_EEEEZNS1_11reduce_implILb1ES3_NS6_12zip_iteratorINS7_INS6_11hip_rocprim26transform_input_iterator_tIbNSD_35transform_pair_of_input_iterators_tIbNS6_6detail15normal_iteratorINS6_10device_ptrIKtEEEESL_NS6_8equal_toItEEEENSG_9not_fun_tINSD_8identityEEEEENSD_19counting_iterator_tIlEES8_S8_S8_S8_S8_S8_S8_S8_EEEEPS9_S9_NSD_9__find_if7functorIS9_EEEE10hipError_tPvRmT1_T2_T3_mT4_P12ihipStream_tbEUlT_E0_NS1_11comp_targetILNS1_3genE2ELNS1_11target_archE906ELNS1_3gpuE6ELNS1_3repE0EEENS1_30default_config_static_selectorELNS0_4arch9wavefront6targetE0EEEvS14_
	.globl	_ZN7rocprim17ROCPRIM_400000_NS6detail17trampoline_kernelINS0_14default_configENS1_22reduce_config_selectorIN6thrust23THRUST_200600_302600_NS5tupleIblNS6_9null_typeES8_S8_S8_S8_S8_S8_S8_EEEEZNS1_11reduce_implILb1ES3_NS6_12zip_iteratorINS7_INS6_11hip_rocprim26transform_input_iterator_tIbNSD_35transform_pair_of_input_iterators_tIbNS6_6detail15normal_iteratorINS6_10device_ptrIKtEEEESL_NS6_8equal_toItEEEENSG_9not_fun_tINSD_8identityEEEEENSD_19counting_iterator_tIlEES8_S8_S8_S8_S8_S8_S8_S8_EEEEPS9_S9_NSD_9__find_if7functorIS9_EEEE10hipError_tPvRmT1_T2_T3_mT4_P12ihipStream_tbEUlT_E0_NS1_11comp_targetILNS1_3genE2ELNS1_11target_archE906ELNS1_3gpuE6ELNS1_3repE0EEENS1_30default_config_static_selectorELNS0_4arch9wavefront6targetE0EEEvS14_
	.p2align	8
	.type	_ZN7rocprim17ROCPRIM_400000_NS6detail17trampoline_kernelINS0_14default_configENS1_22reduce_config_selectorIN6thrust23THRUST_200600_302600_NS5tupleIblNS6_9null_typeES8_S8_S8_S8_S8_S8_S8_EEEEZNS1_11reduce_implILb1ES3_NS6_12zip_iteratorINS7_INS6_11hip_rocprim26transform_input_iterator_tIbNSD_35transform_pair_of_input_iterators_tIbNS6_6detail15normal_iteratorINS6_10device_ptrIKtEEEESL_NS6_8equal_toItEEEENSG_9not_fun_tINSD_8identityEEEEENSD_19counting_iterator_tIlEES8_S8_S8_S8_S8_S8_S8_S8_EEEEPS9_S9_NSD_9__find_if7functorIS9_EEEE10hipError_tPvRmT1_T2_T3_mT4_P12ihipStream_tbEUlT_E0_NS1_11comp_targetILNS1_3genE2ELNS1_11target_archE906ELNS1_3gpuE6ELNS1_3repE0EEENS1_30default_config_static_selectorELNS0_4arch9wavefront6targetE0EEEvS14_,@function
_ZN7rocprim17ROCPRIM_400000_NS6detail17trampoline_kernelINS0_14default_configENS1_22reduce_config_selectorIN6thrust23THRUST_200600_302600_NS5tupleIblNS6_9null_typeES8_S8_S8_S8_S8_S8_S8_EEEEZNS1_11reduce_implILb1ES3_NS6_12zip_iteratorINS7_INS6_11hip_rocprim26transform_input_iterator_tIbNSD_35transform_pair_of_input_iterators_tIbNS6_6detail15normal_iteratorINS6_10device_ptrIKtEEEESL_NS6_8equal_toItEEEENSG_9not_fun_tINSD_8identityEEEEENSD_19counting_iterator_tIlEES8_S8_S8_S8_S8_S8_S8_S8_EEEEPS9_S9_NSD_9__find_if7functorIS9_EEEE10hipError_tPvRmT1_T2_T3_mT4_P12ihipStream_tbEUlT_E0_NS1_11comp_targetILNS1_3genE2ELNS1_11target_archE906ELNS1_3gpuE6ELNS1_3repE0EEENS1_30default_config_static_selectorELNS0_4arch9wavefront6targetE0EEEvS14_: ; @_ZN7rocprim17ROCPRIM_400000_NS6detail17trampoline_kernelINS0_14default_configENS1_22reduce_config_selectorIN6thrust23THRUST_200600_302600_NS5tupleIblNS6_9null_typeES8_S8_S8_S8_S8_S8_S8_EEEEZNS1_11reduce_implILb1ES3_NS6_12zip_iteratorINS7_INS6_11hip_rocprim26transform_input_iterator_tIbNSD_35transform_pair_of_input_iterators_tIbNS6_6detail15normal_iteratorINS6_10device_ptrIKtEEEESL_NS6_8equal_toItEEEENSG_9not_fun_tINSD_8identityEEEEENSD_19counting_iterator_tIlEES8_S8_S8_S8_S8_S8_S8_S8_EEEEPS9_S9_NSD_9__find_if7functorIS9_EEEE10hipError_tPvRmT1_T2_T3_mT4_P12ihipStream_tbEUlT_E0_NS1_11comp_targetILNS1_3genE2ELNS1_11target_archE906ELNS1_3gpuE6ELNS1_3repE0EEENS1_30default_config_static_selectorELNS0_4arch9wavefront6targetE0EEEvS14_
; %bb.0:
	.section	.rodata,"a",@progbits
	.p2align	6, 0x0
	.amdhsa_kernel _ZN7rocprim17ROCPRIM_400000_NS6detail17trampoline_kernelINS0_14default_configENS1_22reduce_config_selectorIN6thrust23THRUST_200600_302600_NS5tupleIblNS6_9null_typeES8_S8_S8_S8_S8_S8_S8_EEEEZNS1_11reduce_implILb1ES3_NS6_12zip_iteratorINS7_INS6_11hip_rocprim26transform_input_iterator_tIbNSD_35transform_pair_of_input_iterators_tIbNS6_6detail15normal_iteratorINS6_10device_ptrIKtEEEESL_NS6_8equal_toItEEEENSG_9not_fun_tINSD_8identityEEEEENSD_19counting_iterator_tIlEES8_S8_S8_S8_S8_S8_S8_S8_EEEEPS9_S9_NSD_9__find_if7functorIS9_EEEE10hipError_tPvRmT1_T2_T3_mT4_P12ihipStream_tbEUlT_E0_NS1_11comp_targetILNS1_3genE2ELNS1_11target_archE906ELNS1_3gpuE6ELNS1_3repE0EEENS1_30default_config_static_selectorELNS0_4arch9wavefront6targetE0EEEvS14_
		.amdhsa_group_segment_fixed_size 0
		.amdhsa_private_segment_fixed_size 0
		.amdhsa_kernarg_size 104
		.amdhsa_user_sgpr_count 6
		.amdhsa_user_sgpr_private_segment_buffer 1
		.amdhsa_user_sgpr_dispatch_ptr 0
		.amdhsa_user_sgpr_queue_ptr 0
		.amdhsa_user_sgpr_kernarg_segment_ptr 1
		.amdhsa_user_sgpr_dispatch_id 0
		.amdhsa_user_sgpr_flat_scratch_init 0
		.amdhsa_user_sgpr_private_segment_size 0
		.amdhsa_wavefront_size32 1
		.amdhsa_uses_dynamic_stack 0
		.amdhsa_system_sgpr_private_segment_wavefront_offset 0
		.amdhsa_system_sgpr_workgroup_id_x 1
		.amdhsa_system_sgpr_workgroup_id_y 0
		.amdhsa_system_sgpr_workgroup_id_z 0
		.amdhsa_system_sgpr_workgroup_info 0
		.amdhsa_system_vgpr_workitem_id 0
		.amdhsa_next_free_vgpr 1
		.amdhsa_next_free_sgpr 1
		.amdhsa_reserve_vcc 0
		.amdhsa_reserve_flat_scratch 0
		.amdhsa_float_round_mode_32 0
		.amdhsa_float_round_mode_16_64 0
		.amdhsa_float_denorm_mode_32 3
		.amdhsa_float_denorm_mode_16_64 3
		.amdhsa_dx10_clamp 1
		.amdhsa_ieee_mode 1
		.amdhsa_fp16_overflow 0
		.amdhsa_workgroup_processor_mode 1
		.amdhsa_memory_ordered 1
		.amdhsa_forward_progress 1
		.amdhsa_shared_vgpr_count 0
		.amdhsa_exception_fp_ieee_invalid_op 0
		.amdhsa_exception_fp_denorm_src 0
		.amdhsa_exception_fp_ieee_div_zero 0
		.amdhsa_exception_fp_ieee_overflow 0
		.amdhsa_exception_fp_ieee_underflow 0
		.amdhsa_exception_fp_ieee_inexact 0
		.amdhsa_exception_int_div_zero 0
	.end_amdhsa_kernel
	.section	.text._ZN7rocprim17ROCPRIM_400000_NS6detail17trampoline_kernelINS0_14default_configENS1_22reduce_config_selectorIN6thrust23THRUST_200600_302600_NS5tupleIblNS6_9null_typeES8_S8_S8_S8_S8_S8_S8_EEEEZNS1_11reduce_implILb1ES3_NS6_12zip_iteratorINS7_INS6_11hip_rocprim26transform_input_iterator_tIbNSD_35transform_pair_of_input_iterators_tIbNS6_6detail15normal_iteratorINS6_10device_ptrIKtEEEESL_NS6_8equal_toItEEEENSG_9not_fun_tINSD_8identityEEEEENSD_19counting_iterator_tIlEES8_S8_S8_S8_S8_S8_S8_S8_EEEEPS9_S9_NSD_9__find_if7functorIS9_EEEE10hipError_tPvRmT1_T2_T3_mT4_P12ihipStream_tbEUlT_E0_NS1_11comp_targetILNS1_3genE2ELNS1_11target_archE906ELNS1_3gpuE6ELNS1_3repE0EEENS1_30default_config_static_selectorELNS0_4arch9wavefront6targetE0EEEvS14_,"axG",@progbits,_ZN7rocprim17ROCPRIM_400000_NS6detail17trampoline_kernelINS0_14default_configENS1_22reduce_config_selectorIN6thrust23THRUST_200600_302600_NS5tupleIblNS6_9null_typeES8_S8_S8_S8_S8_S8_S8_EEEEZNS1_11reduce_implILb1ES3_NS6_12zip_iteratorINS7_INS6_11hip_rocprim26transform_input_iterator_tIbNSD_35transform_pair_of_input_iterators_tIbNS6_6detail15normal_iteratorINS6_10device_ptrIKtEEEESL_NS6_8equal_toItEEEENSG_9not_fun_tINSD_8identityEEEEENSD_19counting_iterator_tIlEES8_S8_S8_S8_S8_S8_S8_S8_EEEEPS9_S9_NSD_9__find_if7functorIS9_EEEE10hipError_tPvRmT1_T2_T3_mT4_P12ihipStream_tbEUlT_E0_NS1_11comp_targetILNS1_3genE2ELNS1_11target_archE906ELNS1_3gpuE6ELNS1_3repE0EEENS1_30default_config_static_selectorELNS0_4arch9wavefront6targetE0EEEvS14_,comdat
.Lfunc_end192:
	.size	_ZN7rocprim17ROCPRIM_400000_NS6detail17trampoline_kernelINS0_14default_configENS1_22reduce_config_selectorIN6thrust23THRUST_200600_302600_NS5tupleIblNS6_9null_typeES8_S8_S8_S8_S8_S8_S8_EEEEZNS1_11reduce_implILb1ES3_NS6_12zip_iteratorINS7_INS6_11hip_rocprim26transform_input_iterator_tIbNSD_35transform_pair_of_input_iterators_tIbNS6_6detail15normal_iteratorINS6_10device_ptrIKtEEEESL_NS6_8equal_toItEEEENSG_9not_fun_tINSD_8identityEEEEENSD_19counting_iterator_tIlEES8_S8_S8_S8_S8_S8_S8_S8_EEEEPS9_S9_NSD_9__find_if7functorIS9_EEEE10hipError_tPvRmT1_T2_T3_mT4_P12ihipStream_tbEUlT_E0_NS1_11comp_targetILNS1_3genE2ELNS1_11target_archE906ELNS1_3gpuE6ELNS1_3repE0EEENS1_30default_config_static_selectorELNS0_4arch9wavefront6targetE0EEEvS14_, .Lfunc_end192-_ZN7rocprim17ROCPRIM_400000_NS6detail17trampoline_kernelINS0_14default_configENS1_22reduce_config_selectorIN6thrust23THRUST_200600_302600_NS5tupleIblNS6_9null_typeES8_S8_S8_S8_S8_S8_S8_EEEEZNS1_11reduce_implILb1ES3_NS6_12zip_iteratorINS7_INS6_11hip_rocprim26transform_input_iterator_tIbNSD_35transform_pair_of_input_iterators_tIbNS6_6detail15normal_iteratorINS6_10device_ptrIKtEEEESL_NS6_8equal_toItEEEENSG_9not_fun_tINSD_8identityEEEEENSD_19counting_iterator_tIlEES8_S8_S8_S8_S8_S8_S8_S8_EEEEPS9_S9_NSD_9__find_if7functorIS9_EEEE10hipError_tPvRmT1_T2_T3_mT4_P12ihipStream_tbEUlT_E0_NS1_11comp_targetILNS1_3genE2ELNS1_11target_archE906ELNS1_3gpuE6ELNS1_3repE0EEENS1_30default_config_static_selectorELNS0_4arch9wavefront6targetE0EEEvS14_
                                        ; -- End function
	.set _ZN7rocprim17ROCPRIM_400000_NS6detail17trampoline_kernelINS0_14default_configENS1_22reduce_config_selectorIN6thrust23THRUST_200600_302600_NS5tupleIblNS6_9null_typeES8_S8_S8_S8_S8_S8_S8_EEEEZNS1_11reduce_implILb1ES3_NS6_12zip_iteratorINS7_INS6_11hip_rocprim26transform_input_iterator_tIbNSD_35transform_pair_of_input_iterators_tIbNS6_6detail15normal_iteratorINS6_10device_ptrIKtEEEESL_NS6_8equal_toItEEEENSG_9not_fun_tINSD_8identityEEEEENSD_19counting_iterator_tIlEES8_S8_S8_S8_S8_S8_S8_S8_EEEEPS9_S9_NSD_9__find_if7functorIS9_EEEE10hipError_tPvRmT1_T2_T3_mT4_P12ihipStream_tbEUlT_E0_NS1_11comp_targetILNS1_3genE2ELNS1_11target_archE906ELNS1_3gpuE6ELNS1_3repE0EEENS1_30default_config_static_selectorELNS0_4arch9wavefront6targetE0EEEvS14_.num_vgpr, 0
	.set _ZN7rocprim17ROCPRIM_400000_NS6detail17trampoline_kernelINS0_14default_configENS1_22reduce_config_selectorIN6thrust23THRUST_200600_302600_NS5tupleIblNS6_9null_typeES8_S8_S8_S8_S8_S8_S8_EEEEZNS1_11reduce_implILb1ES3_NS6_12zip_iteratorINS7_INS6_11hip_rocprim26transform_input_iterator_tIbNSD_35transform_pair_of_input_iterators_tIbNS6_6detail15normal_iteratorINS6_10device_ptrIKtEEEESL_NS6_8equal_toItEEEENSG_9not_fun_tINSD_8identityEEEEENSD_19counting_iterator_tIlEES8_S8_S8_S8_S8_S8_S8_S8_EEEEPS9_S9_NSD_9__find_if7functorIS9_EEEE10hipError_tPvRmT1_T2_T3_mT4_P12ihipStream_tbEUlT_E0_NS1_11comp_targetILNS1_3genE2ELNS1_11target_archE906ELNS1_3gpuE6ELNS1_3repE0EEENS1_30default_config_static_selectorELNS0_4arch9wavefront6targetE0EEEvS14_.num_agpr, 0
	.set _ZN7rocprim17ROCPRIM_400000_NS6detail17trampoline_kernelINS0_14default_configENS1_22reduce_config_selectorIN6thrust23THRUST_200600_302600_NS5tupleIblNS6_9null_typeES8_S8_S8_S8_S8_S8_S8_EEEEZNS1_11reduce_implILb1ES3_NS6_12zip_iteratorINS7_INS6_11hip_rocprim26transform_input_iterator_tIbNSD_35transform_pair_of_input_iterators_tIbNS6_6detail15normal_iteratorINS6_10device_ptrIKtEEEESL_NS6_8equal_toItEEEENSG_9not_fun_tINSD_8identityEEEEENSD_19counting_iterator_tIlEES8_S8_S8_S8_S8_S8_S8_S8_EEEEPS9_S9_NSD_9__find_if7functorIS9_EEEE10hipError_tPvRmT1_T2_T3_mT4_P12ihipStream_tbEUlT_E0_NS1_11comp_targetILNS1_3genE2ELNS1_11target_archE906ELNS1_3gpuE6ELNS1_3repE0EEENS1_30default_config_static_selectorELNS0_4arch9wavefront6targetE0EEEvS14_.numbered_sgpr, 0
	.set _ZN7rocprim17ROCPRIM_400000_NS6detail17trampoline_kernelINS0_14default_configENS1_22reduce_config_selectorIN6thrust23THRUST_200600_302600_NS5tupleIblNS6_9null_typeES8_S8_S8_S8_S8_S8_S8_EEEEZNS1_11reduce_implILb1ES3_NS6_12zip_iteratorINS7_INS6_11hip_rocprim26transform_input_iterator_tIbNSD_35transform_pair_of_input_iterators_tIbNS6_6detail15normal_iteratorINS6_10device_ptrIKtEEEESL_NS6_8equal_toItEEEENSG_9not_fun_tINSD_8identityEEEEENSD_19counting_iterator_tIlEES8_S8_S8_S8_S8_S8_S8_S8_EEEEPS9_S9_NSD_9__find_if7functorIS9_EEEE10hipError_tPvRmT1_T2_T3_mT4_P12ihipStream_tbEUlT_E0_NS1_11comp_targetILNS1_3genE2ELNS1_11target_archE906ELNS1_3gpuE6ELNS1_3repE0EEENS1_30default_config_static_selectorELNS0_4arch9wavefront6targetE0EEEvS14_.num_named_barrier, 0
	.set _ZN7rocprim17ROCPRIM_400000_NS6detail17trampoline_kernelINS0_14default_configENS1_22reduce_config_selectorIN6thrust23THRUST_200600_302600_NS5tupleIblNS6_9null_typeES8_S8_S8_S8_S8_S8_S8_EEEEZNS1_11reduce_implILb1ES3_NS6_12zip_iteratorINS7_INS6_11hip_rocprim26transform_input_iterator_tIbNSD_35transform_pair_of_input_iterators_tIbNS6_6detail15normal_iteratorINS6_10device_ptrIKtEEEESL_NS6_8equal_toItEEEENSG_9not_fun_tINSD_8identityEEEEENSD_19counting_iterator_tIlEES8_S8_S8_S8_S8_S8_S8_S8_EEEEPS9_S9_NSD_9__find_if7functorIS9_EEEE10hipError_tPvRmT1_T2_T3_mT4_P12ihipStream_tbEUlT_E0_NS1_11comp_targetILNS1_3genE2ELNS1_11target_archE906ELNS1_3gpuE6ELNS1_3repE0EEENS1_30default_config_static_selectorELNS0_4arch9wavefront6targetE0EEEvS14_.private_seg_size, 0
	.set _ZN7rocprim17ROCPRIM_400000_NS6detail17trampoline_kernelINS0_14default_configENS1_22reduce_config_selectorIN6thrust23THRUST_200600_302600_NS5tupleIblNS6_9null_typeES8_S8_S8_S8_S8_S8_S8_EEEEZNS1_11reduce_implILb1ES3_NS6_12zip_iteratorINS7_INS6_11hip_rocprim26transform_input_iterator_tIbNSD_35transform_pair_of_input_iterators_tIbNS6_6detail15normal_iteratorINS6_10device_ptrIKtEEEESL_NS6_8equal_toItEEEENSG_9not_fun_tINSD_8identityEEEEENSD_19counting_iterator_tIlEES8_S8_S8_S8_S8_S8_S8_S8_EEEEPS9_S9_NSD_9__find_if7functorIS9_EEEE10hipError_tPvRmT1_T2_T3_mT4_P12ihipStream_tbEUlT_E0_NS1_11comp_targetILNS1_3genE2ELNS1_11target_archE906ELNS1_3gpuE6ELNS1_3repE0EEENS1_30default_config_static_selectorELNS0_4arch9wavefront6targetE0EEEvS14_.uses_vcc, 0
	.set _ZN7rocprim17ROCPRIM_400000_NS6detail17trampoline_kernelINS0_14default_configENS1_22reduce_config_selectorIN6thrust23THRUST_200600_302600_NS5tupleIblNS6_9null_typeES8_S8_S8_S8_S8_S8_S8_EEEEZNS1_11reduce_implILb1ES3_NS6_12zip_iteratorINS7_INS6_11hip_rocprim26transform_input_iterator_tIbNSD_35transform_pair_of_input_iterators_tIbNS6_6detail15normal_iteratorINS6_10device_ptrIKtEEEESL_NS6_8equal_toItEEEENSG_9not_fun_tINSD_8identityEEEEENSD_19counting_iterator_tIlEES8_S8_S8_S8_S8_S8_S8_S8_EEEEPS9_S9_NSD_9__find_if7functorIS9_EEEE10hipError_tPvRmT1_T2_T3_mT4_P12ihipStream_tbEUlT_E0_NS1_11comp_targetILNS1_3genE2ELNS1_11target_archE906ELNS1_3gpuE6ELNS1_3repE0EEENS1_30default_config_static_selectorELNS0_4arch9wavefront6targetE0EEEvS14_.uses_flat_scratch, 0
	.set _ZN7rocprim17ROCPRIM_400000_NS6detail17trampoline_kernelINS0_14default_configENS1_22reduce_config_selectorIN6thrust23THRUST_200600_302600_NS5tupleIblNS6_9null_typeES8_S8_S8_S8_S8_S8_S8_EEEEZNS1_11reduce_implILb1ES3_NS6_12zip_iteratorINS7_INS6_11hip_rocprim26transform_input_iterator_tIbNSD_35transform_pair_of_input_iterators_tIbNS6_6detail15normal_iteratorINS6_10device_ptrIKtEEEESL_NS6_8equal_toItEEEENSG_9not_fun_tINSD_8identityEEEEENSD_19counting_iterator_tIlEES8_S8_S8_S8_S8_S8_S8_S8_EEEEPS9_S9_NSD_9__find_if7functorIS9_EEEE10hipError_tPvRmT1_T2_T3_mT4_P12ihipStream_tbEUlT_E0_NS1_11comp_targetILNS1_3genE2ELNS1_11target_archE906ELNS1_3gpuE6ELNS1_3repE0EEENS1_30default_config_static_selectorELNS0_4arch9wavefront6targetE0EEEvS14_.has_dyn_sized_stack, 0
	.set _ZN7rocprim17ROCPRIM_400000_NS6detail17trampoline_kernelINS0_14default_configENS1_22reduce_config_selectorIN6thrust23THRUST_200600_302600_NS5tupleIblNS6_9null_typeES8_S8_S8_S8_S8_S8_S8_EEEEZNS1_11reduce_implILb1ES3_NS6_12zip_iteratorINS7_INS6_11hip_rocprim26transform_input_iterator_tIbNSD_35transform_pair_of_input_iterators_tIbNS6_6detail15normal_iteratorINS6_10device_ptrIKtEEEESL_NS6_8equal_toItEEEENSG_9not_fun_tINSD_8identityEEEEENSD_19counting_iterator_tIlEES8_S8_S8_S8_S8_S8_S8_S8_EEEEPS9_S9_NSD_9__find_if7functorIS9_EEEE10hipError_tPvRmT1_T2_T3_mT4_P12ihipStream_tbEUlT_E0_NS1_11comp_targetILNS1_3genE2ELNS1_11target_archE906ELNS1_3gpuE6ELNS1_3repE0EEENS1_30default_config_static_selectorELNS0_4arch9wavefront6targetE0EEEvS14_.has_recursion, 0
	.set _ZN7rocprim17ROCPRIM_400000_NS6detail17trampoline_kernelINS0_14default_configENS1_22reduce_config_selectorIN6thrust23THRUST_200600_302600_NS5tupleIblNS6_9null_typeES8_S8_S8_S8_S8_S8_S8_EEEEZNS1_11reduce_implILb1ES3_NS6_12zip_iteratorINS7_INS6_11hip_rocprim26transform_input_iterator_tIbNSD_35transform_pair_of_input_iterators_tIbNS6_6detail15normal_iteratorINS6_10device_ptrIKtEEEESL_NS6_8equal_toItEEEENSG_9not_fun_tINSD_8identityEEEEENSD_19counting_iterator_tIlEES8_S8_S8_S8_S8_S8_S8_S8_EEEEPS9_S9_NSD_9__find_if7functorIS9_EEEE10hipError_tPvRmT1_T2_T3_mT4_P12ihipStream_tbEUlT_E0_NS1_11comp_targetILNS1_3genE2ELNS1_11target_archE906ELNS1_3gpuE6ELNS1_3repE0EEENS1_30default_config_static_selectorELNS0_4arch9wavefront6targetE0EEEvS14_.has_indirect_call, 0
	.section	.AMDGPU.csdata,"",@progbits
; Kernel info:
; codeLenInByte = 0
; TotalNumSgprs: 0
; NumVgprs: 0
; ScratchSize: 0
; MemoryBound: 0
; FloatMode: 240
; IeeeMode: 1
; LDSByteSize: 0 bytes/workgroup (compile time only)
; SGPRBlocks: 0
; VGPRBlocks: 0
; NumSGPRsForWavesPerEU: 1
; NumVGPRsForWavesPerEU: 1
; Occupancy: 16
; WaveLimiterHint : 0
; COMPUTE_PGM_RSRC2:SCRATCH_EN: 0
; COMPUTE_PGM_RSRC2:USER_SGPR: 6
; COMPUTE_PGM_RSRC2:TRAP_HANDLER: 0
; COMPUTE_PGM_RSRC2:TGID_X_EN: 1
; COMPUTE_PGM_RSRC2:TGID_Y_EN: 0
; COMPUTE_PGM_RSRC2:TGID_Z_EN: 0
; COMPUTE_PGM_RSRC2:TIDIG_COMP_CNT: 0
	.section	.text._ZN7rocprim17ROCPRIM_400000_NS6detail17trampoline_kernelINS0_14default_configENS1_22reduce_config_selectorIN6thrust23THRUST_200600_302600_NS5tupleIblNS6_9null_typeES8_S8_S8_S8_S8_S8_S8_EEEEZNS1_11reduce_implILb1ES3_NS6_12zip_iteratorINS7_INS6_11hip_rocprim26transform_input_iterator_tIbNSD_35transform_pair_of_input_iterators_tIbNS6_6detail15normal_iteratorINS6_10device_ptrIKtEEEESL_NS6_8equal_toItEEEENSG_9not_fun_tINSD_8identityEEEEENSD_19counting_iterator_tIlEES8_S8_S8_S8_S8_S8_S8_S8_EEEEPS9_S9_NSD_9__find_if7functorIS9_EEEE10hipError_tPvRmT1_T2_T3_mT4_P12ihipStream_tbEUlT_E0_NS1_11comp_targetILNS1_3genE10ELNS1_11target_archE1201ELNS1_3gpuE5ELNS1_3repE0EEENS1_30default_config_static_selectorELNS0_4arch9wavefront6targetE0EEEvS14_,"axG",@progbits,_ZN7rocprim17ROCPRIM_400000_NS6detail17trampoline_kernelINS0_14default_configENS1_22reduce_config_selectorIN6thrust23THRUST_200600_302600_NS5tupleIblNS6_9null_typeES8_S8_S8_S8_S8_S8_S8_EEEEZNS1_11reduce_implILb1ES3_NS6_12zip_iteratorINS7_INS6_11hip_rocprim26transform_input_iterator_tIbNSD_35transform_pair_of_input_iterators_tIbNS6_6detail15normal_iteratorINS6_10device_ptrIKtEEEESL_NS6_8equal_toItEEEENSG_9not_fun_tINSD_8identityEEEEENSD_19counting_iterator_tIlEES8_S8_S8_S8_S8_S8_S8_S8_EEEEPS9_S9_NSD_9__find_if7functorIS9_EEEE10hipError_tPvRmT1_T2_T3_mT4_P12ihipStream_tbEUlT_E0_NS1_11comp_targetILNS1_3genE10ELNS1_11target_archE1201ELNS1_3gpuE5ELNS1_3repE0EEENS1_30default_config_static_selectorELNS0_4arch9wavefront6targetE0EEEvS14_,comdat
	.protected	_ZN7rocprim17ROCPRIM_400000_NS6detail17trampoline_kernelINS0_14default_configENS1_22reduce_config_selectorIN6thrust23THRUST_200600_302600_NS5tupleIblNS6_9null_typeES8_S8_S8_S8_S8_S8_S8_EEEEZNS1_11reduce_implILb1ES3_NS6_12zip_iteratorINS7_INS6_11hip_rocprim26transform_input_iterator_tIbNSD_35transform_pair_of_input_iterators_tIbNS6_6detail15normal_iteratorINS6_10device_ptrIKtEEEESL_NS6_8equal_toItEEEENSG_9not_fun_tINSD_8identityEEEEENSD_19counting_iterator_tIlEES8_S8_S8_S8_S8_S8_S8_S8_EEEEPS9_S9_NSD_9__find_if7functorIS9_EEEE10hipError_tPvRmT1_T2_T3_mT4_P12ihipStream_tbEUlT_E0_NS1_11comp_targetILNS1_3genE10ELNS1_11target_archE1201ELNS1_3gpuE5ELNS1_3repE0EEENS1_30default_config_static_selectorELNS0_4arch9wavefront6targetE0EEEvS14_ ; -- Begin function _ZN7rocprim17ROCPRIM_400000_NS6detail17trampoline_kernelINS0_14default_configENS1_22reduce_config_selectorIN6thrust23THRUST_200600_302600_NS5tupleIblNS6_9null_typeES8_S8_S8_S8_S8_S8_S8_EEEEZNS1_11reduce_implILb1ES3_NS6_12zip_iteratorINS7_INS6_11hip_rocprim26transform_input_iterator_tIbNSD_35transform_pair_of_input_iterators_tIbNS6_6detail15normal_iteratorINS6_10device_ptrIKtEEEESL_NS6_8equal_toItEEEENSG_9not_fun_tINSD_8identityEEEEENSD_19counting_iterator_tIlEES8_S8_S8_S8_S8_S8_S8_S8_EEEEPS9_S9_NSD_9__find_if7functorIS9_EEEE10hipError_tPvRmT1_T2_T3_mT4_P12ihipStream_tbEUlT_E0_NS1_11comp_targetILNS1_3genE10ELNS1_11target_archE1201ELNS1_3gpuE5ELNS1_3repE0EEENS1_30default_config_static_selectorELNS0_4arch9wavefront6targetE0EEEvS14_
	.globl	_ZN7rocprim17ROCPRIM_400000_NS6detail17trampoline_kernelINS0_14default_configENS1_22reduce_config_selectorIN6thrust23THRUST_200600_302600_NS5tupleIblNS6_9null_typeES8_S8_S8_S8_S8_S8_S8_EEEEZNS1_11reduce_implILb1ES3_NS6_12zip_iteratorINS7_INS6_11hip_rocprim26transform_input_iterator_tIbNSD_35transform_pair_of_input_iterators_tIbNS6_6detail15normal_iteratorINS6_10device_ptrIKtEEEESL_NS6_8equal_toItEEEENSG_9not_fun_tINSD_8identityEEEEENSD_19counting_iterator_tIlEES8_S8_S8_S8_S8_S8_S8_S8_EEEEPS9_S9_NSD_9__find_if7functorIS9_EEEE10hipError_tPvRmT1_T2_T3_mT4_P12ihipStream_tbEUlT_E0_NS1_11comp_targetILNS1_3genE10ELNS1_11target_archE1201ELNS1_3gpuE5ELNS1_3repE0EEENS1_30default_config_static_selectorELNS0_4arch9wavefront6targetE0EEEvS14_
	.p2align	8
	.type	_ZN7rocprim17ROCPRIM_400000_NS6detail17trampoline_kernelINS0_14default_configENS1_22reduce_config_selectorIN6thrust23THRUST_200600_302600_NS5tupleIblNS6_9null_typeES8_S8_S8_S8_S8_S8_S8_EEEEZNS1_11reduce_implILb1ES3_NS6_12zip_iteratorINS7_INS6_11hip_rocprim26transform_input_iterator_tIbNSD_35transform_pair_of_input_iterators_tIbNS6_6detail15normal_iteratorINS6_10device_ptrIKtEEEESL_NS6_8equal_toItEEEENSG_9not_fun_tINSD_8identityEEEEENSD_19counting_iterator_tIlEES8_S8_S8_S8_S8_S8_S8_S8_EEEEPS9_S9_NSD_9__find_if7functorIS9_EEEE10hipError_tPvRmT1_T2_T3_mT4_P12ihipStream_tbEUlT_E0_NS1_11comp_targetILNS1_3genE10ELNS1_11target_archE1201ELNS1_3gpuE5ELNS1_3repE0EEENS1_30default_config_static_selectorELNS0_4arch9wavefront6targetE0EEEvS14_,@function
_ZN7rocprim17ROCPRIM_400000_NS6detail17trampoline_kernelINS0_14default_configENS1_22reduce_config_selectorIN6thrust23THRUST_200600_302600_NS5tupleIblNS6_9null_typeES8_S8_S8_S8_S8_S8_S8_EEEEZNS1_11reduce_implILb1ES3_NS6_12zip_iteratorINS7_INS6_11hip_rocprim26transform_input_iterator_tIbNSD_35transform_pair_of_input_iterators_tIbNS6_6detail15normal_iteratorINS6_10device_ptrIKtEEEESL_NS6_8equal_toItEEEENSG_9not_fun_tINSD_8identityEEEEENSD_19counting_iterator_tIlEES8_S8_S8_S8_S8_S8_S8_S8_EEEEPS9_S9_NSD_9__find_if7functorIS9_EEEE10hipError_tPvRmT1_T2_T3_mT4_P12ihipStream_tbEUlT_E0_NS1_11comp_targetILNS1_3genE10ELNS1_11target_archE1201ELNS1_3gpuE5ELNS1_3repE0EEENS1_30default_config_static_selectorELNS0_4arch9wavefront6targetE0EEEvS14_: ; @_ZN7rocprim17ROCPRIM_400000_NS6detail17trampoline_kernelINS0_14default_configENS1_22reduce_config_selectorIN6thrust23THRUST_200600_302600_NS5tupleIblNS6_9null_typeES8_S8_S8_S8_S8_S8_S8_EEEEZNS1_11reduce_implILb1ES3_NS6_12zip_iteratorINS7_INS6_11hip_rocprim26transform_input_iterator_tIbNSD_35transform_pair_of_input_iterators_tIbNS6_6detail15normal_iteratorINS6_10device_ptrIKtEEEESL_NS6_8equal_toItEEEENSG_9not_fun_tINSD_8identityEEEEENSD_19counting_iterator_tIlEES8_S8_S8_S8_S8_S8_S8_S8_EEEEPS9_S9_NSD_9__find_if7functorIS9_EEEE10hipError_tPvRmT1_T2_T3_mT4_P12ihipStream_tbEUlT_E0_NS1_11comp_targetILNS1_3genE10ELNS1_11target_archE1201ELNS1_3gpuE5ELNS1_3repE0EEENS1_30default_config_static_selectorELNS0_4arch9wavefront6targetE0EEEvS14_
; %bb.0:
	.section	.rodata,"a",@progbits
	.p2align	6, 0x0
	.amdhsa_kernel _ZN7rocprim17ROCPRIM_400000_NS6detail17trampoline_kernelINS0_14default_configENS1_22reduce_config_selectorIN6thrust23THRUST_200600_302600_NS5tupleIblNS6_9null_typeES8_S8_S8_S8_S8_S8_S8_EEEEZNS1_11reduce_implILb1ES3_NS6_12zip_iteratorINS7_INS6_11hip_rocprim26transform_input_iterator_tIbNSD_35transform_pair_of_input_iterators_tIbNS6_6detail15normal_iteratorINS6_10device_ptrIKtEEEESL_NS6_8equal_toItEEEENSG_9not_fun_tINSD_8identityEEEEENSD_19counting_iterator_tIlEES8_S8_S8_S8_S8_S8_S8_S8_EEEEPS9_S9_NSD_9__find_if7functorIS9_EEEE10hipError_tPvRmT1_T2_T3_mT4_P12ihipStream_tbEUlT_E0_NS1_11comp_targetILNS1_3genE10ELNS1_11target_archE1201ELNS1_3gpuE5ELNS1_3repE0EEENS1_30default_config_static_selectorELNS0_4arch9wavefront6targetE0EEEvS14_
		.amdhsa_group_segment_fixed_size 0
		.amdhsa_private_segment_fixed_size 0
		.amdhsa_kernarg_size 104
		.amdhsa_user_sgpr_count 6
		.amdhsa_user_sgpr_private_segment_buffer 1
		.amdhsa_user_sgpr_dispatch_ptr 0
		.amdhsa_user_sgpr_queue_ptr 0
		.amdhsa_user_sgpr_kernarg_segment_ptr 1
		.amdhsa_user_sgpr_dispatch_id 0
		.amdhsa_user_sgpr_flat_scratch_init 0
		.amdhsa_user_sgpr_private_segment_size 0
		.amdhsa_wavefront_size32 1
		.amdhsa_uses_dynamic_stack 0
		.amdhsa_system_sgpr_private_segment_wavefront_offset 0
		.amdhsa_system_sgpr_workgroup_id_x 1
		.amdhsa_system_sgpr_workgroup_id_y 0
		.amdhsa_system_sgpr_workgroup_id_z 0
		.amdhsa_system_sgpr_workgroup_info 0
		.amdhsa_system_vgpr_workitem_id 0
		.amdhsa_next_free_vgpr 1
		.amdhsa_next_free_sgpr 1
		.amdhsa_reserve_vcc 0
		.amdhsa_reserve_flat_scratch 0
		.amdhsa_float_round_mode_32 0
		.amdhsa_float_round_mode_16_64 0
		.amdhsa_float_denorm_mode_32 3
		.amdhsa_float_denorm_mode_16_64 3
		.amdhsa_dx10_clamp 1
		.amdhsa_ieee_mode 1
		.amdhsa_fp16_overflow 0
		.amdhsa_workgroup_processor_mode 1
		.amdhsa_memory_ordered 1
		.amdhsa_forward_progress 1
		.amdhsa_shared_vgpr_count 0
		.amdhsa_exception_fp_ieee_invalid_op 0
		.amdhsa_exception_fp_denorm_src 0
		.amdhsa_exception_fp_ieee_div_zero 0
		.amdhsa_exception_fp_ieee_overflow 0
		.amdhsa_exception_fp_ieee_underflow 0
		.amdhsa_exception_fp_ieee_inexact 0
		.amdhsa_exception_int_div_zero 0
	.end_amdhsa_kernel
	.section	.text._ZN7rocprim17ROCPRIM_400000_NS6detail17trampoline_kernelINS0_14default_configENS1_22reduce_config_selectorIN6thrust23THRUST_200600_302600_NS5tupleIblNS6_9null_typeES8_S8_S8_S8_S8_S8_S8_EEEEZNS1_11reduce_implILb1ES3_NS6_12zip_iteratorINS7_INS6_11hip_rocprim26transform_input_iterator_tIbNSD_35transform_pair_of_input_iterators_tIbNS6_6detail15normal_iteratorINS6_10device_ptrIKtEEEESL_NS6_8equal_toItEEEENSG_9not_fun_tINSD_8identityEEEEENSD_19counting_iterator_tIlEES8_S8_S8_S8_S8_S8_S8_S8_EEEEPS9_S9_NSD_9__find_if7functorIS9_EEEE10hipError_tPvRmT1_T2_T3_mT4_P12ihipStream_tbEUlT_E0_NS1_11comp_targetILNS1_3genE10ELNS1_11target_archE1201ELNS1_3gpuE5ELNS1_3repE0EEENS1_30default_config_static_selectorELNS0_4arch9wavefront6targetE0EEEvS14_,"axG",@progbits,_ZN7rocprim17ROCPRIM_400000_NS6detail17trampoline_kernelINS0_14default_configENS1_22reduce_config_selectorIN6thrust23THRUST_200600_302600_NS5tupleIblNS6_9null_typeES8_S8_S8_S8_S8_S8_S8_EEEEZNS1_11reduce_implILb1ES3_NS6_12zip_iteratorINS7_INS6_11hip_rocprim26transform_input_iterator_tIbNSD_35transform_pair_of_input_iterators_tIbNS6_6detail15normal_iteratorINS6_10device_ptrIKtEEEESL_NS6_8equal_toItEEEENSG_9not_fun_tINSD_8identityEEEEENSD_19counting_iterator_tIlEES8_S8_S8_S8_S8_S8_S8_S8_EEEEPS9_S9_NSD_9__find_if7functorIS9_EEEE10hipError_tPvRmT1_T2_T3_mT4_P12ihipStream_tbEUlT_E0_NS1_11comp_targetILNS1_3genE10ELNS1_11target_archE1201ELNS1_3gpuE5ELNS1_3repE0EEENS1_30default_config_static_selectorELNS0_4arch9wavefront6targetE0EEEvS14_,comdat
.Lfunc_end193:
	.size	_ZN7rocprim17ROCPRIM_400000_NS6detail17trampoline_kernelINS0_14default_configENS1_22reduce_config_selectorIN6thrust23THRUST_200600_302600_NS5tupleIblNS6_9null_typeES8_S8_S8_S8_S8_S8_S8_EEEEZNS1_11reduce_implILb1ES3_NS6_12zip_iteratorINS7_INS6_11hip_rocprim26transform_input_iterator_tIbNSD_35transform_pair_of_input_iterators_tIbNS6_6detail15normal_iteratorINS6_10device_ptrIKtEEEESL_NS6_8equal_toItEEEENSG_9not_fun_tINSD_8identityEEEEENSD_19counting_iterator_tIlEES8_S8_S8_S8_S8_S8_S8_S8_EEEEPS9_S9_NSD_9__find_if7functorIS9_EEEE10hipError_tPvRmT1_T2_T3_mT4_P12ihipStream_tbEUlT_E0_NS1_11comp_targetILNS1_3genE10ELNS1_11target_archE1201ELNS1_3gpuE5ELNS1_3repE0EEENS1_30default_config_static_selectorELNS0_4arch9wavefront6targetE0EEEvS14_, .Lfunc_end193-_ZN7rocprim17ROCPRIM_400000_NS6detail17trampoline_kernelINS0_14default_configENS1_22reduce_config_selectorIN6thrust23THRUST_200600_302600_NS5tupleIblNS6_9null_typeES8_S8_S8_S8_S8_S8_S8_EEEEZNS1_11reduce_implILb1ES3_NS6_12zip_iteratorINS7_INS6_11hip_rocprim26transform_input_iterator_tIbNSD_35transform_pair_of_input_iterators_tIbNS6_6detail15normal_iteratorINS6_10device_ptrIKtEEEESL_NS6_8equal_toItEEEENSG_9not_fun_tINSD_8identityEEEEENSD_19counting_iterator_tIlEES8_S8_S8_S8_S8_S8_S8_S8_EEEEPS9_S9_NSD_9__find_if7functorIS9_EEEE10hipError_tPvRmT1_T2_T3_mT4_P12ihipStream_tbEUlT_E0_NS1_11comp_targetILNS1_3genE10ELNS1_11target_archE1201ELNS1_3gpuE5ELNS1_3repE0EEENS1_30default_config_static_selectorELNS0_4arch9wavefront6targetE0EEEvS14_
                                        ; -- End function
	.set _ZN7rocprim17ROCPRIM_400000_NS6detail17trampoline_kernelINS0_14default_configENS1_22reduce_config_selectorIN6thrust23THRUST_200600_302600_NS5tupleIblNS6_9null_typeES8_S8_S8_S8_S8_S8_S8_EEEEZNS1_11reduce_implILb1ES3_NS6_12zip_iteratorINS7_INS6_11hip_rocprim26transform_input_iterator_tIbNSD_35transform_pair_of_input_iterators_tIbNS6_6detail15normal_iteratorINS6_10device_ptrIKtEEEESL_NS6_8equal_toItEEEENSG_9not_fun_tINSD_8identityEEEEENSD_19counting_iterator_tIlEES8_S8_S8_S8_S8_S8_S8_S8_EEEEPS9_S9_NSD_9__find_if7functorIS9_EEEE10hipError_tPvRmT1_T2_T3_mT4_P12ihipStream_tbEUlT_E0_NS1_11comp_targetILNS1_3genE10ELNS1_11target_archE1201ELNS1_3gpuE5ELNS1_3repE0EEENS1_30default_config_static_selectorELNS0_4arch9wavefront6targetE0EEEvS14_.num_vgpr, 0
	.set _ZN7rocprim17ROCPRIM_400000_NS6detail17trampoline_kernelINS0_14default_configENS1_22reduce_config_selectorIN6thrust23THRUST_200600_302600_NS5tupleIblNS6_9null_typeES8_S8_S8_S8_S8_S8_S8_EEEEZNS1_11reduce_implILb1ES3_NS6_12zip_iteratorINS7_INS6_11hip_rocprim26transform_input_iterator_tIbNSD_35transform_pair_of_input_iterators_tIbNS6_6detail15normal_iteratorINS6_10device_ptrIKtEEEESL_NS6_8equal_toItEEEENSG_9not_fun_tINSD_8identityEEEEENSD_19counting_iterator_tIlEES8_S8_S8_S8_S8_S8_S8_S8_EEEEPS9_S9_NSD_9__find_if7functorIS9_EEEE10hipError_tPvRmT1_T2_T3_mT4_P12ihipStream_tbEUlT_E0_NS1_11comp_targetILNS1_3genE10ELNS1_11target_archE1201ELNS1_3gpuE5ELNS1_3repE0EEENS1_30default_config_static_selectorELNS0_4arch9wavefront6targetE0EEEvS14_.num_agpr, 0
	.set _ZN7rocprim17ROCPRIM_400000_NS6detail17trampoline_kernelINS0_14default_configENS1_22reduce_config_selectorIN6thrust23THRUST_200600_302600_NS5tupleIblNS6_9null_typeES8_S8_S8_S8_S8_S8_S8_EEEEZNS1_11reduce_implILb1ES3_NS6_12zip_iteratorINS7_INS6_11hip_rocprim26transform_input_iterator_tIbNSD_35transform_pair_of_input_iterators_tIbNS6_6detail15normal_iteratorINS6_10device_ptrIKtEEEESL_NS6_8equal_toItEEEENSG_9not_fun_tINSD_8identityEEEEENSD_19counting_iterator_tIlEES8_S8_S8_S8_S8_S8_S8_S8_EEEEPS9_S9_NSD_9__find_if7functorIS9_EEEE10hipError_tPvRmT1_T2_T3_mT4_P12ihipStream_tbEUlT_E0_NS1_11comp_targetILNS1_3genE10ELNS1_11target_archE1201ELNS1_3gpuE5ELNS1_3repE0EEENS1_30default_config_static_selectorELNS0_4arch9wavefront6targetE0EEEvS14_.numbered_sgpr, 0
	.set _ZN7rocprim17ROCPRIM_400000_NS6detail17trampoline_kernelINS0_14default_configENS1_22reduce_config_selectorIN6thrust23THRUST_200600_302600_NS5tupleIblNS6_9null_typeES8_S8_S8_S8_S8_S8_S8_EEEEZNS1_11reduce_implILb1ES3_NS6_12zip_iteratorINS7_INS6_11hip_rocprim26transform_input_iterator_tIbNSD_35transform_pair_of_input_iterators_tIbNS6_6detail15normal_iteratorINS6_10device_ptrIKtEEEESL_NS6_8equal_toItEEEENSG_9not_fun_tINSD_8identityEEEEENSD_19counting_iterator_tIlEES8_S8_S8_S8_S8_S8_S8_S8_EEEEPS9_S9_NSD_9__find_if7functorIS9_EEEE10hipError_tPvRmT1_T2_T3_mT4_P12ihipStream_tbEUlT_E0_NS1_11comp_targetILNS1_3genE10ELNS1_11target_archE1201ELNS1_3gpuE5ELNS1_3repE0EEENS1_30default_config_static_selectorELNS0_4arch9wavefront6targetE0EEEvS14_.num_named_barrier, 0
	.set _ZN7rocprim17ROCPRIM_400000_NS6detail17trampoline_kernelINS0_14default_configENS1_22reduce_config_selectorIN6thrust23THRUST_200600_302600_NS5tupleIblNS6_9null_typeES8_S8_S8_S8_S8_S8_S8_EEEEZNS1_11reduce_implILb1ES3_NS6_12zip_iteratorINS7_INS6_11hip_rocprim26transform_input_iterator_tIbNSD_35transform_pair_of_input_iterators_tIbNS6_6detail15normal_iteratorINS6_10device_ptrIKtEEEESL_NS6_8equal_toItEEEENSG_9not_fun_tINSD_8identityEEEEENSD_19counting_iterator_tIlEES8_S8_S8_S8_S8_S8_S8_S8_EEEEPS9_S9_NSD_9__find_if7functorIS9_EEEE10hipError_tPvRmT1_T2_T3_mT4_P12ihipStream_tbEUlT_E0_NS1_11comp_targetILNS1_3genE10ELNS1_11target_archE1201ELNS1_3gpuE5ELNS1_3repE0EEENS1_30default_config_static_selectorELNS0_4arch9wavefront6targetE0EEEvS14_.private_seg_size, 0
	.set _ZN7rocprim17ROCPRIM_400000_NS6detail17trampoline_kernelINS0_14default_configENS1_22reduce_config_selectorIN6thrust23THRUST_200600_302600_NS5tupleIblNS6_9null_typeES8_S8_S8_S8_S8_S8_S8_EEEEZNS1_11reduce_implILb1ES3_NS6_12zip_iteratorINS7_INS6_11hip_rocprim26transform_input_iterator_tIbNSD_35transform_pair_of_input_iterators_tIbNS6_6detail15normal_iteratorINS6_10device_ptrIKtEEEESL_NS6_8equal_toItEEEENSG_9not_fun_tINSD_8identityEEEEENSD_19counting_iterator_tIlEES8_S8_S8_S8_S8_S8_S8_S8_EEEEPS9_S9_NSD_9__find_if7functorIS9_EEEE10hipError_tPvRmT1_T2_T3_mT4_P12ihipStream_tbEUlT_E0_NS1_11comp_targetILNS1_3genE10ELNS1_11target_archE1201ELNS1_3gpuE5ELNS1_3repE0EEENS1_30default_config_static_selectorELNS0_4arch9wavefront6targetE0EEEvS14_.uses_vcc, 0
	.set _ZN7rocprim17ROCPRIM_400000_NS6detail17trampoline_kernelINS0_14default_configENS1_22reduce_config_selectorIN6thrust23THRUST_200600_302600_NS5tupleIblNS6_9null_typeES8_S8_S8_S8_S8_S8_S8_EEEEZNS1_11reduce_implILb1ES3_NS6_12zip_iteratorINS7_INS6_11hip_rocprim26transform_input_iterator_tIbNSD_35transform_pair_of_input_iterators_tIbNS6_6detail15normal_iteratorINS6_10device_ptrIKtEEEESL_NS6_8equal_toItEEEENSG_9not_fun_tINSD_8identityEEEEENSD_19counting_iterator_tIlEES8_S8_S8_S8_S8_S8_S8_S8_EEEEPS9_S9_NSD_9__find_if7functorIS9_EEEE10hipError_tPvRmT1_T2_T3_mT4_P12ihipStream_tbEUlT_E0_NS1_11comp_targetILNS1_3genE10ELNS1_11target_archE1201ELNS1_3gpuE5ELNS1_3repE0EEENS1_30default_config_static_selectorELNS0_4arch9wavefront6targetE0EEEvS14_.uses_flat_scratch, 0
	.set _ZN7rocprim17ROCPRIM_400000_NS6detail17trampoline_kernelINS0_14default_configENS1_22reduce_config_selectorIN6thrust23THRUST_200600_302600_NS5tupleIblNS6_9null_typeES8_S8_S8_S8_S8_S8_S8_EEEEZNS1_11reduce_implILb1ES3_NS6_12zip_iteratorINS7_INS6_11hip_rocprim26transform_input_iterator_tIbNSD_35transform_pair_of_input_iterators_tIbNS6_6detail15normal_iteratorINS6_10device_ptrIKtEEEESL_NS6_8equal_toItEEEENSG_9not_fun_tINSD_8identityEEEEENSD_19counting_iterator_tIlEES8_S8_S8_S8_S8_S8_S8_S8_EEEEPS9_S9_NSD_9__find_if7functorIS9_EEEE10hipError_tPvRmT1_T2_T3_mT4_P12ihipStream_tbEUlT_E0_NS1_11comp_targetILNS1_3genE10ELNS1_11target_archE1201ELNS1_3gpuE5ELNS1_3repE0EEENS1_30default_config_static_selectorELNS0_4arch9wavefront6targetE0EEEvS14_.has_dyn_sized_stack, 0
	.set _ZN7rocprim17ROCPRIM_400000_NS6detail17trampoline_kernelINS0_14default_configENS1_22reduce_config_selectorIN6thrust23THRUST_200600_302600_NS5tupleIblNS6_9null_typeES8_S8_S8_S8_S8_S8_S8_EEEEZNS1_11reduce_implILb1ES3_NS6_12zip_iteratorINS7_INS6_11hip_rocprim26transform_input_iterator_tIbNSD_35transform_pair_of_input_iterators_tIbNS6_6detail15normal_iteratorINS6_10device_ptrIKtEEEESL_NS6_8equal_toItEEEENSG_9not_fun_tINSD_8identityEEEEENSD_19counting_iterator_tIlEES8_S8_S8_S8_S8_S8_S8_S8_EEEEPS9_S9_NSD_9__find_if7functorIS9_EEEE10hipError_tPvRmT1_T2_T3_mT4_P12ihipStream_tbEUlT_E0_NS1_11comp_targetILNS1_3genE10ELNS1_11target_archE1201ELNS1_3gpuE5ELNS1_3repE0EEENS1_30default_config_static_selectorELNS0_4arch9wavefront6targetE0EEEvS14_.has_recursion, 0
	.set _ZN7rocprim17ROCPRIM_400000_NS6detail17trampoline_kernelINS0_14default_configENS1_22reduce_config_selectorIN6thrust23THRUST_200600_302600_NS5tupleIblNS6_9null_typeES8_S8_S8_S8_S8_S8_S8_EEEEZNS1_11reduce_implILb1ES3_NS6_12zip_iteratorINS7_INS6_11hip_rocprim26transform_input_iterator_tIbNSD_35transform_pair_of_input_iterators_tIbNS6_6detail15normal_iteratorINS6_10device_ptrIKtEEEESL_NS6_8equal_toItEEEENSG_9not_fun_tINSD_8identityEEEEENSD_19counting_iterator_tIlEES8_S8_S8_S8_S8_S8_S8_S8_EEEEPS9_S9_NSD_9__find_if7functorIS9_EEEE10hipError_tPvRmT1_T2_T3_mT4_P12ihipStream_tbEUlT_E0_NS1_11comp_targetILNS1_3genE10ELNS1_11target_archE1201ELNS1_3gpuE5ELNS1_3repE0EEENS1_30default_config_static_selectorELNS0_4arch9wavefront6targetE0EEEvS14_.has_indirect_call, 0
	.section	.AMDGPU.csdata,"",@progbits
; Kernel info:
; codeLenInByte = 0
; TotalNumSgprs: 0
; NumVgprs: 0
; ScratchSize: 0
; MemoryBound: 0
; FloatMode: 240
; IeeeMode: 1
; LDSByteSize: 0 bytes/workgroup (compile time only)
; SGPRBlocks: 0
; VGPRBlocks: 0
; NumSGPRsForWavesPerEU: 1
; NumVGPRsForWavesPerEU: 1
; Occupancy: 16
; WaveLimiterHint : 0
; COMPUTE_PGM_RSRC2:SCRATCH_EN: 0
; COMPUTE_PGM_RSRC2:USER_SGPR: 6
; COMPUTE_PGM_RSRC2:TRAP_HANDLER: 0
; COMPUTE_PGM_RSRC2:TGID_X_EN: 1
; COMPUTE_PGM_RSRC2:TGID_Y_EN: 0
; COMPUTE_PGM_RSRC2:TGID_Z_EN: 0
; COMPUTE_PGM_RSRC2:TIDIG_COMP_CNT: 0
	.section	.text._ZN7rocprim17ROCPRIM_400000_NS6detail17trampoline_kernelINS0_14default_configENS1_22reduce_config_selectorIN6thrust23THRUST_200600_302600_NS5tupleIblNS6_9null_typeES8_S8_S8_S8_S8_S8_S8_EEEEZNS1_11reduce_implILb1ES3_NS6_12zip_iteratorINS7_INS6_11hip_rocprim26transform_input_iterator_tIbNSD_35transform_pair_of_input_iterators_tIbNS6_6detail15normal_iteratorINS6_10device_ptrIKtEEEESL_NS6_8equal_toItEEEENSG_9not_fun_tINSD_8identityEEEEENSD_19counting_iterator_tIlEES8_S8_S8_S8_S8_S8_S8_S8_EEEEPS9_S9_NSD_9__find_if7functorIS9_EEEE10hipError_tPvRmT1_T2_T3_mT4_P12ihipStream_tbEUlT_E0_NS1_11comp_targetILNS1_3genE10ELNS1_11target_archE1200ELNS1_3gpuE4ELNS1_3repE0EEENS1_30default_config_static_selectorELNS0_4arch9wavefront6targetE0EEEvS14_,"axG",@progbits,_ZN7rocprim17ROCPRIM_400000_NS6detail17trampoline_kernelINS0_14default_configENS1_22reduce_config_selectorIN6thrust23THRUST_200600_302600_NS5tupleIblNS6_9null_typeES8_S8_S8_S8_S8_S8_S8_EEEEZNS1_11reduce_implILb1ES3_NS6_12zip_iteratorINS7_INS6_11hip_rocprim26transform_input_iterator_tIbNSD_35transform_pair_of_input_iterators_tIbNS6_6detail15normal_iteratorINS6_10device_ptrIKtEEEESL_NS6_8equal_toItEEEENSG_9not_fun_tINSD_8identityEEEEENSD_19counting_iterator_tIlEES8_S8_S8_S8_S8_S8_S8_S8_EEEEPS9_S9_NSD_9__find_if7functorIS9_EEEE10hipError_tPvRmT1_T2_T3_mT4_P12ihipStream_tbEUlT_E0_NS1_11comp_targetILNS1_3genE10ELNS1_11target_archE1200ELNS1_3gpuE4ELNS1_3repE0EEENS1_30default_config_static_selectorELNS0_4arch9wavefront6targetE0EEEvS14_,comdat
	.protected	_ZN7rocprim17ROCPRIM_400000_NS6detail17trampoline_kernelINS0_14default_configENS1_22reduce_config_selectorIN6thrust23THRUST_200600_302600_NS5tupleIblNS6_9null_typeES8_S8_S8_S8_S8_S8_S8_EEEEZNS1_11reduce_implILb1ES3_NS6_12zip_iteratorINS7_INS6_11hip_rocprim26transform_input_iterator_tIbNSD_35transform_pair_of_input_iterators_tIbNS6_6detail15normal_iteratorINS6_10device_ptrIKtEEEESL_NS6_8equal_toItEEEENSG_9not_fun_tINSD_8identityEEEEENSD_19counting_iterator_tIlEES8_S8_S8_S8_S8_S8_S8_S8_EEEEPS9_S9_NSD_9__find_if7functorIS9_EEEE10hipError_tPvRmT1_T2_T3_mT4_P12ihipStream_tbEUlT_E0_NS1_11comp_targetILNS1_3genE10ELNS1_11target_archE1200ELNS1_3gpuE4ELNS1_3repE0EEENS1_30default_config_static_selectorELNS0_4arch9wavefront6targetE0EEEvS14_ ; -- Begin function _ZN7rocprim17ROCPRIM_400000_NS6detail17trampoline_kernelINS0_14default_configENS1_22reduce_config_selectorIN6thrust23THRUST_200600_302600_NS5tupleIblNS6_9null_typeES8_S8_S8_S8_S8_S8_S8_EEEEZNS1_11reduce_implILb1ES3_NS6_12zip_iteratorINS7_INS6_11hip_rocprim26transform_input_iterator_tIbNSD_35transform_pair_of_input_iterators_tIbNS6_6detail15normal_iteratorINS6_10device_ptrIKtEEEESL_NS6_8equal_toItEEEENSG_9not_fun_tINSD_8identityEEEEENSD_19counting_iterator_tIlEES8_S8_S8_S8_S8_S8_S8_S8_EEEEPS9_S9_NSD_9__find_if7functorIS9_EEEE10hipError_tPvRmT1_T2_T3_mT4_P12ihipStream_tbEUlT_E0_NS1_11comp_targetILNS1_3genE10ELNS1_11target_archE1200ELNS1_3gpuE4ELNS1_3repE0EEENS1_30default_config_static_selectorELNS0_4arch9wavefront6targetE0EEEvS14_
	.globl	_ZN7rocprim17ROCPRIM_400000_NS6detail17trampoline_kernelINS0_14default_configENS1_22reduce_config_selectorIN6thrust23THRUST_200600_302600_NS5tupleIblNS6_9null_typeES8_S8_S8_S8_S8_S8_S8_EEEEZNS1_11reduce_implILb1ES3_NS6_12zip_iteratorINS7_INS6_11hip_rocprim26transform_input_iterator_tIbNSD_35transform_pair_of_input_iterators_tIbNS6_6detail15normal_iteratorINS6_10device_ptrIKtEEEESL_NS6_8equal_toItEEEENSG_9not_fun_tINSD_8identityEEEEENSD_19counting_iterator_tIlEES8_S8_S8_S8_S8_S8_S8_S8_EEEEPS9_S9_NSD_9__find_if7functorIS9_EEEE10hipError_tPvRmT1_T2_T3_mT4_P12ihipStream_tbEUlT_E0_NS1_11comp_targetILNS1_3genE10ELNS1_11target_archE1200ELNS1_3gpuE4ELNS1_3repE0EEENS1_30default_config_static_selectorELNS0_4arch9wavefront6targetE0EEEvS14_
	.p2align	8
	.type	_ZN7rocprim17ROCPRIM_400000_NS6detail17trampoline_kernelINS0_14default_configENS1_22reduce_config_selectorIN6thrust23THRUST_200600_302600_NS5tupleIblNS6_9null_typeES8_S8_S8_S8_S8_S8_S8_EEEEZNS1_11reduce_implILb1ES3_NS6_12zip_iteratorINS7_INS6_11hip_rocprim26transform_input_iterator_tIbNSD_35transform_pair_of_input_iterators_tIbNS6_6detail15normal_iteratorINS6_10device_ptrIKtEEEESL_NS6_8equal_toItEEEENSG_9not_fun_tINSD_8identityEEEEENSD_19counting_iterator_tIlEES8_S8_S8_S8_S8_S8_S8_S8_EEEEPS9_S9_NSD_9__find_if7functorIS9_EEEE10hipError_tPvRmT1_T2_T3_mT4_P12ihipStream_tbEUlT_E0_NS1_11comp_targetILNS1_3genE10ELNS1_11target_archE1200ELNS1_3gpuE4ELNS1_3repE0EEENS1_30default_config_static_selectorELNS0_4arch9wavefront6targetE0EEEvS14_,@function
_ZN7rocprim17ROCPRIM_400000_NS6detail17trampoline_kernelINS0_14default_configENS1_22reduce_config_selectorIN6thrust23THRUST_200600_302600_NS5tupleIblNS6_9null_typeES8_S8_S8_S8_S8_S8_S8_EEEEZNS1_11reduce_implILb1ES3_NS6_12zip_iteratorINS7_INS6_11hip_rocprim26transform_input_iterator_tIbNSD_35transform_pair_of_input_iterators_tIbNS6_6detail15normal_iteratorINS6_10device_ptrIKtEEEESL_NS6_8equal_toItEEEENSG_9not_fun_tINSD_8identityEEEEENSD_19counting_iterator_tIlEES8_S8_S8_S8_S8_S8_S8_S8_EEEEPS9_S9_NSD_9__find_if7functorIS9_EEEE10hipError_tPvRmT1_T2_T3_mT4_P12ihipStream_tbEUlT_E0_NS1_11comp_targetILNS1_3genE10ELNS1_11target_archE1200ELNS1_3gpuE4ELNS1_3repE0EEENS1_30default_config_static_selectorELNS0_4arch9wavefront6targetE0EEEvS14_: ; @_ZN7rocprim17ROCPRIM_400000_NS6detail17trampoline_kernelINS0_14default_configENS1_22reduce_config_selectorIN6thrust23THRUST_200600_302600_NS5tupleIblNS6_9null_typeES8_S8_S8_S8_S8_S8_S8_EEEEZNS1_11reduce_implILb1ES3_NS6_12zip_iteratorINS7_INS6_11hip_rocprim26transform_input_iterator_tIbNSD_35transform_pair_of_input_iterators_tIbNS6_6detail15normal_iteratorINS6_10device_ptrIKtEEEESL_NS6_8equal_toItEEEENSG_9not_fun_tINSD_8identityEEEEENSD_19counting_iterator_tIlEES8_S8_S8_S8_S8_S8_S8_S8_EEEEPS9_S9_NSD_9__find_if7functorIS9_EEEE10hipError_tPvRmT1_T2_T3_mT4_P12ihipStream_tbEUlT_E0_NS1_11comp_targetILNS1_3genE10ELNS1_11target_archE1200ELNS1_3gpuE4ELNS1_3repE0EEENS1_30default_config_static_selectorELNS0_4arch9wavefront6targetE0EEEvS14_
; %bb.0:
	.section	.rodata,"a",@progbits
	.p2align	6, 0x0
	.amdhsa_kernel _ZN7rocprim17ROCPRIM_400000_NS6detail17trampoline_kernelINS0_14default_configENS1_22reduce_config_selectorIN6thrust23THRUST_200600_302600_NS5tupleIblNS6_9null_typeES8_S8_S8_S8_S8_S8_S8_EEEEZNS1_11reduce_implILb1ES3_NS6_12zip_iteratorINS7_INS6_11hip_rocprim26transform_input_iterator_tIbNSD_35transform_pair_of_input_iterators_tIbNS6_6detail15normal_iteratorINS6_10device_ptrIKtEEEESL_NS6_8equal_toItEEEENSG_9not_fun_tINSD_8identityEEEEENSD_19counting_iterator_tIlEES8_S8_S8_S8_S8_S8_S8_S8_EEEEPS9_S9_NSD_9__find_if7functorIS9_EEEE10hipError_tPvRmT1_T2_T3_mT4_P12ihipStream_tbEUlT_E0_NS1_11comp_targetILNS1_3genE10ELNS1_11target_archE1200ELNS1_3gpuE4ELNS1_3repE0EEENS1_30default_config_static_selectorELNS0_4arch9wavefront6targetE0EEEvS14_
		.amdhsa_group_segment_fixed_size 0
		.amdhsa_private_segment_fixed_size 0
		.amdhsa_kernarg_size 104
		.amdhsa_user_sgpr_count 6
		.amdhsa_user_sgpr_private_segment_buffer 1
		.amdhsa_user_sgpr_dispatch_ptr 0
		.amdhsa_user_sgpr_queue_ptr 0
		.amdhsa_user_sgpr_kernarg_segment_ptr 1
		.amdhsa_user_sgpr_dispatch_id 0
		.amdhsa_user_sgpr_flat_scratch_init 0
		.amdhsa_user_sgpr_private_segment_size 0
		.amdhsa_wavefront_size32 1
		.amdhsa_uses_dynamic_stack 0
		.amdhsa_system_sgpr_private_segment_wavefront_offset 0
		.amdhsa_system_sgpr_workgroup_id_x 1
		.amdhsa_system_sgpr_workgroup_id_y 0
		.amdhsa_system_sgpr_workgroup_id_z 0
		.amdhsa_system_sgpr_workgroup_info 0
		.amdhsa_system_vgpr_workitem_id 0
		.amdhsa_next_free_vgpr 1
		.amdhsa_next_free_sgpr 1
		.amdhsa_reserve_vcc 0
		.amdhsa_reserve_flat_scratch 0
		.amdhsa_float_round_mode_32 0
		.amdhsa_float_round_mode_16_64 0
		.amdhsa_float_denorm_mode_32 3
		.amdhsa_float_denorm_mode_16_64 3
		.amdhsa_dx10_clamp 1
		.amdhsa_ieee_mode 1
		.amdhsa_fp16_overflow 0
		.amdhsa_workgroup_processor_mode 1
		.amdhsa_memory_ordered 1
		.amdhsa_forward_progress 1
		.amdhsa_shared_vgpr_count 0
		.amdhsa_exception_fp_ieee_invalid_op 0
		.amdhsa_exception_fp_denorm_src 0
		.amdhsa_exception_fp_ieee_div_zero 0
		.amdhsa_exception_fp_ieee_overflow 0
		.amdhsa_exception_fp_ieee_underflow 0
		.amdhsa_exception_fp_ieee_inexact 0
		.amdhsa_exception_int_div_zero 0
	.end_amdhsa_kernel
	.section	.text._ZN7rocprim17ROCPRIM_400000_NS6detail17trampoline_kernelINS0_14default_configENS1_22reduce_config_selectorIN6thrust23THRUST_200600_302600_NS5tupleIblNS6_9null_typeES8_S8_S8_S8_S8_S8_S8_EEEEZNS1_11reduce_implILb1ES3_NS6_12zip_iteratorINS7_INS6_11hip_rocprim26transform_input_iterator_tIbNSD_35transform_pair_of_input_iterators_tIbNS6_6detail15normal_iteratorINS6_10device_ptrIKtEEEESL_NS6_8equal_toItEEEENSG_9not_fun_tINSD_8identityEEEEENSD_19counting_iterator_tIlEES8_S8_S8_S8_S8_S8_S8_S8_EEEEPS9_S9_NSD_9__find_if7functorIS9_EEEE10hipError_tPvRmT1_T2_T3_mT4_P12ihipStream_tbEUlT_E0_NS1_11comp_targetILNS1_3genE10ELNS1_11target_archE1200ELNS1_3gpuE4ELNS1_3repE0EEENS1_30default_config_static_selectorELNS0_4arch9wavefront6targetE0EEEvS14_,"axG",@progbits,_ZN7rocprim17ROCPRIM_400000_NS6detail17trampoline_kernelINS0_14default_configENS1_22reduce_config_selectorIN6thrust23THRUST_200600_302600_NS5tupleIblNS6_9null_typeES8_S8_S8_S8_S8_S8_S8_EEEEZNS1_11reduce_implILb1ES3_NS6_12zip_iteratorINS7_INS6_11hip_rocprim26transform_input_iterator_tIbNSD_35transform_pair_of_input_iterators_tIbNS6_6detail15normal_iteratorINS6_10device_ptrIKtEEEESL_NS6_8equal_toItEEEENSG_9not_fun_tINSD_8identityEEEEENSD_19counting_iterator_tIlEES8_S8_S8_S8_S8_S8_S8_S8_EEEEPS9_S9_NSD_9__find_if7functorIS9_EEEE10hipError_tPvRmT1_T2_T3_mT4_P12ihipStream_tbEUlT_E0_NS1_11comp_targetILNS1_3genE10ELNS1_11target_archE1200ELNS1_3gpuE4ELNS1_3repE0EEENS1_30default_config_static_selectorELNS0_4arch9wavefront6targetE0EEEvS14_,comdat
.Lfunc_end194:
	.size	_ZN7rocprim17ROCPRIM_400000_NS6detail17trampoline_kernelINS0_14default_configENS1_22reduce_config_selectorIN6thrust23THRUST_200600_302600_NS5tupleIblNS6_9null_typeES8_S8_S8_S8_S8_S8_S8_EEEEZNS1_11reduce_implILb1ES3_NS6_12zip_iteratorINS7_INS6_11hip_rocprim26transform_input_iterator_tIbNSD_35transform_pair_of_input_iterators_tIbNS6_6detail15normal_iteratorINS6_10device_ptrIKtEEEESL_NS6_8equal_toItEEEENSG_9not_fun_tINSD_8identityEEEEENSD_19counting_iterator_tIlEES8_S8_S8_S8_S8_S8_S8_S8_EEEEPS9_S9_NSD_9__find_if7functorIS9_EEEE10hipError_tPvRmT1_T2_T3_mT4_P12ihipStream_tbEUlT_E0_NS1_11comp_targetILNS1_3genE10ELNS1_11target_archE1200ELNS1_3gpuE4ELNS1_3repE0EEENS1_30default_config_static_selectorELNS0_4arch9wavefront6targetE0EEEvS14_, .Lfunc_end194-_ZN7rocprim17ROCPRIM_400000_NS6detail17trampoline_kernelINS0_14default_configENS1_22reduce_config_selectorIN6thrust23THRUST_200600_302600_NS5tupleIblNS6_9null_typeES8_S8_S8_S8_S8_S8_S8_EEEEZNS1_11reduce_implILb1ES3_NS6_12zip_iteratorINS7_INS6_11hip_rocprim26transform_input_iterator_tIbNSD_35transform_pair_of_input_iterators_tIbNS6_6detail15normal_iteratorINS6_10device_ptrIKtEEEESL_NS6_8equal_toItEEEENSG_9not_fun_tINSD_8identityEEEEENSD_19counting_iterator_tIlEES8_S8_S8_S8_S8_S8_S8_S8_EEEEPS9_S9_NSD_9__find_if7functorIS9_EEEE10hipError_tPvRmT1_T2_T3_mT4_P12ihipStream_tbEUlT_E0_NS1_11comp_targetILNS1_3genE10ELNS1_11target_archE1200ELNS1_3gpuE4ELNS1_3repE0EEENS1_30default_config_static_selectorELNS0_4arch9wavefront6targetE0EEEvS14_
                                        ; -- End function
	.set _ZN7rocprim17ROCPRIM_400000_NS6detail17trampoline_kernelINS0_14default_configENS1_22reduce_config_selectorIN6thrust23THRUST_200600_302600_NS5tupleIblNS6_9null_typeES8_S8_S8_S8_S8_S8_S8_EEEEZNS1_11reduce_implILb1ES3_NS6_12zip_iteratorINS7_INS6_11hip_rocprim26transform_input_iterator_tIbNSD_35transform_pair_of_input_iterators_tIbNS6_6detail15normal_iteratorINS6_10device_ptrIKtEEEESL_NS6_8equal_toItEEEENSG_9not_fun_tINSD_8identityEEEEENSD_19counting_iterator_tIlEES8_S8_S8_S8_S8_S8_S8_S8_EEEEPS9_S9_NSD_9__find_if7functorIS9_EEEE10hipError_tPvRmT1_T2_T3_mT4_P12ihipStream_tbEUlT_E0_NS1_11comp_targetILNS1_3genE10ELNS1_11target_archE1200ELNS1_3gpuE4ELNS1_3repE0EEENS1_30default_config_static_selectorELNS0_4arch9wavefront6targetE0EEEvS14_.num_vgpr, 0
	.set _ZN7rocprim17ROCPRIM_400000_NS6detail17trampoline_kernelINS0_14default_configENS1_22reduce_config_selectorIN6thrust23THRUST_200600_302600_NS5tupleIblNS6_9null_typeES8_S8_S8_S8_S8_S8_S8_EEEEZNS1_11reduce_implILb1ES3_NS6_12zip_iteratorINS7_INS6_11hip_rocprim26transform_input_iterator_tIbNSD_35transform_pair_of_input_iterators_tIbNS6_6detail15normal_iteratorINS6_10device_ptrIKtEEEESL_NS6_8equal_toItEEEENSG_9not_fun_tINSD_8identityEEEEENSD_19counting_iterator_tIlEES8_S8_S8_S8_S8_S8_S8_S8_EEEEPS9_S9_NSD_9__find_if7functorIS9_EEEE10hipError_tPvRmT1_T2_T3_mT4_P12ihipStream_tbEUlT_E0_NS1_11comp_targetILNS1_3genE10ELNS1_11target_archE1200ELNS1_3gpuE4ELNS1_3repE0EEENS1_30default_config_static_selectorELNS0_4arch9wavefront6targetE0EEEvS14_.num_agpr, 0
	.set _ZN7rocprim17ROCPRIM_400000_NS6detail17trampoline_kernelINS0_14default_configENS1_22reduce_config_selectorIN6thrust23THRUST_200600_302600_NS5tupleIblNS6_9null_typeES8_S8_S8_S8_S8_S8_S8_EEEEZNS1_11reduce_implILb1ES3_NS6_12zip_iteratorINS7_INS6_11hip_rocprim26transform_input_iterator_tIbNSD_35transform_pair_of_input_iterators_tIbNS6_6detail15normal_iteratorINS6_10device_ptrIKtEEEESL_NS6_8equal_toItEEEENSG_9not_fun_tINSD_8identityEEEEENSD_19counting_iterator_tIlEES8_S8_S8_S8_S8_S8_S8_S8_EEEEPS9_S9_NSD_9__find_if7functorIS9_EEEE10hipError_tPvRmT1_T2_T3_mT4_P12ihipStream_tbEUlT_E0_NS1_11comp_targetILNS1_3genE10ELNS1_11target_archE1200ELNS1_3gpuE4ELNS1_3repE0EEENS1_30default_config_static_selectorELNS0_4arch9wavefront6targetE0EEEvS14_.numbered_sgpr, 0
	.set _ZN7rocprim17ROCPRIM_400000_NS6detail17trampoline_kernelINS0_14default_configENS1_22reduce_config_selectorIN6thrust23THRUST_200600_302600_NS5tupleIblNS6_9null_typeES8_S8_S8_S8_S8_S8_S8_EEEEZNS1_11reduce_implILb1ES3_NS6_12zip_iteratorINS7_INS6_11hip_rocprim26transform_input_iterator_tIbNSD_35transform_pair_of_input_iterators_tIbNS6_6detail15normal_iteratorINS6_10device_ptrIKtEEEESL_NS6_8equal_toItEEEENSG_9not_fun_tINSD_8identityEEEEENSD_19counting_iterator_tIlEES8_S8_S8_S8_S8_S8_S8_S8_EEEEPS9_S9_NSD_9__find_if7functorIS9_EEEE10hipError_tPvRmT1_T2_T3_mT4_P12ihipStream_tbEUlT_E0_NS1_11comp_targetILNS1_3genE10ELNS1_11target_archE1200ELNS1_3gpuE4ELNS1_3repE0EEENS1_30default_config_static_selectorELNS0_4arch9wavefront6targetE0EEEvS14_.num_named_barrier, 0
	.set _ZN7rocprim17ROCPRIM_400000_NS6detail17trampoline_kernelINS0_14default_configENS1_22reduce_config_selectorIN6thrust23THRUST_200600_302600_NS5tupleIblNS6_9null_typeES8_S8_S8_S8_S8_S8_S8_EEEEZNS1_11reduce_implILb1ES3_NS6_12zip_iteratorINS7_INS6_11hip_rocprim26transform_input_iterator_tIbNSD_35transform_pair_of_input_iterators_tIbNS6_6detail15normal_iteratorINS6_10device_ptrIKtEEEESL_NS6_8equal_toItEEEENSG_9not_fun_tINSD_8identityEEEEENSD_19counting_iterator_tIlEES8_S8_S8_S8_S8_S8_S8_S8_EEEEPS9_S9_NSD_9__find_if7functorIS9_EEEE10hipError_tPvRmT1_T2_T3_mT4_P12ihipStream_tbEUlT_E0_NS1_11comp_targetILNS1_3genE10ELNS1_11target_archE1200ELNS1_3gpuE4ELNS1_3repE0EEENS1_30default_config_static_selectorELNS0_4arch9wavefront6targetE0EEEvS14_.private_seg_size, 0
	.set _ZN7rocprim17ROCPRIM_400000_NS6detail17trampoline_kernelINS0_14default_configENS1_22reduce_config_selectorIN6thrust23THRUST_200600_302600_NS5tupleIblNS6_9null_typeES8_S8_S8_S8_S8_S8_S8_EEEEZNS1_11reduce_implILb1ES3_NS6_12zip_iteratorINS7_INS6_11hip_rocprim26transform_input_iterator_tIbNSD_35transform_pair_of_input_iterators_tIbNS6_6detail15normal_iteratorINS6_10device_ptrIKtEEEESL_NS6_8equal_toItEEEENSG_9not_fun_tINSD_8identityEEEEENSD_19counting_iterator_tIlEES8_S8_S8_S8_S8_S8_S8_S8_EEEEPS9_S9_NSD_9__find_if7functorIS9_EEEE10hipError_tPvRmT1_T2_T3_mT4_P12ihipStream_tbEUlT_E0_NS1_11comp_targetILNS1_3genE10ELNS1_11target_archE1200ELNS1_3gpuE4ELNS1_3repE0EEENS1_30default_config_static_selectorELNS0_4arch9wavefront6targetE0EEEvS14_.uses_vcc, 0
	.set _ZN7rocprim17ROCPRIM_400000_NS6detail17trampoline_kernelINS0_14default_configENS1_22reduce_config_selectorIN6thrust23THRUST_200600_302600_NS5tupleIblNS6_9null_typeES8_S8_S8_S8_S8_S8_S8_EEEEZNS1_11reduce_implILb1ES3_NS6_12zip_iteratorINS7_INS6_11hip_rocprim26transform_input_iterator_tIbNSD_35transform_pair_of_input_iterators_tIbNS6_6detail15normal_iteratorINS6_10device_ptrIKtEEEESL_NS6_8equal_toItEEEENSG_9not_fun_tINSD_8identityEEEEENSD_19counting_iterator_tIlEES8_S8_S8_S8_S8_S8_S8_S8_EEEEPS9_S9_NSD_9__find_if7functorIS9_EEEE10hipError_tPvRmT1_T2_T3_mT4_P12ihipStream_tbEUlT_E0_NS1_11comp_targetILNS1_3genE10ELNS1_11target_archE1200ELNS1_3gpuE4ELNS1_3repE0EEENS1_30default_config_static_selectorELNS0_4arch9wavefront6targetE0EEEvS14_.uses_flat_scratch, 0
	.set _ZN7rocprim17ROCPRIM_400000_NS6detail17trampoline_kernelINS0_14default_configENS1_22reduce_config_selectorIN6thrust23THRUST_200600_302600_NS5tupleIblNS6_9null_typeES8_S8_S8_S8_S8_S8_S8_EEEEZNS1_11reduce_implILb1ES3_NS6_12zip_iteratorINS7_INS6_11hip_rocprim26transform_input_iterator_tIbNSD_35transform_pair_of_input_iterators_tIbNS6_6detail15normal_iteratorINS6_10device_ptrIKtEEEESL_NS6_8equal_toItEEEENSG_9not_fun_tINSD_8identityEEEEENSD_19counting_iterator_tIlEES8_S8_S8_S8_S8_S8_S8_S8_EEEEPS9_S9_NSD_9__find_if7functorIS9_EEEE10hipError_tPvRmT1_T2_T3_mT4_P12ihipStream_tbEUlT_E0_NS1_11comp_targetILNS1_3genE10ELNS1_11target_archE1200ELNS1_3gpuE4ELNS1_3repE0EEENS1_30default_config_static_selectorELNS0_4arch9wavefront6targetE0EEEvS14_.has_dyn_sized_stack, 0
	.set _ZN7rocprim17ROCPRIM_400000_NS6detail17trampoline_kernelINS0_14default_configENS1_22reduce_config_selectorIN6thrust23THRUST_200600_302600_NS5tupleIblNS6_9null_typeES8_S8_S8_S8_S8_S8_S8_EEEEZNS1_11reduce_implILb1ES3_NS6_12zip_iteratorINS7_INS6_11hip_rocprim26transform_input_iterator_tIbNSD_35transform_pair_of_input_iterators_tIbNS6_6detail15normal_iteratorINS6_10device_ptrIKtEEEESL_NS6_8equal_toItEEEENSG_9not_fun_tINSD_8identityEEEEENSD_19counting_iterator_tIlEES8_S8_S8_S8_S8_S8_S8_S8_EEEEPS9_S9_NSD_9__find_if7functorIS9_EEEE10hipError_tPvRmT1_T2_T3_mT4_P12ihipStream_tbEUlT_E0_NS1_11comp_targetILNS1_3genE10ELNS1_11target_archE1200ELNS1_3gpuE4ELNS1_3repE0EEENS1_30default_config_static_selectorELNS0_4arch9wavefront6targetE0EEEvS14_.has_recursion, 0
	.set _ZN7rocprim17ROCPRIM_400000_NS6detail17trampoline_kernelINS0_14default_configENS1_22reduce_config_selectorIN6thrust23THRUST_200600_302600_NS5tupleIblNS6_9null_typeES8_S8_S8_S8_S8_S8_S8_EEEEZNS1_11reduce_implILb1ES3_NS6_12zip_iteratorINS7_INS6_11hip_rocprim26transform_input_iterator_tIbNSD_35transform_pair_of_input_iterators_tIbNS6_6detail15normal_iteratorINS6_10device_ptrIKtEEEESL_NS6_8equal_toItEEEENSG_9not_fun_tINSD_8identityEEEEENSD_19counting_iterator_tIlEES8_S8_S8_S8_S8_S8_S8_S8_EEEEPS9_S9_NSD_9__find_if7functorIS9_EEEE10hipError_tPvRmT1_T2_T3_mT4_P12ihipStream_tbEUlT_E0_NS1_11comp_targetILNS1_3genE10ELNS1_11target_archE1200ELNS1_3gpuE4ELNS1_3repE0EEENS1_30default_config_static_selectorELNS0_4arch9wavefront6targetE0EEEvS14_.has_indirect_call, 0
	.section	.AMDGPU.csdata,"",@progbits
; Kernel info:
; codeLenInByte = 0
; TotalNumSgprs: 0
; NumVgprs: 0
; ScratchSize: 0
; MemoryBound: 0
; FloatMode: 240
; IeeeMode: 1
; LDSByteSize: 0 bytes/workgroup (compile time only)
; SGPRBlocks: 0
; VGPRBlocks: 0
; NumSGPRsForWavesPerEU: 1
; NumVGPRsForWavesPerEU: 1
; Occupancy: 16
; WaveLimiterHint : 0
; COMPUTE_PGM_RSRC2:SCRATCH_EN: 0
; COMPUTE_PGM_RSRC2:USER_SGPR: 6
; COMPUTE_PGM_RSRC2:TRAP_HANDLER: 0
; COMPUTE_PGM_RSRC2:TGID_X_EN: 1
; COMPUTE_PGM_RSRC2:TGID_Y_EN: 0
; COMPUTE_PGM_RSRC2:TGID_Z_EN: 0
; COMPUTE_PGM_RSRC2:TIDIG_COMP_CNT: 0
	.section	.text._ZN7rocprim17ROCPRIM_400000_NS6detail17trampoline_kernelINS0_14default_configENS1_22reduce_config_selectorIN6thrust23THRUST_200600_302600_NS5tupleIblNS6_9null_typeES8_S8_S8_S8_S8_S8_S8_EEEEZNS1_11reduce_implILb1ES3_NS6_12zip_iteratorINS7_INS6_11hip_rocprim26transform_input_iterator_tIbNSD_35transform_pair_of_input_iterators_tIbNS6_6detail15normal_iteratorINS6_10device_ptrIKtEEEESL_NS6_8equal_toItEEEENSG_9not_fun_tINSD_8identityEEEEENSD_19counting_iterator_tIlEES8_S8_S8_S8_S8_S8_S8_S8_EEEEPS9_S9_NSD_9__find_if7functorIS9_EEEE10hipError_tPvRmT1_T2_T3_mT4_P12ihipStream_tbEUlT_E0_NS1_11comp_targetILNS1_3genE9ELNS1_11target_archE1100ELNS1_3gpuE3ELNS1_3repE0EEENS1_30default_config_static_selectorELNS0_4arch9wavefront6targetE0EEEvS14_,"axG",@progbits,_ZN7rocprim17ROCPRIM_400000_NS6detail17trampoline_kernelINS0_14default_configENS1_22reduce_config_selectorIN6thrust23THRUST_200600_302600_NS5tupleIblNS6_9null_typeES8_S8_S8_S8_S8_S8_S8_EEEEZNS1_11reduce_implILb1ES3_NS6_12zip_iteratorINS7_INS6_11hip_rocprim26transform_input_iterator_tIbNSD_35transform_pair_of_input_iterators_tIbNS6_6detail15normal_iteratorINS6_10device_ptrIKtEEEESL_NS6_8equal_toItEEEENSG_9not_fun_tINSD_8identityEEEEENSD_19counting_iterator_tIlEES8_S8_S8_S8_S8_S8_S8_S8_EEEEPS9_S9_NSD_9__find_if7functorIS9_EEEE10hipError_tPvRmT1_T2_T3_mT4_P12ihipStream_tbEUlT_E0_NS1_11comp_targetILNS1_3genE9ELNS1_11target_archE1100ELNS1_3gpuE3ELNS1_3repE0EEENS1_30default_config_static_selectorELNS0_4arch9wavefront6targetE0EEEvS14_,comdat
	.protected	_ZN7rocprim17ROCPRIM_400000_NS6detail17trampoline_kernelINS0_14default_configENS1_22reduce_config_selectorIN6thrust23THRUST_200600_302600_NS5tupleIblNS6_9null_typeES8_S8_S8_S8_S8_S8_S8_EEEEZNS1_11reduce_implILb1ES3_NS6_12zip_iteratorINS7_INS6_11hip_rocprim26transform_input_iterator_tIbNSD_35transform_pair_of_input_iterators_tIbNS6_6detail15normal_iteratorINS6_10device_ptrIKtEEEESL_NS6_8equal_toItEEEENSG_9not_fun_tINSD_8identityEEEEENSD_19counting_iterator_tIlEES8_S8_S8_S8_S8_S8_S8_S8_EEEEPS9_S9_NSD_9__find_if7functorIS9_EEEE10hipError_tPvRmT1_T2_T3_mT4_P12ihipStream_tbEUlT_E0_NS1_11comp_targetILNS1_3genE9ELNS1_11target_archE1100ELNS1_3gpuE3ELNS1_3repE0EEENS1_30default_config_static_selectorELNS0_4arch9wavefront6targetE0EEEvS14_ ; -- Begin function _ZN7rocprim17ROCPRIM_400000_NS6detail17trampoline_kernelINS0_14default_configENS1_22reduce_config_selectorIN6thrust23THRUST_200600_302600_NS5tupleIblNS6_9null_typeES8_S8_S8_S8_S8_S8_S8_EEEEZNS1_11reduce_implILb1ES3_NS6_12zip_iteratorINS7_INS6_11hip_rocprim26transform_input_iterator_tIbNSD_35transform_pair_of_input_iterators_tIbNS6_6detail15normal_iteratorINS6_10device_ptrIKtEEEESL_NS6_8equal_toItEEEENSG_9not_fun_tINSD_8identityEEEEENSD_19counting_iterator_tIlEES8_S8_S8_S8_S8_S8_S8_S8_EEEEPS9_S9_NSD_9__find_if7functorIS9_EEEE10hipError_tPvRmT1_T2_T3_mT4_P12ihipStream_tbEUlT_E0_NS1_11comp_targetILNS1_3genE9ELNS1_11target_archE1100ELNS1_3gpuE3ELNS1_3repE0EEENS1_30default_config_static_selectorELNS0_4arch9wavefront6targetE0EEEvS14_
	.globl	_ZN7rocprim17ROCPRIM_400000_NS6detail17trampoline_kernelINS0_14default_configENS1_22reduce_config_selectorIN6thrust23THRUST_200600_302600_NS5tupleIblNS6_9null_typeES8_S8_S8_S8_S8_S8_S8_EEEEZNS1_11reduce_implILb1ES3_NS6_12zip_iteratorINS7_INS6_11hip_rocprim26transform_input_iterator_tIbNSD_35transform_pair_of_input_iterators_tIbNS6_6detail15normal_iteratorINS6_10device_ptrIKtEEEESL_NS6_8equal_toItEEEENSG_9not_fun_tINSD_8identityEEEEENSD_19counting_iterator_tIlEES8_S8_S8_S8_S8_S8_S8_S8_EEEEPS9_S9_NSD_9__find_if7functorIS9_EEEE10hipError_tPvRmT1_T2_T3_mT4_P12ihipStream_tbEUlT_E0_NS1_11comp_targetILNS1_3genE9ELNS1_11target_archE1100ELNS1_3gpuE3ELNS1_3repE0EEENS1_30default_config_static_selectorELNS0_4arch9wavefront6targetE0EEEvS14_
	.p2align	8
	.type	_ZN7rocprim17ROCPRIM_400000_NS6detail17trampoline_kernelINS0_14default_configENS1_22reduce_config_selectorIN6thrust23THRUST_200600_302600_NS5tupleIblNS6_9null_typeES8_S8_S8_S8_S8_S8_S8_EEEEZNS1_11reduce_implILb1ES3_NS6_12zip_iteratorINS7_INS6_11hip_rocprim26transform_input_iterator_tIbNSD_35transform_pair_of_input_iterators_tIbNS6_6detail15normal_iteratorINS6_10device_ptrIKtEEEESL_NS6_8equal_toItEEEENSG_9not_fun_tINSD_8identityEEEEENSD_19counting_iterator_tIlEES8_S8_S8_S8_S8_S8_S8_S8_EEEEPS9_S9_NSD_9__find_if7functorIS9_EEEE10hipError_tPvRmT1_T2_T3_mT4_P12ihipStream_tbEUlT_E0_NS1_11comp_targetILNS1_3genE9ELNS1_11target_archE1100ELNS1_3gpuE3ELNS1_3repE0EEENS1_30default_config_static_selectorELNS0_4arch9wavefront6targetE0EEEvS14_,@function
_ZN7rocprim17ROCPRIM_400000_NS6detail17trampoline_kernelINS0_14default_configENS1_22reduce_config_selectorIN6thrust23THRUST_200600_302600_NS5tupleIblNS6_9null_typeES8_S8_S8_S8_S8_S8_S8_EEEEZNS1_11reduce_implILb1ES3_NS6_12zip_iteratorINS7_INS6_11hip_rocprim26transform_input_iterator_tIbNSD_35transform_pair_of_input_iterators_tIbNS6_6detail15normal_iteratorINS6_10device_ptrIKtEEEESL_NS6_8equal_toItEEEENSG_9not_fun_tINSD_8identityEEEEENSD_19counting_iterator_tIlEES8_S8_S8_S8_S8_S8_S8_S8_EEEEPS9_S9_NSD_9__find_if7functorIS9_EEEE10hipError_tPvRmT1_T2_T3_mT4_P12ihipStream_tbEUlT_E0_NS1_11comp_targetILNS1_3genE9ELNS1_11target_archE1100ELNS1_3gpuE3ELNS1_3repE0EEENS1_30default_config_static_selectorELNS0_4arch9wavefront6targetE0EEEvS14_: ; @_ZN7rocprim17ROCPRIM_400000_NS6detail17trampoline_kernelINS0_14default_configENS1_22reduce_config_selectorIN6thrust23THRUST_200600_302600_NS5tupleIblNS6_9null_typeES8_S8_S8_S8_S8_S8_S8_EEEEZNS1_11reduce_implILb1ES3_NS6_12zip_iteratorINS7_INS6_11hip_rocprim26transform_input_iterator_tIbNSD_35transform_pair_of_input_iterators_tIbNS6_6detail15normal_iteratorINS6_10device_ptrIKtEEEESL_NS6_8equal_toItEEEENSG_9not_fun_tINSD_8identityEEEEENSD_19counting_iterator_tIlEES8_S8_S8_S8_S8_S8_S8_S8_EEEEPS9_S9_NSD_9__find_if7functorIS9_EEEE10hipError_tPvRmT1_T2_T3_mT4_P12ihipStream_tbEUlT_E0_NS1_11comp_targetILNS1_3genE9ELNS1_11target_archE1100ELNS1_3gpuE3ELNS1_3repE0EEENS1_30default_config_static_selectorELNS0_4arch9wavefront6targetE0EEEvS14_
; %bb.0:
	.section	.rodata,"a",@progbits
	.p2align	6, 0x0
	.amdhsa_kernel _ZN7rocprim17ROCPRIM_400000_NS6detail17trampoline_kernelINS0_14default_configENS1_22reduce_config_selectorIN6thrust23THRUST_200600_302600_NS5tupleIblNS6_9null_typeES8_S8_S8_S8_S8_S8_S8_EEEEZNS1_11reduce_implILb1ES3_NS6_12zip_iteratorINS7_INS6_11hip_rocprim26transform_input_iterator_tIbNSD_35transform_pair_of_input_iterators_tIbNS6_6detail15normal_iteratorINS6_10device_ptrIKtEEEESL_NS6_8equal_toItEEEENSG_9not_fun_tINSD_8identityEEEEENSD_19counting_iterator_tIlEES8_S8_S8_S8_S8_S8_S8_S8_EEEEPS9_S9_NSD_9__find_if7functorIS9_EEEE10hipError_tPvRmT1_T2_T3_mT4_P12ihipStream_tbEUlT_E0_NS1_11comp_targetILNS1_3genE9ELNS1_11target_archE1100ELNS1_3gpuE3ELNS1_3repE0EEENS1_30default_config_static_selectorELNS0_4arch9wavefront6targetE0EEEvS14_
		.amdhsa_group_segment_fixed_size 0
		.amdhsa_private_segment_fixed_size 0
		.amdhsa_kernarg_size 104
		.amdhsa_user_sgpr_count 6
		.amdhsa_user_sgpr_private_segment_buffer 1
		.amdhsa_user_sgpr_dispatch_ptr 0
		.amdhsa_user_sgpr_queue_ptr 0
		.amdhsa_user_sgpr_kernarg_segment_ptr 1
		.amdhsa_user_sgpr_dispatch_id 0
		.amdhsa_user_sgpr_flat_scratch_init 0
		.amdhsa_user_sgpr_private_segment_size 0
		.amdhsa_wavefront_size32 1
		.amdhsa_uses_dynamic_stack 0
		.amdhsa_system_sgpr_private_segment_wavefront_offset 0
		.amdhsa_system_sgpr_workgroup_id_x 1
		.amdhsa_system_sgpr_workgroup_id_y 0
		.amdhsa_system_sgpr_workgroup_id_z 0
		.amdhsa_system_sgpr_workgroup_info 0
		.amdhsa_system_vgpr_workitem_id 0
		.amdhsa_next_free_vgpr 1
		.amdhsa_next_free_sgpr 1
		.amdhsa_reserve_vcc 0
		.amdhsa_reserve_flat_scratch 0
		.amdhsa_float_round_mode_32 0
		.amdhsa_float_round_mode_16_64 0
		.amdhsa_float_denorm_mode_32 3
		.amdhsa_float_denorm_mode_16_64 3
		.amdhsa_dx10_clamp 1
		.amdhsa_ieee_mode 1
		.amdhsa_fp16_overflow 0
		.amdhsa_workgroup_processor_mode 1
		.amdhsa_memory_ordered 1
		.amdhsa_forward_progress 1
		.amdhsa_shared_vgpr_count 0
		.amdhsa_exception_fp_ieee_invalid_op 0
		.amdhsa_exception_fp_denorm_src 0
		.amdhsa_exception_fp_ieee_div_zero 0
		.amdhsa_exception_fp_ieee_overflow 0
		.amdhsa_exception_fp_ieee_underflow 0
		.amdhsa_exception_fp_ieee_inexact 0
		.amdhsa_exception_int_div_zero 0
	.end_amdhsa_kernel
	.section	.text._ZN7rocprim17ROCPRIM_400000_NS6detail17trampoline_kernelINS0_14default_configENS1_22reduce_config_selectorIN6thrust23THRUST_200600_302600_NS5tupleIblNS6_9null_typeES8_S8_S8_S8_S8_S8_S8_EEEEZNS1_11reduce_implILb1ES3_NS6_12zip_iteratorINS7_INS6_11hip_rocprim26transform_input_iterator_tIbNSD_35transform_pair_of_input_iterators_tIbNS6_6detail15normal_iteratorINS6_10device_ptrIKtEEEESL_NS6_8equal_toItEEEENSG_9not_fun_tINSD_8identityEEEEENSD_19counting_iterator_tIlEES8_S8_S8_S8_S8_S8_S8_S8_EEEEPS9_S9_NSD_9__find_if7functorIS9_EEEE10hipError_tPvRmT1_T2_T3_mT4_P12ihipStream_tbEUlT_E0_NS1_11comp_targetILNS1_3genE9ELNS1_11target_archE1100ELNS1_3gpuE3ELNS1_3repE0EEENS1_30default_config_static_selectorELNS0_4arch9wavefront6targetE0EEEvS14_,"axG",@progbits,_ZN7rocprim17ROCPRIM_400000_NS6detail17trampoline_kernelINS0_14default_configENS1_22reduce_config_selectorIN6thrust23THRUST_200600_302600_NS5tupleIblNS6_9null_typeES8_S8_S8_S8_S8_S8_S8_EEEEZNS1_11reduce_implILb1ES3_NS6_12zip_iteratorINS7_INS6_11hip_rocprim26transform_input_iterator_tIbNSD_35transform_pair_of_input_iterators_tIbNS6_6detail15normal_iteratorINS6_10device_ptrIKtEEEESL_NS6_8equal_toItEEEENSG_9not_fun_tINSD_8identityEEEEENSD_19counting_iterator_tIlEES8_S8_S8_S8_S8_S8_S8_S8_EEEEPS9_S9_NSD_9__find_if7functorIS9_EEEE10hipError_tPvRmT1_T2_T3_mT4_P12ihipStream_tbEUlT_E0_NS1_11comp_targetILNS1_3genE9ELNS1_11target_archE1100ELNS1_3gpuE3ELNS1_3repE0EEENS1_30default_config_static_selectorELNS0_4arch9wavefront6targetE0EEEvS14_,comdat
.Lfunc_end195:
	.size	_ZN7rocprim17ROCPRIM_400000_NS6detail17trampoline_kernelINS0_14default_configENS1_22reduce_config_selectorIN6thrust23THRUST_200600_302600_NS5tupleIblNS6_9null_typeES8_S8_S8_S8_S8_S8_S8_EEEEZNS1_11reduce_implILb1ES3_NS6_12zip_iteratorINS7_INS6_11hip_rocprim26transform_input_iterator_tIbNSD_35transform_pair_of_input_iterators_tIbNS6_6detail15normal_iteratorINS6_10device_ptrIKtEEEESL_NS6_8equal_toItEEEENSG_9not_fun_tINSD_8identityEEEEENSD_19counting_iterator_tIlEES8_S8_S8_S8_S8_S8_S8_S8_EEEEPS9_S9_NSD_9__find_if7functorIS9_EEEE10hipError_tPvRmT1_T2_T3_mT4_P12ihipStream_tbEUlT_E0_NS1_11comp_targetILNS1_3genE9ELNS1_11target_archE1100ELNS1_3gpuE3ELNS1_3repE0EEENS1_30default_config_static_selectorELNS0_4arch9wavefront6targetE0EEEvS14_, .Lfunc_end195-_ZN7rocprim17ROCPRIM_400000_NS6detail17trampoline_kernelINS0_14default_configENS1_22reduce_config_selectorIN6thrust23THRUST_200600_302600_NS5tupleIblNS6_9null_typeES8_S8_S8_S8_S8_S8_S8_EEEEZNS1_11reduce_implILb1ES3_NS6_12zip_iteratorINS7_INS6_11hip_rocprim26transform_input_iterator_tIbNSD_35transform_pair_of_input_iterators_tIbNS6_6detail15normal_iteratorINS6_10device_ptrIKtEEEESL_NS6_8equal_toItEEEENSG_9not_fun_tINSD_8identityEEEEENSD_19counting_iterator_tIlEES8_S8_S8_S8_S8_S8_S8_S8_EEEEPS9_S9_NSD_9__find_if7functorIS9_EEEE10hipError_tPvRmT1_T2_T3_mT4_P12ihipStream_tbEUlT_E0_NS1_11comp_targetILNS1_3genE9ELNS1_11target_archE1100ELNS1_3gpuE3ELNS1_3repE0EEENS1_30default_config_static_selectorELNS0_4arch9wavefront6targetE0EEEvS14_
                                        ; -- End function
	.set _ZN7rocprim17ROCPRIM_400000_NS6detail17trampoline_kernelINS0_14default_configENS1_22reduce_config_selectorIN6thrust23THRUST_200600_302600_NS5tupleIblNS6_9null_typeES8_S8_S8_S8_S8_S8_S8_EEEEZNS1_11reduce_implILb1ES3_NS6_12zip_iteratorINS7_INS6_11hip_rocprim26transform_input_iterator_tIbNSD_35transform_pair_of_input_iterators_tIbNS6_6detail15normal_iteratorINS6_10device_ptrIKtEEEESL_NS6_8equal_toItEEEENSG_9not_fun_tINSD_8identityEEEEENSD_19counting_iterator_tIlEES8_S8_S8_S8_S8_S8_S8_S8_EEEEPS9_S9_NSD_9__find_if7functorIS9_EEEE10hipError_tPvRmT1_T2_T3_mT4_P12ihipStream_tbEUlT_E0_NS1_11comp_targetILNS1_3genE9ELNS1_11target_archE1100ELNS1_3gpuE3ELNS1_3repE0EEENS1_30default_config_static_selectorELNS0_4arch9wavefront6targetE0EEEvS14_.num_vgpr, 0
	.set _ZN7rocprim17ROCPRIM_400000_NS6detail17trampoline_kernelINS0_14default_configENS1_22reduce_config_selectorIN6thrust23THRUST_200600_302600_NS5tupleIblNS6_9null_typeES8_S8_S8_S8_S8_S8_S8_EEEEZNS1_11reduce_implILb1ES3_NS6_12zip_iteratorINS7_INS6_11hip_rocprim26transform_input_iterator_tIbNSD_35transform_pair_of_input_iterators_tIbNS6_6detail15normal_iteratorINS6_10device_ptrIKtEEEESL_NS6_8equal_toItEEEENSG_9not_fun_tINSD_8identityEEEEENSD_19counting_iterator_tIlEES8_S8_S8_S8_S8_S8_S8_S8_EEEEPS9_S9_NSD_9__find_if7functorIS9_EEEE10hipError_tPvRmT1_T2_T3_mT4_P12ihipStream_tbEUlT_E0_NS1_11comp_targetILNS1_3genE9ELNS1_11target_archE1100ELNS1_3gpuE3ELNS1_3repE0EEENS1_30default_config_static_selectorELNS0_4arch9wavefront6targetE0EEEvS14_.num_agpr, 0
	.set _ZN7rocprim17ROCPRIM_400000_NS6detail17trampoline_kernelINS0_14default_configENS1_22reduce_config_selectorIN6thrust23THRUST_200600_302600_NS5tupleIblNS6_9null_typeES8_S8_S8_S8_S8_S8_S8_EEEEZNS1_11reduce_implILb1ES3_NS6_12zip_iteratorINS7_INS6_11hip_rocprim26transform_input_iterator_tIbNSD_35transform_pair_of_input_iterators_tIbNS6_6detail15normal_iteratorINS6_10device_ptrIKtEEEESL_NS6_8equal_toItEEEENSG_9not_fun_tINSD_8identityEEEEENSD_19counting_iterator_tIlEES8_S8_S8_S8_S8_S8_S8_S8_EEEEPS9_S9_NSD_9__find_if7functorIS9_EEEE10hipError_tPvRmT1_T2_T3_mT4_P12ihipStream_tbEUlT_E0_NS1_11comp_targetILNS1_3genE9ELNS1_11target_archE1100ELNS1_3gpuE3ELNS1_3repE0EEENS1_30default_config_static_selectorELNS0_4arch9wavefront6targetE0EEEvS14_.numbered_sgpr, 0
	.set _ZN7rocprim17ROCPRIM_400000_NS6detail17trampoline_kernelINS0_14default_configENS1_22reduce_config_selectorIN6thrust23THRUST_200600_302600_NS5tupleIblNS6_9null_typeES8_S8_S8_S8_S8_S8_S8_EEEEZNS1_11reduce_implILb1ES3_NS6_12zip_iteratorINS7_INS6_11hip_rocprim26transform_input_iterator_tIbNSD_35transform_pair_of_input_iterators_tIbNS6_6detail15normal_iteratorINS6_10device_ptrIKtEEEESL_NS6_8equal_toItEEEENSG_9not_fun_tINSD_8identityEEEEENSD_19counting_iterator_tIlEES8_S8_S8_S8_S8_S8_S8_S8_EEEEPS9_S9_NSD_9__find_if7functorIS9_EEEE10hipError_tPvRmT1_T2_T3_mT4_P12ihipStream_tbEUlT_E0_NS1_11comp_targetILNS1_3genE9ELNS1_11target_archE1100ELNS1_3gpuE3ELNS1_3repE0EEENS1_30default_config_static_selectorELNS0_4arch9wavefront6targetE0EEEvS14_.num_named_barrier, 0
	.set _ZN7rocprim17ROCPRIM_400000_NS6detail17trampoline_kernelINS0_14default_configENS1_22reduce_config_selectorIN6thrust23THRUST_200600_302600_NS5tupleIblNS6_9null_typeES8_S8_S8_S8_S8_S8_S8_EEEEZNS1_11reduce_implILb1ES3_NS6_12zip_iteratorINS7_INS6_11hip_rocprim26transform_input_iterator_tIbNSD_35transform_pair_of_input_iterators_tIbNS6_6detail15normal_iteratorINS6_10device_ptrIKtEEEESL_NS6_8equal_toItEEEENSG_9not_fun_tINSD_8identityEEEEENSD_19counting_iterator_tIlEES8_S8_S8_S8_S8_S8_S8_S8_EEEEPS9_S9_NSD_9__find_if7functorIS9_EEEE10hipError_tPvRmT1_T2_T3_mT4_P12ihipStream_tbEUlT_E0_NS1_11comp_targetILNS1_3genE9ELNS1_11target_archE1100ELNS1_3gpuE3ELNS1_3repE0EEENS1_30default_config_static_selectorELNS0_4arch9wavefront6targetE0EEEvS14_.private_seg_size, 0
	.set _ZN7rocprim17ROCPRIM_400000_NS6detail17trampoline_kernelINS0_14default_configENS1_22reduce_config_selectorIN6thrust23THRUST_200600_302600_NS5tupleIblNS6_9null_typeES8_S8_S8_S8_S8_S8_S8_EEEEZNS1_11reduce_implILb1ES3_NS6_12zip_iteratorINS7_INS6_11hip_rocprim26transform_input_iterator_tIbNSD_35transform_pair_of_input_iterators_tIbNS6_6detail15normal_iteratorINS6_10device_ptrIKtEEEESL_NS6_8equal_toItEEEENSG_9not_fun_tINSD_8identityEEEEENSD_19counting_iterator_tIlEES8_S8_S8_S8_S8_S8_S8_S8_EEEEPS9_S9_NSD_9__find_if7functorIS9_EEEE10hipError_tPvRmT1_T2_T3_mT4_P12ihipStream_tbEUlT_E0_NS1_11comp_targetILNS1_3genE9ELNS1_11target_archE1100ELNS1_3gpuE3ELNS1_3repE0EEENS1_30default_config_static_selectorELNS0_4arch9wavefront6targetE0EEEvS14_.uses_vcc, 0
	.set _ZN7rocprim17ROCPRIM_400000_NS6detail17trampoline_kernelINS0_14default_configENS1_22reduce_config_selectorIN6thrust23THRUST_200600_302600_NS5tupleIblNS6_9null_typeES8_S8_S8_S8_S8_S8_S8_EEEEZNS1_11reduce_implILb1ES3_NS6_12zip_iteratorINS7_INS6_11hip_rocprim26transform_input_iterator_tIbNSD_35transform_pair_of_input_iterators_tIbNS6_6detail15normal_iteratorINS6_10device_ptrIKtEEEESL_NS6_8equal_toItEEEENSG_9not_fun_tINSD_8identityEEEEENSD_19counting_iterator_tIlEES8_S8_S8_S8_S8_S8_S8_S8_EEEEPS9_S9_NSD_9__find_if7functorIS9_EEEE10hipError_tPvRmT1_T2_T3_mT4_P12ihipStream_tbEUlT_E0_NS1_11comp_targetILNS1_3genE9ELNS1_11target_archE1100ELNS1_3gpuE3ELNS1_3repE0EEENS1_30default_config_static_selectorELNS0_4arch9wavefront6targetE0EEEvS14_.uses_flat_scratch, 0
	.set _ZN7rocprim17ROCPRIM_400000_NS6detail17trampoline_kernelINS0_14default_configENS1_22reduce_config_selectorIN6thrust23THRUST_200600_302600_NS5tupleIblNS6_9null_typeES8_S8_S8_S8_S8_S8_S8_EEEEZNS1_11reduce_implILb1ES3_NS6_12zip_iteratorINS7_INS6_11hip_rocprim26transform_input_iterator_tIbNSD_35transform_pair_of_input_iterators_tIbNS6_6detail15normal_iteratorINS6_10device_ptrIKtEEEESL_NS6_8equal_toItEEEENSG_9not_fun_tINSD_8identityEEEEENSD_19counting_iterator_tIlEES8_S8_S8_S8_S8_S8_S8_S8_EEEEPS9_S9_NSD_9__find_if7functorIS9_EEEE10hipError_tPvRmT1_T2_T3_mT4_P12ihipStream_tbEUlT_E0_NS1_11comp_targetILNS1_3genE9ELNS1_11target_archE1100ELNS1_3gpuE3ELNS1_3repE0EEENS1_30default_config_static_selectorELNS0_4arch9wavefront6targetE0EEEvS14_.has_dyn_sized_stack, 0
	.set _ZN7rocprim17ROCPRIM_400000_NS6detail17trampoline_kernelINS0_14default_configENS1_22reduce_config_selectorIN6thrust23THRUST_200600_302600_NS5tupleIblNS6_9null_typeES8_S8_S8_S8_S8_S8_S8_EEEEZNS1_11reduce_implILb1ES3_NS6_12zip_iteratorINS7_INS6_11hip_rocprim26transform_input_iterator_tIbNSD_35transform_pair_of_input_iterators_tIbNS6_6detail15normal_iteratorINS6_10device_ptrIKtEEEESL_NS6_8equal_toItEEEENSG_9not_fun_tINSD_8identityEEEEENSD_19counting_iterator_tIlEES8_S8_S8_S8_S8_S8_S8_S8_EEEEPS9_S9_NSD_9__find_if7functorIS9_EEEE10hipError_tPvRmT1_T2_T3_mT4_P12ihipStream_tbEUlT_E0_NS1_11comp_targetILNS1_3genE9ELNS1_11target_archE1100ELNS1_3gpuE3ELNS1_3repE0EEENS1_30default_config_static_selectorELNS0_4arch9wavefront6targetE0EEEvS14_.has_recursion, 0
	.set _ZN7rocprim17ROCPRIM_400000_NS6detail17trampoline_kernelINS0_14default_configENS1_22reduce_config_selectorIN6thrust23THRUST_200600_302600_NS5tupleIblNS6_9null_typeES8_S8_S8_S8_S8_S8_S8_EEEEZNS1_11reduce_implILb1ES3_NS6_12zip_iteratorINS7_INS6_11hip_rocprim26transform_input_iterator_tIbNSD_35transform_pair_of_input_iterators_tIbNS6_6detail15normal_iteratorINS6_10device_ptrIKtEEEESL_NS6_8equal_toItEEEENSG_9not_fun_tINSD_8identityEEEEENSD_19counting_iterator_tIlEES8_S8_S8_S8_S8_S8_S8_S8_EEEEPS9_S9_NSD_9__find_if7functorIS9_EEEE10hipError_tPvRmT1_T2_T3_mT4_P12ihipStream_tbEUlT_E0_NS1_11comp_targetILNS1_3genE9ELNS1_11target_archE1100ELNS1_3gpuE3ELNS1_3repE0EEENS1_30default_config_static_selectorELNS0_4arch9wavefront6targetE0EEEvS14_.has_indirect_call, 0
	.section	.AMDGPU.csdata,"",@progbits
; Kernel info:
; codeLenInByte = 0
; TotalNumSgprs: 0
; NumVgprs: 0
; ScratchSize: 0
; MemoryBound: 0
; FloatMode: 240
; IeeeMode: 1
; LDSByteSize: 0 bytes/workgroup (compile time only)
; SGPRBlocks: 0
; VGPRBlocks: 0
; NumSGPRsForWavesPerEU: 1
; NumVGPRsForWavesPerEU: 1
; Occupancy: 16
; WaveLimiterHint : 0
; COMPUTE_PGM_RSRC2:SCRATCH_EN: 0
; COMPUTE_PGM_RSRC2:USER_SGPR: 6
; COMPUTE_PGM_RSRC2:TRAP_HANDLER: 0
; COMPUTE_PGM_RSRC2:TGID_X_EN: 1
; COMPUTE_PGM_RSRC2:TGID_Y_EN: 0
; COMPUTE_PGM_RSRC2:TGID_Z_EN: 0
; COMPUTE_PGM_RSRC2:TIDIG_COMP_CNT: 0
	.section	.text._ZN7rocprim17ROCPRIM_400000_NS6detail17trampoline_kernelINS0_14default_configENS1_22reduce_config_selectorIN6thrust23THRUST_200600_302600_NS5tupleIblNS6_9null_typeES8_S8_S8_S8_S8_S8_S8_EEEEZNS1_11reduce_implILb1ES3_NS6_12zip_iteratorINS7_INS6_11hip_rocprim26transform_input_iterator_tIbNSD_35transform_pair_of_input_iterators_tIbNS6_6detail15normal_iteratorINS6_10device_ptrIKtEEEESL_NS6_8equal_toItEEEENSG_9not_fun_tINSD_8identityEEEEENSD_19counting_iterator_tIlEES8_S8_S8_S8_S8_S8_S8_S8_EEEEPS9_S9_NSD_9__find_if7functorIS9_EEEE10hipError_tPvRmT1_T2_T3_mT4_P12ihipStream_tbEUlT_E0_NS1_11comp_targetILNS1_3genE8ELNS1_11target_archE1030ELNS1_3gpuE2ELNS1_3repE0EEENS1_30default_config_static_selectorELNS0_4arch9wavefront6targetE0EEEvS14_,"axG",@progbits,_ZN7rocprim17ROCPRIM_400000_NS6detail17trampoline_kernelINS0_14default_configENS1_22reduce_config_selectorIN6thrust23THRUST_200600_302600_NS5tupleIblNS6_9null_typeES8_S8_S8_S8_S8_S8_S8_EEEEZNS1_11reduce_implILb1ES3_NS6_12zip_iteratorINS7_INS6_11hip_rocprim26transform_input_iterator_tIbNSD_35transform_pair_of_input_iterators_tIbNS6_6detail15normal_iteratorINS6_10device_ptrIKtEEEESL_NS6_8equal_toItEEEENSG_9not_fun_tINSD_8identityEEEEENSD_19counting_iterator_tIlEES8_S8_S8_S8_S8_S8_S8_S8_EEEEPS9_S9_NSD_9__find_if7functorIS9_EEEE10hipError_tPvRmT1_T2_T3_mT4_P12ihipStream_tbEUlT_E0_NS1_11comp_targetILNS1_3genE8ELNS1_11target_archE1030ELNS1_3gpuE2ELNS1_3repE0EEENS1_30default_config_static_selectorELNS0_4arch9wavefront6targetE0EEEvS14_,comdat
	.protected	_ZN7rocprim17ROCPRIM_400000_NS6detail17trampoline_kernelINS0_14default_configENS1_22reduce_config_selectorIN6thrust23THRUST_200600_302600_NS5tupleIblNS6_9null_typeES8_S8_S8_S8_S8_S8_S8_EEEEZNS1_11reduce_implILb1ES3_NS6_12zip_iteratorINS7_INS6_11hip_rocprim26transform_input_iterator_tIbNSD_35transform_pair_of_input_iterators_tIbNS6_6detail15normal_iteratorINS6_10device_ptrIKtEEEESL_NS6_8equal_toItEEEENSG_9not_fun_tINSD_8identityEEEEENSD_19counting_iterator_tIlEES8_S8_S8_S8_S8_S8_S8_S8_EEEEPS9_S9_NSD_9__find_if7functorIS9_EEEE10hipError_tPvRmT1_T2_T3_mT4_P12ihipStream_tbEUlT_E0_NS1_11comp_targetILNS1_3genE8ELNS1_11target_archE1030ELNS1_3gpuE2ELNS1_3repE0EEENS1_30default_config_static_selectorELNS0_4arch9wavefront6targetE0EEEvS14_ ; -- Begin function _ZN7rocprim17ROCPRIM_400000_NS6detail17trampoline_kernelINS0_14default_configENS1_22reduce_config_selectorIN6thrust23THRUST_200600_302600_NS5tupleIblNS6_9null_typeES8_S8_S8_S8_S8_S8_S8_EEEEZNS1_11reduce_implILb1ES3_NS6_12zip_iteratorINS7_INS6_11hip_rocprim26transform_input_iterator_tIbNSD_35transform_pair_of_input_iterators_tIbNS6_6detail15normal_iteratorINS6_10device_ptrIKtEEEESL_NS6_8equal_toItEEEENSG_9not_fun_tINSD_8identityEEEEENSD_19counting_iterator_tIlEES8_S8_S8_S8_S8_S8_S8_S8_EEEEPS9_S9_NSD_9__find_if7functorIS9_EEEE10hipError_tPvRmT1_T2_T3_mT4_P12ihipStream_tbEUlT_E0_NS1_11comp_targetILNS1_3genE8ELNS1_11target_archE1030ELNS1_3gpuE2ELNS1_3repE0EEENS1_30default_config_static_selectorELNS0_4arch9wavefront6targetE0EEEvS14_
	.globl	_ZN7rocprim17ROCPRIM_400000_NS6detail17trampoline_kernelINS0_14default_configENS1_22reduce_config_selectorIN6thrust23THRUST_200600_302600_NS5tupleIblNS6_9null_typeES8_S8_S8_S8_S8_S8_S8_EEEEZNS1_11reduce_implILb1ES3_NS6_12zip_iteratorINS7_INS6_11hip_rocprim26transform_input_iterator_tIbNSD_35transform_pair_of_input_iterators_tIbNS6_6detail15normal_iteratorINS6_10device_ptrIKtEEEESL_NS6_8equal_toItEEEENSG_9not_fun_tINSD_8identityEEEEENSD_19counting_iterator_tIlEES8_S8_S8_S8_S8_S8_S8_S8_EEEEPS9_S9_NSD_9__find_if7functorIS9_EEEE10hipError_tPvRmT1_T2_T3_mT4_P12ihipStream_tbEUlT_E0_NS1_11comp_targetILNS1_3genE8ELNS1_11target_archE1030ELNS1_3gpuE2ELNS1_3repE0EEENS1_30default_config_static_selectorELNS0_4arch9wavefront6targetE0EEEvS14_
	.p2align	8
	.type	_ZN7rocprim17ROCPRIM_400000_NS6detail17trampoline_kernelINS0_14default_configENS1_22reduce_config_selectorIN6thrust23THRUST_200600_302600_NS5tupleIblNS6_9null_typeES8_S8_S8_S8_S8_S8_S8_EEEEZNS1_11reduce_implILb1ES3_NS6_12zip_iteratorINS7_INS6_11hip_rocprim26transform_input_iterator_tIbNSD_35transform_pair_of_input_iterators_tIbNS6_6detail15normal_iteratorINS6_10device_ptrIKtEEEESL_NS6_8equal_toItEEEENSG_9not_fun_tINSD_8identityEEEEENSD_19counting_iterator_tIlEES8_S8_S8_S8_S8_S8_S8_S8_EEEEPS9_S9_NSD_9__find_if7functorIS9_EEEE10hipError_tPvRmT1_T2_T3_mT4_P12ihipStream_tbEUlT_E0_NS1_11comp_targetILNS1_3genE8ELNS1_11target_archE1030ELNS1_3gpuE2ELNS1_3repE0EEENS1_30default_config_static_selectorELNS0_4arch9wavefront6targetE0EEEvS14_,@function
_ZN7rocprim17ROCPRIM_400000_NS6detail17trampoline_kernelINS0_14default_configENS1_22reduce_config_selectorIN6thrust23THRUST_200600_302600_NS5tupleIblNS6_9null_typeES8_S8_S8_S8_S8_S8_S8_EEEEZNS1_11reduce_implILb1ES3_NS6_12zip_iteratorINS7_INS6_11hip_rocprim26transform_input_iterator_tIbNSD_35transform_pair_of_input_iterators_tIbNS6_6detail15normal_iteratorINS6_10device_ptrIKtEEEESL_NS6_8equal_toItEEEENSG_9not_fun_tINSD_8identityEEEEENSD_19counting_iterator_tIlEES8_S8_S8_S8_S8_S8_S8_S8_EEEEPS9_S9_NSD_9__find_if7functorIS9_EEEE10hipError_tPvRmT1_T2_T3_mT4_P12ihipStream_tbEUlT_E0_NS1_11comp_targetILNS1_3genE8ELNS1_11target_archE1030ELNS1_3gpuE2ELNS1_3repE0EEENS1_30default_config_static_selectorELNS0_4arch9wavefront6targetE0EEEvS14_: ; @_ZN7rocprim17ROCPRIM_400000_NS6detail17trampoline_kernelINS0_14default_configENS1_22reduce_config_selectorIN6thrust23THRUST_200600_302600_NS5tupleIblNS6_9null_typeES8_S8_S8_S8_S8_S8_S8_EEEEZNS1_11reduce_implILb1ES3_NS6_12zip_iteratorINS7_INS6_11hip_rocprim26transform_input_iterator_tIbNSD_35transform_pair_of_input_iterators_tIbNS6_6detail15normal_iteratorINS6_10device_ptrIKtEEEESL_NS6_8equal_toItEEEENSG_9not_fun_tINSD_8identityEEEEENSD_19counting_iterator_tIlEES8_S8_S8_S8_S8_S8_S8_S8_EEEEPS9_S9_NSD_9__find_if7functorIS9_EEEE10hipError_tPvRmT1_T2_T3_mT4_P12ihipStream_tbEUlT_E0_NS1_11comp_targetILNS1_3genE8ELNS1_11target_archE1030ELNS1_3gpuE2ELNS1_3repE0EEENS1_30default_config_static_selectorELNS0_4arch9wavefront6targetE0EEEvS14_
; %bb.0:
	s_clause 0x2
	s_load_dwordx8 s[8:15], s[4:5], 0x20
	s_load_dwordx4 s[0:3], s[4:5], 0x0
	s_load_dwordx4 s[16:19], s[4:5], 0x40
	s_mov_b32 s23, 0
	v_lshlrev_b32_e32 v9, 1, v0
	v_mbcnt_lo_u32_b32 v7, -1, 0
	s_mov_b32 s7, s23
	s_waitcnt lgkmcnt(0)
	s_lshl_b64 s[20:21], s[10:11], 1
	s_add_u32 s26, s0, s20
	s_addc_u32 s27, s1, s21
	s_add_u32 s20, s2, s20
	s_addc_u32 s21, s3, s21
	s_lshl_b32 s22, s6, 9
	s_lshr_b64 s[24:25], s[12:13], 9
	s_lshl_b64 s[0:1], s[22:23], 1
	s_add_u32 s2, s26, s0
	s_addc_u32 s3, s27, s1
	s_add_u32 s20, s20, s0
	s_addc_u32 s21, s21, s1
	;; [unrolled: 2-line block ×4, first 2 shown]
	s_cmp_lg_u64 s[24:25], s[6:7]
	s_cbranch_scc0 .LBB196_18
; %bb.1:
	s_clause 0x3
	global_load_ushort v1, v9, s[2:3]
	global_load_ushort v2, v9, s[20:21]
	global_load_ushort v3, v9, s[20:21] offset:512
	global_load_ushort v4, v9, s[2:3] offset:512
	v_add_co_u32 v5, s0, s10, v0
	v_add_co_ci_u32_e64 v6, null, s11, 0, s0
	v_add_co_u32 v8, vcc_lo, 0x100, v5
	v_add_co_ci_u32_e64 v10, null, 0, v6, vcc_lo
	s_waitcnt vmcnt(2)
	v_cmp_ne_u16_e32 vcc_lo, v1, v2
	s_waitcnt vmcnt(0)
	v_cmp_ne_u16_e64 s0, v4, v3
	v_cndmask_b32_e32 v2, v10, v6, vcc_lo
	v_cndmask_b32_e32 v1, v8, v5, vcc_lo
	s_or_b32 s0, vcc_lo, s0
	v_cndmask_b32_e64 v5, 0, 1, s0
	v_mov_b32_dpp v4, v2 quad_perm:[1,0,3,2] row_mask:0xf bank_mask:0xf
	v_mov_b32_dpp v3, v1 quad_perm:[1,0,3,2] row_mask:0xf bank_mask:0xf
	;; [unrolled: 1-line block ×3, first 2 shown]
	v_cmp_lt_i64_e32 vcc_lo, v[1:2], v[3:4]
	v_and_b32_e32 v6, 1, v6
	s_and_b32 vcc_lo, s0, vcc_lo
	v_cndmask_b32_e32 v3, v3, v1, vcc_lo
	v_cndmask_b32_e32 v4, v4, v2, vcc_lo
	v_cmp_eq_u32_e32 vcc_lo, 1, v6
	v_cndmask_b32_e32 v2, v2, v4, vcc_lo
	v_cndmask_b32_e32 v1, v1, v3, vcc_lo
	v_cndmask_b32_e64 v5, v5, 1, vcc_lo
	v_mov_b32_dpp v4, v2 quad_perm:[2,3,0,1] row_mask:0xf bank_mask:0xf
	v_mov_b32_dpp v3, v1 quad_perm:[2,3,0,1] row_mask:0xf bank_mask:0xf
	v_and_b32_e32 v8, 1, v5
	v_mov_b32_dpp v6, v5 quad_perm:[2,3,0,1] row_mask:0xf bank_mask:0xf
	v_cmp_lt_i64_e32 vcc_lo, v[1:2], v[3:4]
	v_cmp_eq_u32_e64 s0, 1, v8
	v_and_b32_e32 v6, 1, v6
	s_and_b32 vcc_lo, s0, vcc_lo
	v_cmp_eq_u32_e64 s1, 1, v6
	v_cndmask_b32_e32 v3, v3, v1, vcc_lo
	v_cndmask_b32_e32 v4, v4, v2, vcc_lo
	v_cndmask_b32_e64 v5, v5, 1, s1
	v_cndmask_b32_e64 v1, v1, v3, s1
	;; [unrolled: 1-line block ×3, first 2 shown]
	v_and_b32_e32 v8, 1, v5
	v_mov_b32_dpp v3, v1 row_ror:4 row_mask:0xf bank_mask:0xf
	v_mov_b32_dpp v4, v2 row_ror:4 row_mask:0xf bank_mask:0xf
	;; [unrolled: 1-line block ×3, first 2 shown]
	v_cmp_eq_u32_e64 s0, 1, v8
	v_cmp_lt_i64_e32 vcc_lo, v[1:2], v[3:4]
	v_and_b32_e32 v6, 1, v6
	s_and_b32 vcc_lo, s0, vcc_lo
	v_cmp_eq_u32_e64 s1, 1, v6
	v_cndmask_b32_e32 v3, v3, v1, vcc_lo
	v_cndmask_b32_e32 v4, v4, v2, vcc_lo
	v_cndmask_b32_e64 v5, v5, 1, s1
	v_cndmask_b32_e64 v1, v1, v3, s1
	;; [unrolled: 1-line block ×3, first 2 shown]
	v_and_b32_e32 v8, 1, v5
	v_mov_b32_dpp v3, v1 row_ror:8 row_mask:0xf bank_mask:0xf
	v_mov_b32_dpp v4, v2 row_ror:8 row_mask:0xf bank_mask:0xf
	v_mov_b32_dpp v6, v5 row_ror:8 row_mask:0xf bank_mask:0xf
	v_cmp_eq_u32_e64 s0, 1, v8
	v_cmp_lt_i64_e32 vcc_lo, v[1:2], v[3:4]
	v_and_b32_e32 v6, 1, v6
	s_and_b32 vcc_lo, s0, vcc_lo
	v_cmp_eq_u32_e64 s1, 1, v6
	v_cndmask_b32_e32 v3, v3, v1, vcc_lo
	v_cndmask_b32_e32 v4, v4, v2, vcc_lo
	v_cndmask_b32_e64 v5, v5, 1, s1
	v_cndmask_b32_e64 v1, v1, v3, s1
	;; [unrolled: 1-line block ×3, first 2 shown]
	ds_swizzle_b32 v6, v5 offset:swizzle(BROADCAST,32,15)
	ds_swizzle_b32 v3, v1 offset:swizzle(BROADCAST,32,15)
	;; [unrolled: 1-line block ×3, first 2 shown]
	v_and_b32_e32 v8, 1, v5
	v_cmp_eq_u32_e64 s0, 1, v8
	s_waitcnt lgkmcnt(2)
	v_and_b32_e32 v6, 1, v6
	s_waitcnt lgkmcnt(0)
	v_cmp_lt_i64_e32 vcc_lo, v[1:2], v[3:4]
	v_cmp_eq_u32_e64 s1, 1, v6
	v_mov_b32_e32 v6, 0
	s_and_b32 vcc_lo, s0, vcc_lo
	s_mov_b32 s0, exec_lo
	v_cndmask_b32_e32 v3, v3, v1, vcc_lo
	v_cndmask_b32_e32 v4, v4, v2, vcc_lo
	v_cndmask_b32_e64 v5, v5, 1, s1
	v_cndmask_b32_e64 v1, v1, v3, s1
	;; [unrolled: 1-line block ×3, first 2 shown]
	ds_bpermute_b32 v8, v6, v5 offset:124
	ds_bpermute_b32 v1, v6, v1 offset:124
	;; [unrolled: 1-line block ×3, first 2 shown]
	v_cmpx_eq_u32_e32 0, v7
	s_cbranch_execz .LBB196_3
; %bb.2:
	v_lshrrev_b32_e32 v3, 1, v0
	v_and_b32_e32 v3, 0x70, v3
	s_waitcnt lgkmcnt(2)
	ds_write_b8 v3, v8
	s_waitcnt lgkmcnt(1)
	ds_write_b64 v3, v[1:2] offset:8
.LBB196_3:
	s_or_b32 exec_lo, exec_lo, s0
	s_mov_b32 s0, exec_lo
	s_waitcnt lgkmcnt(0)
	s_barrier
	buffer_gl0_inv
	v_cmpx_gt_u32_e32 32, v0
	s_cbranch_execz .LBB196_17
; %bb.4:
	v_and_b32_e32 v8, 7, v7
	v_lshlrev_b32_e32 v1, 4, v8
	v_cmp_ne_u32_e32 vcc_lo, 7, v8
	ds_read_u8 v11, v1
	ds_read_b64 v[3:4], v1 offset:8
	v_add_co_ci_u32_e64 v2, null, 0, v7, vcc_lo
	v_lshlrev_b32_e32 v2, 2, v2
	s_waitcnt lgkmcnt(1)
	v_and_b32_e32 v1, 0xff, v11
	s_waitcnt lgkmcnt(0)
	ds_bpermute_b32 v5, v2, v3
	ds_bpermute_b32 v6, v2, v4
	;; [unrolled: 1-line block ×3, first 2 shown]
	s_waitcnt lgkmcnt(0)
	v_and_b32_e32 v1, v11, v12
	v_and_b32_e32 v1, 1, v1
	v_cmp_eq_u32_e32 vcc_lo, 1, v1
                                        ; implicit-def: $vgpr1_vgpr2
	s_and_saveexec_b32 s1, vcc_lo
	s_xor_b32 s1, exec_lo, s1
; %bb.5:
	v_cmp_lt_i64_e32 vcc_lo, v[5:6], v[3:4]
                                        ; implicit-def: $vgpr11
                                        ; implicit-def: $vgpr12
	v_cndmask_b32_e32 v2, v4, v6, vcc_lo
	v_cndmask_b32_e32 v1, v3, v5, vcc_lo
                                        ; implicit-def: $vgpr5_vgpr6
                                        ; implicit-def: $vgpr3_vgpr4
; %bb.6:
	s_or_saveexec_b32 s1, s1
	v_mov_b32_e32 v10, 1
	s_xor_b32 exec_lo, exec_lo, s1
; %bb.7:
	v_and_b32_e32 v1, 1, v11
	v_and_b32_e32 v10, 0xff, v12
	v_cmp_eq_u32_e32 vcc_lo, 1, v1
	v_cndmask_b32_e32 v2, v6, v4, vcc_lo
	v_cndmask_b32_e32 v1, v5, v3, vcc_lo
	v_cndmask_b32_e64 v10, v10, 1, vcc_lo
; %bb.8:
	s_or_b32 exec_lo, exec_lo, s1
	v_cmp_gt_u32_e32 vcc_lo, 6, v8
	v_cndmask_b32_e64 v3, 0, 2, vcc_lo
	v_add_lshl_u32 v3, v3, v7, 2
	ds_bpermute_b32 v8, v3, v10
	ds_bpermute_b32 v5, v3, v1
	;; [unrolled: 1-line block ×3, first 2 shown]
	s_waitcnt lgkmcnt(2)
	v_and_b32_e32 v3, v10, v8
	v_and_b32_e32 v3, 1, v3
	v_cmp_eq_u32_e32 vcc_lo, 1, v3
                                        ; implicit-def: $vgpr3_vgpr4
	s_and_saveexec_b32 s1, vcc_lo
	s_xor_b32 s1, exec_lo, s1
	s_cbranch_execz .LBB196_10
; %bb.9:
	s_waitcnt lgkmcnt(0)
	v_cmp_lt_i64_e32 vcc_lo, v[5:6], v[1:2]
                                        ; implicit-def: $vgpr10
                                        ; implicit-def: $vgpr8
	v_cndmask_b32_e32 v4, v2, v6, vcc_lo
	v_cndmask_b32_e32 v3, v1, v5, vcc_lo
                                        ; implicit-def: $vgpr5_vgpr6
                                        ; implicit-def: $vgpr1_vgpr2
.LBB196_10:
	s_or_saveexec_b32 s1, s1
	v_lshlrev_b32_e32 v12, 2, v7
	v_mov_b32_e32 v11, 1
	s_xor_b32 exec_lo, exec_lo, s1
	s_cbranch_execz .LBB196_12
; %bb.11:
	v_and_b32_e32 v3, 1, v10
	v_and_b32_e32 v8, 0xff, v8
	v_cmp_eq_u32_e32 vcc_lo, 1, v3
	s_waitcnt lgkmcnt(0)
	v_cndmask_b32_e32 v4, v6, v2, vcc_lo
	v_cndmask_b32_e32 v3, v5, v1, vcc_lo
	v_cndmask_b32_e64 v11, v8, 1, vcc_lo
.LBB196_12:
	s_or_b32 exec_lo, exec_lo, s1
	v_or_b32_e32 v1, 16, v12
	ds_bpermute_b32 v10, v1, v11
	s_waitcnt lgkmcnt(2)
	ds_bpermute_b32 v5, v1, v3
	s_waitcnt lgkmcnt(2)
	;; [unrolled: 2-line block ×3, first 2 shown]
	v_and_b32_e32 v1, v11, v10
	v_and_b32_e32 v1, 1, v1
	v_cmp_eq_u32_e32 vcc_lo, 1, v1
                                        ; implicit-def: $vgpr1_vgpr2
	s_and_saveexec_b32 s1, vcc_lo
	s_xor_b32 s1, exec_lo, s1
	s_cbranch_execz .LBB196_14
; %bb.13:
	s_waitcnt lgkmcnt(0)
	v_cmp_lt_i64_e32 vcc_lo, v[5:6], v[3:4]
                                        ; implicit-def: $vgpr11
                                        ; implicit-def: $vgpr10
	v_cndmask_b32_e32 v2, v4, v6, vcc_lo
	v_cndmask_b32_e32 v1, v3, v5, vcc_lo
                                        ; implicit-def: $vgpr5_vgpr6
                                        ; implicit-def: $vgpr3_vgpr4
.LBB196_14:
	s_or_saveexec_b32 s1, s1
	v_mov_b32_e32 v8, 1
	s_xor_b32 exec_lo, exec_lo, s1
	s_cbranch_execz .LBB196_16
; %bb.15:
	v_and_b32_e32 v1, 1, v11
	v_cmp_eq_u32_e32 vcc_lo, 1, v1
	s_waitcnt lgkmcnt(0)
	v_cndmask_b32_e32 v2, v6, v4, vcc_lo
	v_cndmask_b32_e32 v1, v5, v3, vcc_lo
	v_cndmask_b32_e64 v8, v10, 1, vcc_lo
.LBB196_16:
	s_or_b32 exec_lo, exec_lo, s1
.LBB196_17:
	s_or_b32 exec_lo, exec_lo, s0
	s_load_dwordx2 s[8:9], s[4:5], 0x58
	s_branch .LBB196_76
.LBB196_18:
                                        ; implicit-def: $vgpr1_vgpr2
                                        ; implicit-def: $vgpr8
	s_load_dwordx2 s[8:9], s[4:5], 0x58
	s_cbranch_execz .LBB196_76
; %bb.19:
	v_mov_b32_e32 v3, 0
	v_mov_b32_e32 v1, 0
	s_waitcnt lgkmcnt(0)
	v_mov_b32_e32 v5, 0
	v_mov_b32_e32 v4, 0
	;; [unrolled: 1-line block ×4, first 2 shown]
	s_sub_i32 s22, s12, s22
	s_mov_b32 s0, exec_lo
	v_cmpx_gt_u32_e64 s22, v0
	s_cbranch_execz .LBB196_21
; %bb.20:
	s_clause 0x1
	global_load_ushort v6, v9, s[2:3]
	global_load_ushort v8, v9, s[20:21]
	v_add_co_u32 v1, s1, s10, v0
	v_add_co_ci_u32_e64 v2, null, s11, 0, s1
	s_waitcnt vmcnt(0)
	v_cmp_ne_u16_e32 vcc_lo, v6, v8
	v_cndmask_b32_e64 v6, 0, 1, vcc_lo
.LBB196_21:
	s_or_b32 exec_lo, exec_lo, s0
	v_or_b32_e32 v8, 0x100, v0
	v_cmp_gt_u32_e32 vcc_lo, s22, v8
	s_and_saveexec_b32 s1, vcc_lo
	s_cbranch_execz .LBB196_23
; %bb.22:
	s_clause 0x1
	global_load_ushort v5, v9, s[2:3] offset:512
	global_load_ushort v9, v9, s[20:21] offset:512
	v_add_co_u32 v3, s0, s10, v8
	v_add_co_ci_u32_e64 v4, null, s11, 0, s0
	s_waitcnt vmcnt(0)
	v_cmp_ne_u16_e64 s0, v5, v9
	v_cndmask_b32_e64 v5, 0, 1, s0
.LBB196_23:
	s_or_b32 exec_lo, exec_lo, s1
	v_and_b32_e32 v8, 1, v5
	v_cmp_lt_i64_e64 s0, v[3:4], v[1:2]
	v_and_b32_e32 v9, 1, v6
	v_and_b32_e32 v5, 0xffff, v5
	;; [unrolled: 1-line block ×3, first 2 shown]
	v_cmp_eq_u32_e64 s1, 1, v8
	v_cmp_eq_u32_e64 s2, 1, v9
	s_and_b32 s0, s1, s0
	s_mov_b32 s1, exec_lo
	v_cndmask_b32_e64 v8, v2, v4, s0
	v_cndmask_b32_e64 v9, v1, v3, s0
	v_cmp_ne_u32_e64 s0, 31, v7
	v_cndmask_b32_e64 v5, v5, 1, s2
	v_cndmask_b32_e64 v4, v4, v8, s2
	;; [unrolled: 1-line block ×3, first 2 shown]
	v_add_co_ci_u32_e64 v10, null, 0, v7, s0
	v_cndmask_b32_e32 v8, v6, v5, vcc_lo
	v_cndmask_b32_e32 v2, v2, v4, vcc_lo
	;; [unrolled: 1-line block ×3, first 2 shown]
	v_lshlrev_b32_e32 v9, 2, v10
	v_and_b32_e32 v5, 0xe0, v0
	s_min_u32 s0, s22, 0x100
	ds_bpermute_b32 v6, v9, v8
	ds_bpermute_b32 v3, v9, v1
	;; [unrolled: 1-line block ×3, first 2 shown]
	v_sub_nc_u32_e64 v5, s0, v5 clamp
	v_add_nc_u32_e32 v9, 1, v7
	v_cmpx_lt_u32_e64 v9, v5
	s_cbranch_execz .LBB196_29
; %bb.24:
	s_waitcnt lgkmcnt(2)
	v_and_b32_e32 v9, v8, v6
	s_mov_b32 s2, exec_lo
	v_cmpx_ne_u32_e32 0, v9
	s_xor_b32 s2, exec_lo, s2
	s_cbranch_execz .LBB196_26
; %bb.25:
	s_waitcnt lgkmcnt(0)
	v_cmp_lt_i64_e32 vcc_lo, v[3:4], v[1:2]
                                        ; implicit-def: $vgpr8
                                        ; implicit-def: $vgpr6
	v_cndmask_b32_e32 v2, v2, v4, vcc_lo
	v_cndmask_b32_e32 v1, v1, v3, vcc_lo
                                        ; implicit-def: $vgpr3_vgpr4
.LBB196_26:
	s_or_saveexec_b32 s2, s2
	v_mov_b32_e32 v9, 1
	s_xor_b32 exec_lo, exec_lo, s2
	s_cbranch_execz .LBB196_28
; %bb.27:
	v_and_b32_e32 v8, 1, v8
	v_and_b32_e32 v6, 0xff, v6
	v_cmp_eq_u32_e32 vcc_lo, 1, v8
	s_waitcnt lgkmcnt(0)
	v_cndmask_b32_e32 v2, v4, v2, vcc_lo
	v_cndmask_b32_e32 v1, v3, v1, vcc_lo
	v_cndmask_b32_e64 v9, v6, 1, vcc_lo
.LBB196_28:
	s_or_b32 exec_lo, exec_lo, s2
	v_mov_b32_e32 v8, v9
.LBB196_29:
	s_or_b32 exec_lo, exec_lo, s1
	v_cmp_gt_u32_e32 vcc_lo, 30, v7
	v_add_nc_u32_e32 v9, 2, v7
	s_mov_b32 s1, exec_lo
	s_waitcnt lgkmcnt(1)
	v_cndmask_b32_e64 v3, 0, 2, vcc_lo
	s_waitcnt lgkmcnt(0)
	v_add_lshl_u32 v4, v3, v7, 2
	ds_bpermute_b32 v6, v4, v8
	ds_bpermute_b32 v3, v4, v1
	ds_bpermute_b32 v4, v4, v2
	v_cmpx_lt_u32_e64 v9, v5
	s_cbranch_execz .LBB196_35
; %bb.30:
	s_waitcnt lgkmcnt(2)
	v_and_b32_e32 v9, v8, v6
	s_mov_b32 s2, exec_lo
	v_and_b32_e32 v9, 1, v9
	v_cmpx_eq_u32_e32 1, v9
	s_xor_b32 s2, exec_lo, s2
	s_cbranch_execz .LBB196_32
; %bb.31:
	s_waitcnt lgkmcnt(0)
	v_cmp_lt_i64_e32 vcc_lo, v[3:4], v[1:2]
                                        ; implicit-def: $vgpr8
                                        ; implicit-def: $vgpr6
	v_cndmask_b32_e32 v2, v2, v4, vcc_lo
	v_cndmask_b32_e32 v1, v1, v3, vcc_lo
                                        ; implicit-def: $vgpr3_vgpr4
.LBB196_32:
	s_or_saveexec_b32 s2, s2
	v_mov_b32_e32 v9, 1
	s_xor_b32 exec_lo, exec_lo, s2
	s_cbranch_execz .LBB196_34
; %bb.33:
	v_and_b32_e32 v8, 1, v8
	v_and_b32_e32 v6, 0xff, v6
	v_cmp_eq_u32_e32 vcc_lo, 1, v8
	s_waitcnt lgkmcnt(0)
	v_cndmask_b32_e32 v2, v4, v2, vcc_lo
	v_cndmask_b32_e32 v1, v3, v1, vcc_lo
	v_cndmask_b32_e64 v9, v6, 1, vcc_lo
.LBB196_34:
	s_or_b32 exec_lo, exec_lo, s2
	v_mov_b32_e32 v8, v9
.LBB196_35:
	s_or_b32 exec_lo, exec_lo, s1
	v_cmp_gt_u32_e32 vcc_lo, 28, v7
	v_add_nc_u32_e32 v9, 4, v7
	s_mov_b32 s1, exec_lo
	s_waitcnt lgkmcnt(1)
	v_cndmask_b32_e64 v3, 0, 4, vcc_lo
	s_waitcnt lgkmcnt(0)
	v_add_lshl_u32 v4, v3, v7, 2
	ds_bpermute_b32 v6, v4, v8
	ds_bpermute_b32 v3, v4, v1
	ds_bpermute_b32 v4, v4, v2
	v_cmpx_lt_u32_e64 v9, v5
	s_cbranch_execz .LBB196_41
; %bb.36:
	s_waitcnt lgkmcnt(2)
	v_and_b32_e32 v9, v8, v6
	s_mov_b32 s2, exec_lo
	v_and_b32_e32 v9, 1, v9
	v_cmpx_eq_u32_e32 1, v9
	s_xor_b32 s2, exec_lo, s2
	s_cbranch_execz .LBB196_38
; %bb.37:
	s_waitcnt lgkmcnt(0)
	v_cmp_lt_i64_e32 vcc_lo, v[3:4], v[1:2]
                                        ; implicit-def: $vgpr8
                                        ; implicit-def: $vgpr6
	v_cndmask_b32_e32 v2, v2, v4, vcc_lo
	v_cndmask_b32_e32 v1, v1, v3, vcc_lo
                                        ; implicit-def: $vgpr3_vgpr4
.LBB196_38:
	s_or_saveexec_b32 s2, s2
	v_mov_b32_e32 v9, 1
	s_xor_b32 exec_lo, exec_lo, s2
	s_cbranch_execz .LBB196_40
; %bb.39:
	v_and_b32_e32 v8, 1, v8
	v_and_b32_e32 v6, 0xff, v6
	v_cmp_eq_u32_e32 vcc_lo, 1, v8
	s_waitcnt lgkmcnt(0)
	v_cndmask_b32_e32 v2, v4, v2, vcc_lo
	v_cndmask_b32_e32 v1, v3, v1, vcc_lo
	v_cndmask_b32_e64 v9, v6, 1, vcc_lo
.LBB196_40:
	s_or_b32 exec_lo, exec_lo, s2
	v_mov_b32_e32 v8, v9
.LBB196_41:
	;; [unrolled: 46-line block ×3, first 2 shown]
	s_or_b32 exec_lo, exec_lo, s1
	s_waitcnt lgkmcnt(2)
	v_lshlrev_b32_e32 v6, 2, v7
	v_add_nc_u32_e32 v10, 16, v7
	s_waitcnt lgkmcnt(0)
	v_or_b32_e32 v4, 64, v6
	v_cmp_lt_u32_e32 vcc_lo, v10, v5
	v_mov_b32_e32 v5, v8
	ds_bpermute_b32 v9, v4, v8
	ds_bpermute_b32 v3, v4, v1
	;; [unrolled: 1-line block ×3, first 2 shown]
	s_and_saveexec_b32 s1, vcc_lo
	s_cbranch_execz .LBB196_53
; %bb.48:
	s_waitcnt lgkmcnt(2)
	v_and_b32_e32 v5, v8, v9
	s_mov_b32 s2, exec_lo
	v_and_b32_e32 v5, 1, v5
	v_cmpx_eq_u32_e32 1, v5
	s_xor_b32 s2, exec_lo, s2
	s_cbranch_execz .LBB196_50
; %bb.49:
	s_waitcnt lgkmcnt(0)
	v_cmp_lt_i64_e32 vcc_lo, v[3:4], v[1:2]
                                        ; implicit-def: $vgpr8
                                        ; implicit-def: $vgpr9
	v_cndmask_b32_e32 v2, v2, v4, vcc_lo
	v_cndmask_b32_e32 v1, v1, v3, vcc_lo
                                        ; implicit-def: $vgpr3_vgpr4
.LBB196_50:
	s_or_saveexec_b32 s2, s2
	v_mov_b32_e32 v5, 1
	s_xor_b32 exec_lo, exec_lo, s2
	s_cbranch_execz .LBB196_52
; %bb.51:
	v_and_b32_e32 v5, 1, v8
	v_cmp_eq_u32_e32 vcc_lo, 1, v5
	v_cndmask_b32_e64 v5, v9, 1, vcc_lo
	s_waitcnt lgkmcnt(0)
	v_cndmask_b32_e32 v2, v4, v2, vcc_lo
	v_cndmask_b32_e32 v1, v3, v1, vcc_lo
.LBB196_52:
	s_or_b32 exec_lo, exec_lo, s2
	v_and_b32_e32 v8, 0xff, v5
.LBB196_53:
	s_or_b32 exec_lo, exec_lo, s1
	s_mov_b32 s1, exec_lo
	v_cmpx_eq_u32_e32 0, v7
	s_cbranch_execz .LBB196_55
; %bb.54:
	s_waitcnt lgkmcnt(1)
	v_lshrrev_b32_e32 v3, 1, v0
	v_and_b32_e32 v3, 0x70, v3
	ds_write_b8 v3, v5 offset:128
	ds_write_b64 v3, v[1:2] offset:136
.LBB196_55:
	s_or_b32 exec_lo, exec_lo, s1
	s_mov_b32 s1, exec_lo
	s_waitcnt lgkmcnt(0)
	s_barrier
	buffer_gl0_inv
	v_cmpx_gt_u32_e32 8, v0
	s_cbranch_execz .LBB196_75
; %bb.56:
	v_lshlrev_b32_e32 v1, 4, v7
	v_and_b32_e32 v5, 7, v7
	s_add_i32 s0, s0, 31
	s_mov_b32 s2, exec_lo
	s_lshr_b32 s0, s0, 5
	ds_read_u8 v9, v1 offset:128
	ds_read_b64 v[1:2], v1 offset:136
	v_cmp_ne_u32_e32 vcc_lo, 7, v5
	v_add_nc_u32_e32 v11, 1, v5
	v_add_co_ci_u32_e64 v3, null, 0, v7, vcc_lo
	v_lshlrev_b32_e32 v4, 2, v3
	s_waitcnt lgkmcnt(1)
	v_and_b32_e32 v8, 0xff, v9
	s_waitcnt lgkmcnt(0)
	ds_bpermute_b32 v3, v4, v1
	ds_bpermute_b32 v10, v4, v8
	;; [unrolled: 1-line block ×3, first 2 shown]
	v_cmpx_gt_u32_e64 s0, v11
	s_cbranch_execz .LBB196_62
; %bb.57:
	s_waitcnt lgkmcnt(1)
	v_and_b32_e32 v8, v8, v10
	s_mov_b32 s3, exec_lo
	v_and_b32_e32 v8, 1, v8
	v_cmpx_eq_u32_e32 1, v8
	s_xor_b32 s3, exec_lo, s3
	s_cbranch_execz .LBB196_59
; %bb.58:
	s_waitcnt lgkmcnt(0)
	v_cmp_lt_i64_e32 vcc_lo, v[3:4], v[1:2]
                                        ; implicit-def: $vgpr9
                                        ; implicit-def: $vgpr10
	v_cndmask_b32_e32 v2, v2, v4, vcc_lo
	v_cndmask_b32_e32 v1, v1, v3, vcc_lo
                                        ; implicit-def: $vgpr3_vgpr4
.LBB196_59:
	s_or_saveexec_b32 s3, s3
	v_mov_b32_e32 v8, 1
	s_xor_b32 exec_lo, exec_lo, s3
	s_cbranch_execz .LBB196_61
; %bb.60:
	v_and_b32_e32 v8, 1, v9
	v_cmp_eq_u32_e32 vcc_lo, 1, v8
	v_and_b32_e32 v8, 0xff, v10
	s_waitcnt lgkmcnt(0)
	v_cndmask_b32_e32 v2, v4, v2, vcc_lo
	v_cndmask_b32_e32 v1, v3, v1, vcc_lo
	v_cndmask_b32_e64 v8, v8, 1, vcc_lo
.LBB196_61:
	s_or_b32 exec_lo, exec_lo, s3
.LBB196_62:
	s_or_b32 exec_lo, exec_lo, s2
	v_cmp_gt_u32_e32 vcc_lo, 6, v5
	v_add_nc_u32_e32 v9, 2, v5
	s_mov_b32 s2, exec_lo
	s_waitcnt lgkmcnt(2)
	v_cndmask_b32_e64 v3, 0, 2, vcc_lo
	s_waitcnt lgkmcnt(0)
	v_add_lshl_u32 v4, v3, v7, 2
	ds_bpermute_b32 v7, v4, v8
	ds_bpermute_b32 v3, v4, v1
	;; [unrolled: 1-line block ×3, first 2 shown]
	v_cmpx_gt_u32_e64 s0, v9
	s_cbranch_execz .LBB196_68
; %bb.63:
	s_waitcnt lgkmcnt(2)
	v_and_b32_e32 v9, v8, v7
	s_mov_b32 s3, exec_lo
	v_and_b32_e32 v9, 1, v9
	v_cmpx_eq_u32_e32 1, v9
	s_xor_b32 s3, exec_lo, s3
	s_cbranch_execz .LBB196_65
; %bb.64:
	s_waitcnt lgkmcnt(0)
	v_cmp_lt_i64_e32 vcc_lo, v[3:4], v[1:2]
                                        ; implicit-def: $vgpr8
                                        ; implicit-def: $vgpr7
	v_cndmask_b32_e32 v2, v2, v4, vcc_lo
	v_cndmask_b32_e32 v1, v1, v3, vcc_lo
                                        ; implicit-def: $vgpr3_vgpr4
.LBB196_65:
	s_or_saveexec_b32 s3, s3
	v_mov_b32_e32 v9, 1
	s_xor_b32 exec_lo, exec_lo, s3
	s_cbranch_execz .LBB196_67
; %bb.66:
	v_and_b32_e32 v8, 1, v8
	v_and_b32_e32 v7, 0xff, v7
	v_cmp_eq_u32_e32 vcc_lo, 1, v8
	s_waitcnt lgkmcnt(0)
	v_cndmask_b32_e32 v2, v4, v2, vcc_lo
	v_cndmask_b32_e32 v1, v3, v1, vcc_lo
	v_cndmask_b32_e64 v9, v7, 1, vcc_lo
.LBB196_67:
	s_or_b32 exec_lo, exec_lo, s3
	v_mov_b32_e32 v8, v9
.LBB196_68:
	s_or_b32 exec_lo, exec_lo, s2
	s_waitcnt lgkmcnt(0)
	v_or_b32_e32 v4, 16, v6
	v_add_nc_u32_e32 v5, 4, v5
	ds_bpermute_b32 v6, v4, v8
	ds_bpermute_b32 v3, v4, v1
	;; [unrolled: 1-line block ×3, first 2 shown]
	v_cmp_gt_u32_e32 vcc_lo, s0, v5
	s_and_saveexec_b32 s0, vcc_lo
	s_cbranch_execz .LBB196_74
; %bb.69:
	s_waitcnt lgkmcnt(2)
	v_and_b32_e32 v5, v8, v6
	s_mov_b32 s2, exec_lo
	v_and_b32_e32 v5, 1, v5
	v_cmpx_eq_u32_e32 1, v5
	s_xor_b32 s2, exec_lo, s2
	s_cbranch_execz .LBB196_71
; %bb.70:
	s_waitcnt lgkmcnt(0)
	v_cmp_lt_i64_e32 vcc_lo, v[3:4], v[1:2]
                                        ; implicit-def: $vgpr8
                                        ; implicit-def: $vgpr6
	v_cndmask_b32_e32 v2, v2, v4, vcc_lo
	v_cndmask_b32_e32 v1, v1, v3, vcc_lo
                                        ; implicit-def: $vgpr3_vgpr4
.LBB196_71:
	s_or_saveexec_b32 s2, s2
	v_mov_b32_e32 v5, 1
	s_xor_b32 exec_lo, exec_lo, s2
	s_cbranch_execz .LBB196_73
; %bb.72:
	v_and_b32_e32 v5, 1, v8
	v_cmp_eq_u32_e32 vcc_lo, 1, v5
	s_waitcnt lgkmcnt(0)
	v_cndmask_b32_e32 v2, v4, v2, vcc_lo
	v_cndmask_b32_e32 v1, v3, v1, vcc_lo
	v_cndmask_b32_e64 v5, v6, 1, vcc_lo
.LBB196_73:
	s_or_b32 exec_lo, exec_lo, s2
	v_mov_b32_e32 v8, v5
.LBB196_74:
	s_or_b32 exec_lo, exec_lo, s0
.LBB196_75:
	s_or_b32 exec_lo, exec_lo, s1
.LBB196_76:
	s_load_dword s0, s[4:5], 0x50
	s_mov_b32 s1, exec_lo
	v_cmpx_eq_u32_e32 0, v0
	s_cbranch_execz .LBB196_78
; %bb.77:
	s_mul_i32 s1, s18, s17
	s_mul_hi_u32 s2, s18, s16
	s_mul_i32 s3, s19, s16
	s_add_i32 s1, s2, s1
	s_mul_i32 s2, s18, s16
	s_add_i32 s3, s1, s3
	v_mov_b32_e32 v0, 0
	s_lshl_b64 s[2:3], s[2:3], 4
	s_add_u32 s1, s14, s2
	s_addc_u32 s4, s15, s3
	s_cmp_eq_u64 s[12:13], 0
	s_cselect_b32 s5, -1, 0
	s_lshl_b64 s[2:3], s[6:7], 4
	s_waitcnt lgkmcnt(0)
	v_cndmask_b32_e64 v3, v8, s0, s5
	v_cndmask_b32_e64 v2, v2, s9, s5
	;; [unrolled: 1-line block ×3, first 2 shown]
	s_add_u32 s0, s1, s2
	s_addc_u32 s1, s4, s3
	global_store_byte v0, v3, s[0:1]
	global_store_dwordx2 v0, v[1:2], s[0:1] offset:8
.LBB196_78:
	s_endpgm
	.section	.rodata,"a",@progbits
	.p2align	6, 0x0
	.amdhsa_kernel _ZN7rocprim17ROCPRIM_400000_NS6detail17trampoline_kernelINS0_14default_configENS1_22reduce_config_selectorIN6thrust23THRUST_200600_302600_NS5tupleIblNS6_9null_typeES8_S8_S8_S8_S8_S8_S8_EEEEZNS1_11reduce_implILb1ES3_NS6_12zip_iteratorINS7_INS6_11hip_rocprim26transform_input_iterator_tIbNSD_35transform_pair_of_input_iterators_tIbNS6_6detail15normal_iteratorINS6_10device_ptrIKtEEEESL_NS6_8equal_toItEEEENSG_9not_fun_tINSD_8identityEEEEENSD_19counting_iterator_tIlEES8_S8_S8_S8_S8_S8_S8_S8_EEEEPS9_S9_NSD_9__find_if7functorIS9_EEEE10hipError_tPvRmT1_T2_T3_mT4_P12ihipStream_tbEUlT_E0_NS1_11comp_targetILNS1_3genE8ELNS1_11target_archE1030ELNS1_3gpuE2ELNS1_3repE0EEENS1_30default_config_static_selectorELNS0_4arch9wavefront6targetE0EEEvS14_
		.amdhsa_group_segment_fixed_size 256
		.amdhsa_private_segment_fixed_size 0
		.amdhsa_kernarg_size 104
		.amdhsa_user_sgpr_count 6
		.amdhsa_user_sgpr_private_segment_buffer 1
		.amdhsa_user_sgpr_dispatch_ptr 0
		.amdhsa_user_sgpr_queue_ptr 0
		.amdhsa_user_sgpr_kernarg_segment_ptr 1
		.amdhsa_user_sgpr_dispatch_id 0
		.amdhsa_user_sgpr_flat_scratch_init 0
		.amdhsa_user_sgpr_private_segment_size 0
		.amdhsa_wavefront_size32 1
		.amdhsa_uses_dynamic_stack 0
		.amdhsa_system_sgpr_private_segment_wavefront_offset 0
		.amdhsa_system_sgpr_workgroup_id_x 1
		.amdhsa_system_sgpr_workgroup_id_y 0
		.amdhsa_system_sgpr_workgroup_id_z 0
		.amdhsa_system_sgpr_workgroup_info 0
		.amdhsa_system_vgpr_workitem_id 0
		.amdhsa_next_free_vgpr 13
		.amdhsa_next_free_sgpr 28
		.amdhsa_reserve_vcc 1
		.amdhsa_reserve_flat_scratch 0
		.amdhsa_float_round_mode_32 0
		.amdhsa_float_round_mode_16_64 0
		.amdhsa_float_denorm_mode_32 3
		.amdhsa_float_denorm_mode_16_64 3
		.amdhsa_dx10_clamp 1
		.amdhsa_ieee_mode 1
		.amdhsa_fp16_overflow 0
		.amdhsa_workgroup_processor_mode 1
		.amdhsa_memory_ordered 1
		.amdhsa_forward_progress 1
		.amdhsa_shared_vgpr_count 0
		.amdhsa_exception_fp_ieee_invalid_op 0
		.amdhsa_exception_fp_denorm_src 0
		.amdhsa_exception_fp_ieee_div_zero 0
		.amdhsa_exception_fp_ieee_overflow 0
		.amdhsa_exception_fp_ieee_underflow 0
		.amdhsa_exception_fp_ieee_inexact 0
		.amdhsa_exception_int_div_zero 0
	.end_amdhsa_kernel
	.section	.text._ZN7rocprim17ROCPRIM_400000_NS6detail17trampoline_kernelINS0_14default_configENS1_22reduce_config_selectorIN6thrust23THRUST_200600_302600_NS5tupleIblNS6_9null_typeES8_S8_S8_S8_S8_S8_S8_EEEEZNS1_11reduce_implILb1ES3_NS6_12zip_iteratorINS7_INS6_11hip_rocprim26transform_input_iterator_tIbNSD_35transform_pair_of_input_iterators_tIbNS6_6detail15normal_iteratorINS6_10device_ptrIKtEEEESL_NS6_8equal_toItEEEENSG_9not_fun_tINSD_8identityEEEEENSD_19counting_iterator_tIlEES8_S8_S8_S8_S8_S8_S8_S8_EEEEPS9_S9_NSD_9__find_if7functorIS9_EEEE10hipError_tPvRmT1_T2_T3_mT4_P12ihipStream_tbEUlT_E0_NS1_11comp_targetILNS1_3genE8ELNS1_11target_archE1030ELNS1_3gpuE2ELNS1_3repE0EEENS1_30default_config_static_selectorELNS0_4arch9wavefront6targetE0EEEvS14_,"axG",@progbits,_ZN7rocprim17ROCPRIM_400000_NS6detail17trampoline_kernelINS0_14default_configENS1_22reduce_config_selectorIN6thrust23THRUST_200600_302600_NS5tupleIblNS6_9null_typeES8_S8_S8_S8_S8_S8_S8_EEEEZNS1_11reduce_implILb1ES3_NS6_12zip_iteratorINS7_INS6_11hip_rocprim26transform_input_iterator_tIbNSD_35transform_pair_of_input_iterators_tIbNS6_6detail15normal_iteratorINS6_10device_ptrIKtEEEESL_NS6_8equal_toItEEEENSG_9not_fun_tINSD_8identityEEEEENSD_19counting_iterator_tIlEES8_S8_S8_S8_S8_S8_S8_S8_EEEEPS9_S9_NSD_9__find_if7functorIS9_EEEE10hipError_tPvRmT1_T2_T3_mT4_P12ihipStream_tbEUlT_E0_NS1_11comp_targetILNS1_3genE8ELNS1_11target_archE1030ELNS1_3gpuE2ELNS1_3repE0EEENS1_30default_config_static_selectorELNS0_4arch9wavefront6targetE0EEEvS14_,comdat
.Lfunc_end196:
	.size	_ZN7rocprim17ROCPRIM_400000_NS6detail17trampoline_kernelINS0_14default_configENS1_22reduce_config_selectorIN6thrust23THRUST_200600_302600_NS5tupleIblNS6_9null_typeES8_S8_S8_S8_S8_S8_S8_EEEEZNS1_11reduce_implILb1ES3_NS6_12zip_iteratorINS7_INS6_11hip_rocprim26transform_input_iterator_tIbNSD_35transform_pair_of_input_iterators_tIbNS6_6detail15normal_iteratorINS6_10device_ptrIKtEEEESL_NS6_8equal_toItEEEENSG_9not_fun_tINSD_8identityEEEEENSD_19counting_iterator_tIlEES8_S8_S8_S8_S8_S8_S8_S8_EEEEPS9_S9_NSD_9__find_if7functorIS9_EEEE10hipError_tPvRmT1_T2_T3_mT4_P12ihipStream_tbEUlT_E0_NS1_11comp_targetILNS1_3genE8ELNS1_11target_archE1030ELNS1_3gpuE2ELNS1_3repE0EEENS1_30default_config_static_selectorELNS0_4arch9wavefront6targetE0EEEvS14_, .Lfunc_end196-_ZN7rocprim17ROCPRIM_400000_NS6detail17trampoline_kernelINS0_14default_configENS1_22reduce_config_selectorIN6thrust23THRUST_200600_302600_NS5tupleIblNS6_9null_typeES8_S8_S8_S8_S8_S8_S8_EEEEZNS1_11reduce_implILb1ES3_NS6_12zip_iteratorINS7_INS6_11hip_rocprim26transform_input_iterator_tIbNSD_35transform_pair_of_input_iterators_tIbNS6_6detail15normal_iteratorINS6_10device_ptrIKtEEEESL_NS6_8equal_toItEEEENSG_9not_fun_tINSD_8identityEEEEENSD_19counting_iterator_tIlEES8_S8_S8_S8_S8_S8_S8_S8_EEEEPS9_S9_NSD_9__find_if7functorIS9_EEEE10hipError_tPvRmT1_T2_T3_mT4_P12ihipStream_tbEUlT_E0_NS1_11comp_targetILNS1_3genE8ELNS1_11target_archE1030ELNS1_3gpuE2ELNS1_3repE0EEENS1_30default_config_static_selectorELNS0_4arch9wavefront6targetE0EEEvS14_
                                        ; -- End function
	.set _ZN7rocprim17ROCPRIM_400000_NS6detail17trampoline_kernelINS0_14default_configENS1_22reduce_config_selectorIN6thrust23THRUST_200600_302600_NS5tupleIblNS6_9null_typeES8_S8_S8_S8_S8_S8_S8_EEEEZNS1_11reduce_implILb1ES3_NS6_12zip_iteratorINS7_INS6_11hip_rocprim26transform_input_iterator_tIbNSD_35transform_pair_of_input_iterators_tIbNS6_6detail15normal_iteratorINS6_10device_ptrIKtEEEESL_NS6_8equal_toItEEEENSG_9not_fun_tINSD_8identityEEEEENSD_19counting_iterator_tIlEES8_S8_S8_S8_S8_S8_S8_S8_EEEEPS9_S9_NSD_9__find_if7functorIS9_EEEE10hipError_tPvRmT1_T2_T3_mT4_P12ihipStream_tbEUlT_E0_NS1_11comp_targetILNS1_3genE8ELNS1_11target_archE1030ELNS1_3gpuE2ELNS1_3repE0EEENS1_30default_config_static_selectorELNS0_4arch9wavefront6targetE0EEEvS14_.num_vgpr, 13
	.set _ZN7rocprim17ROCPRIM_400000_NS6detail17trampoline_kernelINS0_14default_configENS1_22reduce_config_selectorIN6thrust23THRUST_200600_302600_NS5tupleIblNS6_9null_typeES8_S8_S8_S8_S8_S8_S8_EEEEZNS1_11reduce_implILb1ES3_NS6_12zip_iteratorINS7_INS6_11hip_rocprim26transform_input_iterator_tIbNSD_35transform_pair_of_input_iterators_tIbNS6_6detail15normal_iteratorINS6_10device_ptrIKtEEEESL_NS6_8equal_toItEEEENSG_9not_fun_tINSD_8identityEEEEENSD_19counting_iterator_tIlEES8_S8_S8_S8_S8_S8_S8_S8_EEEEPS9_S9_NSD_9__find_if7functorIS9_EEEE10hipError_tPvRmT1_T2_T3_mT4_P12ihipStream_tbEUlT_E0_NS1_11comp_targetILNS1_3genE8ELNS1_11target_archE1030ELNS1_3gpuE2ELNS1_3repE0EEENS1_30default_config_static_selectorELNS0_4arch9wavefront6targetE0EEEvS14_.num_agpr, 0
	.set _ZN7rocprim17ROCPRIM_400000_NS6detail17trampoline_kernelINS0_14default_configENS1_22reduce_config_selectorIN6thrust23THRUST_200600_302600_NS5tupleIblNS6_9null_typeES8_S8_S8_S8_S8_S8_S8_EEEEZNS1_11reduce_implILb1ES3_NS6_12zip_iteratorINS7_INS6_11hip_rocprim26transform_input_iterator_tIbNSD_35transform_pair_of_input_iterators_tIbNS6_6detail15normal_iteratorINS6_10device_ptrIKtEEEESL_NS6_8equal_toItEEEENSG_9not_fun_tINSD_8identityEEEEENSD_19counting_iterator_tIlEES8_S8_S8_S8_S8_S8_S8_S8_EEEEPS9_S9_NSD_9__find_if7functorIS9_EEEE10hipError_tPvRmT1_T2_T3_mT4_P12ihipStream_tbEUlT_E0_NS1_11comp_targetILNS1_3genE8ELNS1_11target_archE1030ELNS1_3gpuE2ELNS1_3repE0EEENS1_30default_config_static_selectorELNS0_4arch9wavefront6targetE0EEEvS14_.numbered_sgpr, 28
	.set _ZN7rocprim17ROCPRIM_400000_NS6detail17trampoline_kernelINS0_14default_configENS1_22reduce_config_selectorIN6thrust23THRUST_200600_302600_NS5tupleIblNS6_9null_typeES8_S8_S8_S8_S8_S8_S8_EEEEZNS1_11reduce_implILb1ES3_NS6_12zip_iteratorINS7_INS6_11hip_rocprim26transform_input_iterator_tIbNSD_35transform_pair_of_input_iterators_tIbNS6_6detail15normal_iteratorINS6_10device_ptrIKtEEEESL_NS6_8equal_toItEEEENSG_9not_fun_tINSD_8identityEEEEENSD_19counting_iterator_tIlEES8_S8_S8_S8_S8_S8_S8_S8_EEEEPS9_S9_NSD_9__find_if7functorIS9_EEEE10hipError_tPvRmT1_T2_T3_mT4_P12ihipStream_tbEUlT_E0_NS1_11comp_targetILNS1_3genE8ELNS1_11target_archE1030ELNS1_3gpuE2ELNS1_3repE0EEENS1_30default_config_static_selectorELNS0_4arch9wavefront6targetE0EEEvS14_.num_named_barrier, 0
	.set _ZN7rocprim17ROCPRIM_400000_NS6detail17trampoline_kernelINS0_14default_configENS1_22reduce_config_selectorIN6thrust23THRUST_200600_302600_NS5tupleIblNS6_9null_typeES8_S8_S8_S8_S8_S8_S8_EEEEZNS1_11reduce_implILb1ES3_NS6_12zip_iteratorINS7_INS6_11hip_rocprim26transform_input_iterator_tIbNSD_35transform_pair_of_input_iterators_tIbNS6_6detail15normal_iteratorINS6_10device_ptrIKtEEEESL_NS6_8equal_toItEEEENSG_9not_fun_tINSD_8identityEEEEENSD_19counting_iterator_tIlEES8_S8_S8_S8_S8_S8_S8_S8_EEEEPS9_S9_NSD_9__find_if7functorIS9_EEEE10hipError_tPvRmT1_T2_T3_mT4_P12ihipStream_tbEUlT_E0_NS1_11comp_targetILNS1_3genE8ELNS1_11target_archE1030ELNS1_3gpuE2ELNS1_3repE0EEENS1_30default_config_static_selectorELNS0_4arch9wavefront6targetE0EEEvS14_.private_seg_size, 0
	.set _ZN7rocprim17ROCPRIM_400000_NS6detail17trampoline_kernelINS0_14default_configENS1_22reduce_config_selectorIN6thrust23THRUST_200600_302600_NS5tupleIblNS6_9null_typeES8_S8_S8_S8_S8_S8_S8_EEEEZNS1_11reduce_implILb1ES3_NS6_12zip_iteratorINS7_INS6_11hip_rocprim26transform_input_iterator_tIbNSD_35transform_pair_of_input_iterators_tIbNS6_6detail15normal_iteratorINS6_10device_ptrIKtEEEESL_NS6_8equal_toItEEEENSG_9not_fun_tINSD_8identityEEEEENSD_19counting_iterator_tIlEES8_S8_S8_S8_S8_S8_S8_S8_EEEEPS9_S9_NSD_9__find_if7functorIS9_EEEE10hipError_tPvRmT1_T2_T3_mT4_P12ihipStream_tbEUlT_E0_NS1_11comp_targetILNS1_3genE8ELNS1_11target_archE1030ELNS1_3gpuE2ELNS1_3repE0EEENS1_30default_config_static_selectorELNS0_4arch9wavefront6targetE0EEEvS14_.uses_vcc, 1
	.set _ZN7rocprim17ROCPRIM_400000_NS6detail17trampoline_kernelINS0_14default_configENS1_22reduce_config_selectorIN6thrust23THRUST_200600_302600_NS5tupleIblNS6_9null_typeES8_S8_S8_S8_S8_S8_S8_EEEEZNS1_11reduce_implILb1ES3_NS6_12zip_iteratorINS7_INS6_11hip_rocprim26transform_input_iterator_tIbNSD_35transform_pair_of_input_iterators_tIbNS6_6detail15normal_iteratorINS6_10device_ptrIKtEEEESL_NS6_8equal_toItEEEENSG_9not_fun_tINSD_8identityEEEEENSD_19counting_iterator_tIlEES8_S8_S8_S8_S8_S8_S8_S8_EEEEPS9_S9_NSD_9__find_if7functorIS9_EEEE10hipError_tPvRmT1_T2_T3_mT4_P12ihipStream_tbEUlT_E0_NS1_11comp_targetILNS1_3genE8ELNS1_11target_archE1030ELNS1_3gpuE2ELNS1_3repE0EEENS1_30default_config_static_selectorELNS0_4arch9wavefront6targetE0EEEvS14_.uses_flat_scratch, 0
	.set _ZN7rocprim17ROCPRIM_400000_NS6detail17trampoline_kernelINS0_14default_configENS1_22reduce_config_selectorIN6thrust23THRUST_200600_302600_NS5tupleIblNS6_9null_typeES8_S8_S8_S8_S8_S8_S8_EEEEZNS1_11reduce_implILb1ES3_NS6_12zip_iteratorINS7_INS6_11hip_rocprim26transform_input_iterator_tIbNSD_35transform_pair_of_input_iterators_tIbNS6_6detail15normal_iteratorINS6_10device_ptrIKtEEEESL_NS6_8equal_toItEEEENSG_9not_fun_tINSD_8identityEEEEENSD_19counting_iterator_tIlEES8_S8_S8_S8_S8_S8_S8_S8_EEEEPS9_S9_NSD_9__find_if7functorIS9_EEEE10hipError_tPvRmT1_T2_T3_mT4_P12ihipStream_tbEUlT_E0_NS1_11comp_targetILNS1_3genE8ELNS1_11target_archE1030ELNS1_3gpuE2ELNS1_3repE0EEENS1_30default_config_static_selectorELNS0_4arch9wavefront6targetE0EEEvS14_.has_dyn_sized_stack, 0
	.set _ZN7rocprim17ROCPRIM_400000_NS6detail17trampoline_kernelINS0_14default_configENS1_22reduce_config_selectorIN6thrust23THRUST_200600_302600_NS5tupleIblNS6_9null_typeES8_S8_S8_S8_S8_S8_S8_EEEEZNS1_11reduce_implILb1ES3_NS6_12zip_iteratorINS7_INS6_11hip_rocprim26transform_input_iterator_tIbNSD_35transform_pair_of_input_iterators_tIbNS6_6detail15normal_iteratorINS6_10device_ptrIKtEEEESL_NS6_8equal_toItEEEENSG_9not_fun_tINSD_8identityEEEEENSD_19counting_iterator_tIlEES8_S8_S8_S8_S8_S8_S8_S8_EEEEPS9_S9_NSD_9__find_if7functorIS9_EEEE10hipError_tPvRmT1_T2_T3_mT4_P12ihipStream_tbEUlT_E0_NS1_11comp_targetILNS1_3genE8ELNS1_11target_archE1030ELNS1_3gpuE2ELNS1_3repE0EEENS1_30default_config_static_selectorELNS0_4arch9wavefront6targetE0EEEvS14_.has_recursion, 0
	.set _ZN7rocprim17ROCPRIM_400000_NS6detail17trampoline_kernelINS0_14default_configENS1_22reduce_config_selectorIN6thrust23THRUST_200600_302600_NS5tupleIblNS6_9null_typeES8_S8_S8_S8_S8_S8_S8_EEEEZNS1_11reduce_implILb1ES3_NS6_12zip_iteratorINS7_INS6_11hip_rocprim26transform_input_iterator_tIbNSD_35transform_pair_of_input_iterators_tIbNS6_6detail15normal_iteratorINS6_10device_ptrIKtEEEESL_NS6_8equal_toItEEEENSG_9not_fun_tINSD_8identityEEEEENSD_19counting_iterator_tIlEES8_S8_S8_S8_S8_S8_S8_S8_EEEEPS9_S9_NSD_9__find_if7functorIS9_EEEE10hipError_tPvRmT1_T2_T3_mT4_P12ihipStream_tbEUlT_E0_NS1_11comp_targetILNS1_3genE8ELNS1_11target_archE1030ELNS1_3gpuE2ELNS1_3repE0EEENS1_30default_config_static_selectorELNS0_4arch9wavefront6targetE0EEEvS14_.has_indirect_call, 0
	.section	.AMDGPU.csdata,"",@progbits
; Kernel info:
; codeLenInByte = 3168
; TotalNumSgprs: 30
; NumVgprs: 13
; ScratchSize: 0
; MemoryBound: 0
; FloatMode: 240
; IeeeMode: 1
; LDSByteSize: 256 bytes/workgroup (compile time only)
; SGPRBlocks: 0
; VGPRBlocks: 1
; NumSGPRsForWavesPerEU: 30
; NumVGPRsForWavesPerEU: 13
; Occupancy: 16
; WaveLimiterHint : 0
; COMPUTE_PGM_RSRC2:SCRATCH_EN: 0
; COMPUTE_PGM_RSRC2:USER_SGPR: 6
; COMPUTE_PGM_RSRC2:TRAP_HANDLER: 0
; COMPUTE_PGM_RSRC2:TGID_X_EN: 1
; COMPUTE_PGM_RSRC2:TGID_Y_EN: 0
; COMPUTE_PGM_RSRC2:TGID_Z_EN: 0
; COMPUTE_PGM_RSRC2:TIDIG_COMP_CNT: 0
	.section	.text._ZN7rocprim17ROCPRIM_400000_NS6detail17trampoline_kernelINS0_14default_configENS1_22reduce_config_selectorIN6thrust23THRUST_200600_302600_NS5tupleIblNS6_9null_typeES8_S8_S8_S8_S8_S8_S8_EEEEZNS1_11reduce_implILb1ES3_NS6_12zip_iteratorINS7_INS6_11hip_rocprim26transform_input_iterator_tIbNSD_35transform_pair_of_input_iterators_tIbNS6_6detail15normal_iteratorINS6_10device_ptrIKtEEEESL_NS6_8equal_toItEEEENSG_9not_fun_tINSD_8identityEEEEENSD_19counting_iterator_tIlEES8_S8_S8_S8_S8_S8_S8_S8_EEEEPS9_S9_NSD_9__find_if7functorIS9_EEEE10hipError_tPvRmT1_T2_T3_mT4_P12ihipStream_tbEUlT_E1_NS1_11comp_targetILNS1_3genE0ELNS1_11target_archE4294967295ELNS1_3gpuE0ELNS1_3repE0EEENS1_30default_config_static_selectorELNS0_4arch9wavefront6targetE0EEEvS14_,"axG",@progbits,_ZN7rocprim17ROCPRIM_400000_NS6detail17trampoline_kernelINS0_14default_configENS1_22reduce_config_selectorIN6thrust23THRUST_200600_302600_NS5tupleIblNS6_9null_typeES8_S8_S8_S8_S8_S8_S8_EEEEZNS1_11reduce_implILb1ES3_NS6_12zip_iteratorINS7_INS6_11hip_rocprim26transform_input_iterator_tIbNSD_35transform_pair_of_input_iterators_tIbNS6_6detail15normal_iteratorINS6_10device_ptrIKtEEEESL_NS6_8equal_toItEEEENSG_9not_fun_tINSD_8identityEEEEENSD_19counting_iterator_tIlEES8_S8_S8_S8_S8_S8_S8_S8_EEEEPS9_S9_NSD_9__find_if7functorIS9_EEEE10hipError_tPvRmT1_T2_T3_mT4_P12ihipStream_tbEUlT_E1_NS1_11comp_targetILNS1_3genE0ELNS1_11target_archE4294967295ELNS1_3gpuE0ELNS1_3repE0EEENS1_30default_config_static_selectorELNS0_4arch9wavefront6targetE0EEEvS14_,comdat
	.protected	_ZN7rocprim17ROCPRIM_400000_NS6detail17trampoline_kernelINS0_14default_configENS1_22reduce_config_selectorIN6thrust23THRUST_200600_302600_NS5tupleIblNS6_9null_typeES8_S8_S8_S8_S8_S8_S8_EEEEZNS1_11reduce_implILb1ES3_NS6_12zip_iteratorINS7_INS6_11hip_rocprim26transform_input_iterator_tIbNSD_35transform_pair_of_input_iterators_tIbNS6_6detail15normal_iteratorINS6_10device_ptrIKtEEEESL_NS6_8equal_toItEEEENSG_9not_fun_tINSD_8identityEEEEENSD_19counting_iterator_tIlEES8_S8_S8_S8_S8_S8_S8_S8_EEEEPS9_S9_NSD_9__find_if7functorIS9_EEEE10hipError_tPvRmT1_T2_T3_mT4_P12ihipStream_tbEUlT_E1_NS1_11comp_targetILNS1_3genE0ELNS1_11target_archE4294967295ELNS1_3gpuE0ELNS1_3repE0EEENS1_30default_config_static_selectorELNS0_4arch9wavefront6targetE0EEEvS14_ ; -- Begin function _ZN7rocprim17ROCPRIM_400000_NS6detail17trampoline_kernelINS0_14default_configENS1_22reduce_config_selectorIN6thrust23THRUST_200600_302600_NS5tupleIblNS6_9null_typeES8_S8_S8_S8_S8_S8_S8_EEEEZNS1_11reduce_implILb1ES3_NS6_12zip_iteratorINS7_INS6_11hip_rocprim26transform_input_iterator_tIbNSD_35transform_pair_of_input_iterators_tIbNS6_6detail15normal_iteratorINS6_10device_ptrIKtEEEESL_NS6_8equal_toItEEEENSG_9not_fun_tINSD_8identityEEEEENSD_19counting_iterator_tIlEES8_S8_S8_S8_S8_S8_S8_S8_EEEEPS9_S9_NSD_9__find_if7functorIS9_EEEE10hipError_tPvRmT1_T2_T3_mT4_P12ihipStream_tbEUlT_E1_NS1_11comp_targetILNS1_3genE0ELNS1_11target_archE4294967295ELNS1_3gpuE0ELNS1_3repE0EEENS1_30default_config_static_selectorELNS0_4arch9wavefront6targetE0EEEvS14_
	.globl	_ZN7rocprim17ROCPRIM_400000_NS6detail17trampoline_kernelINS0_14default_configENS1_22reduce_config_selectorIN6thrust23THRUST_200600_302600_NS5tupleIblNS6_9null_typeES8_S8_S8_S8_S8_S8_S8_EEEEZNS1_11reduce_implILb1ES3_NS6_12zip_iteratorINS7_INS6_11hip_rocprim26transform_input_iterator_tIbNSD_35transform_pair_of_input_iterators_tIbNS6_6detail15normal_iteratorINS6_10device_ptrIKtEEEESL_NS6_8equal_toItEEEENSG_9not_fun_tINSD_8identityEEEEENSD_19counting_iterator_tIlEES8_S8_S8_S8_S8_S8_S8_S8_EEEEPS9_S9_NSD_9__find_if7functorIS9_EEEE10hipError_tPvRmT1_T2_T3_mT4_P12ihipStream_tbEUlT_E1_NS1_11comp_targetILNS1_3genE0ELNS1_11target_archE4294967295ELNS1_3gpuE0ELNS1_3repE0EEENS1_30default_config_static_selectorELNS0_4arch9wavefront6targetE0EEEvS14_
	.p2align	8
	.type	_ZN7rocprim17ROCPRIM_400000_NS6detail17trampoline_kernelINS0_14default_configENS1_22reduce_config_selectorIN6thrust23THRUST_200600_302600_NS5tupleIblNS6_9null_typeES8_S8_S8_S8_S8_S8_S8_EEEEZNS1_11reduce_implILb1ES3_NS6_12zip_iteratorINS7_INS6_11hip_rocprim26transform_input_iterator_tIbNSD_35transform_pair_of_input_iterators_tIbNS6_6detail15normal_iteratorINS6_10device_ptrIKtEEEESL_NS6_8equal_toItEEEENSG_9not_fun_tINSD_8identityEEEEENSD_19counting_iterator_tIlEES8_S8_S8_S8_S8_S8_S8_S8_EEEEPS9_S9_NSD_9__find_if7functorIS9_EEEE10hipError_tPvRmT1_T2_T3_mT4_P12ihipStream_tbEUlT_E1_NS1_11comp_targetILNS1_3genE0ELNS1_11target_archE4294967295ELNS1_3gpuE0ELNS1_3repE0EEENS1_30default_config_static_selectorELNS0_4arch9wavefront6targetE0EEEvS14_,@function
_ZN7rocprim17ROCPRIM_400000_NS6detail17trampoline_kernelINS0_14default_configENS1_22reduce_config_selectorIN6thrust23THRUST_200600_302600_NS5tupleIblNS6_9null_typeES8_S8_S8_S8_S8_S8_S8_EEEEZNS1_11reduce_implILb1ES3_NS6_12zip_iteratorINS7_INS6_11hip_rocprim26transform_input_iterator_tIbNSD_35transform_pair_of_input_iterators_tIbNS6_6detail15normal_iteratorINS6_10device_ptrIKtEEEESL_NS6_8equal_toItEEEENSG_9not_fun_tINSD_8identityEEEEENSD_19counting_iterator_tIlEES8_S8_S8_S8_S8_S8_S8_S8_EEEEPS9_S9_NSD_9__find_if7functorIS9_EEEE10hipError_tPvRmT1_T2_T3_mT4_P12ihipStream_tbEUlT_E1_NS1_11comp_targetILNS1_3genE0ELNS1_11target_archE4294967295ELNS1_3gpuE0ELNS1_3repE0EEENS1_30default_config_static_selectorELNS0_4arch9wavefront6targetE0EEEvS14_: ; @_ZN7rocprim17ROCPRIM_400000_NS6detail17trampoline_kernelINS0_14default_configENS1_22reduce_config_selectorIN6thrust23THRUST_200600_302600_NS5tupleIblNS6_9null_typeES8_S8_S8_S8_S8_S8_S8_EEEEZNS1_11reduce_implILb1ES3_NS6_12zip_iteratorINS7_INS6_11hip_rocprim26transform_input_iterator_tIbNSD_35transform_pair_of_input_iterators_tIbNS6_6detail15normal_iteratorINS6_10device_ptrIKtEEEESL_NS6_8equal_toItEEEENSG_9not_fun_tINSD_8identityEEEEENSD_19counting_iterator_tIlEES8_S8_S8_S8_S8_S8_S8_S8_EEEEPS9_S9_NSD_9__find_if7functorIS9_EEEE10hipError_tPvRmT1_T2_T3_mT4_P12ihipStream_tbEUlT_E1_NS1_11comp_targetILNS1_3genE0ELNS1_11target_archE4294967295ELNS1_3gpuE0ELNS1_3repE0EEENS1_30default_config_static_selectorELNS0_4arch9wavefront6targetE0EEEvS14_
; %bb.0:
	.section	.rodata,"a",@progbits
	.p2align	6, 0x0
	.amdhsa_kernel _ZN7rocprim17ROCPRIM_400000_NS6detail17trampoline_kernelINS0_14default_configENS1_22reduce_config_selectorIN6thrust23THRUST_200600_302600_NS5tupleIblNS6_9null_typeES8_S8_S8_S8_S8_S8_S8_EEEEZNS1_11reduce_implILb1ES3_NS6_12zip_iteratorINS7_INS6_11hip_rocprim26transform_input_iterator_tIbNSD_35transform_pair_of_input_iterators_tIbNS6_6detail15normal_iteratorINS6_10device_ptrIKtEEEESL_NS6_8equal_toItEEEENSG_9not_fun_tINSD_8identityEEEEENSD_19counting_iterator_tIlEES8_S8_S8_S8_S8_S8_S8_S8_EEEEPS9_S9_NSD_9__find_if7functorIS9_EEEE10hipError_tPvRmT1_T2_T3_mT4_P12ihipStream_tbEUlT_E1_NS1_11comp_targetILNS1_3genE0ELNS1_11target_archE4294967295ELNS1_3gpuE0ELNS1_3repE0EEENS1_30default_config_static_selectorELNS0_4arch9wavefront6targetE0EEEvS14_
		.amdhsa_group_segment_fixed_size 0
		.amdhsa_private_segment_fixed_size 0
		.amdhsa_kernarg_size 88
		.amdhsa_user_sgpr_count 6
		.amdhsa_user_sgpr_private_segment_buffer 1
		.amdhsa_user_sgpr_dispatch_ptr 0
		.amdhsa_user_sgpr_queue_ptr 0
		.amdhsa_user_sgpr_kernarg_segment_ptr 1
		.amdhsa_user_sgpr_dispatch_id 0
		.amdhsa_user_sgpr_flat_scratch_init 0
		.amdhsa_user_sgpr_private_segment_size 0
		.amdhsa_wavefront_size32 1
		.amdhsa_uses_dynamic_stack 0
		.amdhsa_system_sgpr_private_segment_wavefront_offset 0
		.amdhsa_system_sgpr_workgroup_id_x 1
		.amdhsa_system_sgpr_workgroup_id_y 0
		.amdhsa_system_sgpr_workgroup_id_z 0
		.amdhsa_system_sgpr_workgroup_info 0
		.amdhsa_system_vgpr_workitem_id 0
		.amdhsa_next_free_vgpr 1
		.amdhsa_next_free_sgpr 1
		.amdhsa_reserve_vcc 0
		.amdhsa_reserve_flat_scratch 0
		.amdhsa_float_round_mode_32 0
		.amdhsa_float_round_mode_16_64 0
		.amdhsa_float_denorm_mode_32 3
		.amdhsa_float_denorm_mode_16_64 3
		.amdhsa_dx10_clamp 1
		.amdhsa_ieee_mode 1
		.amdhsa_fp16_overflow 0
		.amdhsa_workgroup_processor_mode 1
		.amdhsa_memory_ordered 1
		.amdhsa_forward_progress 1
		.amdhsa_shared_vgpr_count 0
		.amdhsa_exception_fp_ieee_invalid_op 0
		.amdhsa_exception_fp_denorm_src 0
		.amdhsa_exception_fp_ieee_div_zero 0
		.amdhsa_exception_fp_ieee_overflow 0
		.amdhsa_exception_fp_ieee_underflow 0
		.amdhsa_exception_fp_ieee_inexact 0
		.amdhsa_exception_int_div_zero 0
	.end_amdhsa_kernel
	.section	.text._ZN7rocprim17ROCPRIM_400000_NS6detail17trampoline_kernelINS0_14default_configENS1_22reduce_config_selectorIN6thrust23THRUST_200600_302600_NS5tupleIblNS6_9null_typeES8_S8_S8_S8_S8_S8_S8_EEEEZNS1_11reduce_implILb1ES3_NS6_12zip_iteratorINS7_INS6_11hip_rocprim26transform_input_iterator_tIbNSD_35transform_pair_of_input_iterators_tIbNS6_6detail15normal_iteratorINS6_10device_ptrIKtEEEESL_NS6_8equal_toItEEEENSG_9not_fun_tINSD_8identityEEEEENSD_19counting_iterator_tIlEES8_S8_S8_S8_S8_S8_S8_S8_EEEEPS9_S9_NSD_9__find_if7functorIS9_EEEE10hipError_tPvRmT1_T2_T3_mT4_P12ihipStream_tbEUlT_E1_NS1_11comp_targetILNS1_3genE0ELNS1_11target_archE4294967295ELNS1_3gpuE0ELNS1_3repE0EEENS1_30default_config_static_selectorELNS0_4arch9wavefront6targetE0EEEvS14_,"axG",@progbits,_ZN7rocprim17ROCPRIM_400000_NS6detail17trampoline_kernelINS0_14default_configENS1_22reduce_config_selectorIN6thrust23THRUST_200600_302600_NS5tupleIblNS6_9null_typeES8_S8_S8_S8_S8_S8_S8_EEEEZNS1_11reduce_implILb1ES3_NS6_12zip_iteratorINS7_INS6_11hip_rocprim26transform_input_iterator_tIbNSD_35transform_pair_of_input_iterators_tIbNS6_6detail15normal_iteratorINS6_10device_ptrIKtEEEESL_NS6_8equal_toItEEEENSG_9not_fun_tINSD_8identityEEEEENSD_19counting_iterator_tIlEES8_S8_S8_S8_S8_S8_S8_S8_EEEEPS9_S9_NSD_9__find_if7functorIS9_EEEE10hipError_tPvRmT1_T2_T3_mT4_P12ihipStream_tbEUlT_E1_NS1_11comp_targetILNS1_3genE0ELNS1_11target_archE4294967295ELNS1_3gpuE0ELNS1_3repE0EEENS1_30default_config_static_selectorELNS0_4arch9wavefront6targetE0EEEvS14_,comdat
.Lfunc_end197:
	.size	_ZN7rocprim17ROCPRIM_400000_NS6detail17trampoline_kernelINS0_14default_configENS1_22reduce_config_selectorIN6thrust23THRUST_200600_302600_NS5tupleIblNS6_9null_typeES8_S8_S8_S8_S8_S8_S8_EEEEZNS1_11reduce_implILb1ES3_NS6_12zip_iteratorINS7_INS6_11hip_rocprim26transform_input_iterator_tIbNSD_35transform_pair_of_input_iterators_tIbNS6_6detail15normal_iteratorINS6_10device_ptrIKtEEEESL_NS6_8equal_toItEEEENSG_9not_fun_tINSD_8identityEEEEENSD_19counting_iterator_tIlEES8_S8_S8_S8_S8_S8_S8_S8_EEEEPS9_S9_NSD_9__find_if7functorIS9_EEEE10hipError_tPvRmT1_T2_T3_mT4_P12ihipStream_tbEUlT_E1_NS1_11comp_targetILNS1_3genE0ELNS1_11target_archE4294967295ELNS1_3gpuE0ELNS1_3repE0EEENS1_30default_config_static_selectorELNS0_4arch9wavefront6targetE0EEEvS14_, .Lfunc_end197-_ZN7rocprim17ROCPRIM_400000_NS6detail17trampoline_kernelINS0_14default_configENS1_22reduce_config_selectorIN6thrust23THRUST_200600_302600_NS5tupleIblNS6_9null_typeES8_S8_S8_S8_S8_S8_S8_EEEEZNS1_11reduce_implILb1ES3_NS6_12zip_iteratorINS7_INS6_11hip_rocprim26transform_input_iterator_tIbNSD_35transform_pair_of_input_iterators_tIbNS6_6detail15normal_iteratorINS6_10device_ptrIKtEEEESL_NS6_8equal_toItEEEENSG_9not_fun_tINSD_8identityEEEEENSD_19counting_iterator_tIlEES8_S8_S8_S8_S8_S8_S8_S8_EEEEPS9_S9_NSD_9__find_if7functorIS9_EEEE10hipError_tPvRmT1_T2_T3_mT4_P12ihipStream_tbEUlT_E1_NS1_11comp_targetILNS1_3genE0ELNS1_11target_archE4294967295ELNS1_3gpuE0ELNS1_3repE0EEENS1_30default_config_static_selectorELNS0_4arch9wavefront6targetE0EEEvS14_
                                        ; -- End function
	.set _ZN7rocprim17ROCPRIM_400000_NS6detail17trampoline_kernelINS0_14default_configENS1_22reduce_config_selectorIN6thrust23THRUST_200600_302600_NS5tupleIblNS6_9null_typeES8_S8_S8_S8_S8_S8_S8_EEEEZNS1_11reduce_implILb1ES3_NS6_12zip_iteratorINS7_INS6_11hip_rocprim26transform_input_iterator_tIbNSD_35transform_pair_of_input_iterators_tIbNS6_6detail15normal_iteratorINS6_10device_ptrIKtEEEESL_NS6_8equal_toItEEEENSG_9not_fun_tINSD_8identityEEEEENSD_19counting_iterator_tIlEES8_S8_S8_S8_S8_S8_S8_S8_EEEEPS9_S9_NSD_9__find_if7functorIS9_EEEE10hipError_tPvRmT1_T2_T3_mT4_P12ihipStream_tbEUlT_E1_NS1_11comp_targetILNS1_3genE0ELNS1_11target_archE4294967295ELNS1_3gpuE0ELNS1_3repE0EEENS1_30default_config_static_selectorELNS0_4arch9wavefront6targetE0EEEvS14_.num_vgpr, 0
	.set _ZN7rocprim17ROCPRIM_400000_NS6detail17trampoline_kernelINS0_14default_configENS1_22reduce_config_selectorIN6thrust23THRUST_200600_302600_NS5tupleIblNS6_9null_typeES8_S8_S8_S8_S8_S8_S8_EEEEZNS1_11reduce_implILb1ES3_NS6_12zip_iteratorINS7_INS6_11hip_rocprim26transform_input_iterator_tIbNSD_35transform_pair_of_input_iterators_tIbNS6_6detail15normal_iteratorINS6_10device_ptrIKtEEEESL_NS6_8equal_toItEEEENSG_9not_fun_tINSD_8identityEEEEENSD_19counting_iterator_tIlEES8_S8_S8_S8_S8_S8_S8_S8_EEEEPS9_S9_NSD_9__find_if7functorIS9_EEEE10hipError_tPvRmT1_T2_T3_mT4_P12ihipStream_tbEUlT_E1_NS1_11comp_targetILNS1_3genE0ELNS1_11target_archE4294967295ELNS1_3gpuE0ELNS1_3repE0EEENS1_30default_config_static_selectorELNS0_4arch9wavefront6targetE0EEEvS14_.num_agpr, 0
	.set _ZN7rocprim17ROCPRIM_400000_NS6detail17trampoline_kernelINS0_14default_configENS1_22reduce_config_selectorIN6thrust23THRUST_200600_302600_NS5tupleIblNS6_9null_typeES8_S8_S8_S8_S8_S8_S8_EEEEZNS1_11reduce_implILb1ES3_NS6_12zip_iteratorINS7_INS6_11hip_rocprim26transform_input_iterator_tIbNSD_35transform_pair_of_input_iterators_tIbNS6_6detail15normal_iteratorINS6_10device_ptrIKtEEEESL_NS6_8equal_toItEEEENSG_9not_fun_tINSD_8identityEEEEENSD_19counting_iterator_tIlEES8_S8_S8_S8_S8_S8_S8_S8_EEEEPS9_S9_NSD_9__find_if7functorIS9_EEEE10hipError_tPvRmT1_T2_T3_mT4_P12ihipStream_tbEUlT_E1_NS1_11comp_targetILNS1_3genE0ELNS1_11target_archE4294967295ELNS1_3gpuE0ELNS1_3repE0EEENS1_30default_config_static_selectorELNS0_4arch9wavefront6targetE0EEEvS14_.numbered_sgpr, 0
	.set _ZN7rocprim17ROCPRIM_400000_NS6detail17trampoline_kernelINS0_14default_configENS1_22reduce_config_selectorIN6thrust23THRUST_200600_302600_NS5tupleIblNS6_9null_typeES8_S8_S8_S8_S8_S8_S8_EEEEZNS1_11reduce_implILb1ES3_NS6_12zip_iteratorINS7_INS6_11hip_rocprim26transform_input_iterator_tIbNSD_35transform_pair_of_input_iterators_tIbNS6_6detail15normal_iteratorINS6_10device_ptrIKtEEEESL_NS6_8equal_toItEEEENSG_9not_fun_tINSD_8identityEEEEENSD_19counting_iterator_tIlEES8_S8_S8_S8_S8_S8_S8_S8_EEEEPS9_S9_NSD_9__find_if7functorIS9_EEEE10hipError_tPvRmT1_T2_T3_mT4_P12ihipStream_tbEUlT_E1_NS1_11comp_targetILNS1_3genE0ELNS1_11target_archE4294967295ELNS1_3gpuE0ELNS1_3repE0EEENS1_30default_config_static_selectorELNS0_4arch9wavefront6targetE0EEEvS14_.num_named_barrier, 0
	.set _ZN7rocprim17ROCPRIM_400000_NS6detail17trampoline_kernelINS0_14default_configENS1_22reduce_config_selectorIN6thrust23THRUST_200600_302600_NS5tupleIblNS6_9null_typeES8_S8_S8_S8_S8_S8_S8_EEEEZNS1_11reduce_implILb1ES3_NS6_12zip_iteratorINS7_INS6_11hip_rocprim26transform_input_iterator_tIbNSD_35transform_pair_of_input_iterators_tIbNS6_6detail15normal_iteratorINS6_10device_ptrIKtEEEESL_NS6_8equal_toItEEEENSG_9not_fun_tINSD_8identityEEEEENSD_19counting_iterator_tIlEES8_S8_S8_S8_S8_S8_S8_S8_EEEEPS9_S9_NSD_9__find_if7functorIS9_EEEE10hipError_tPvRmT1_T2_T3_mT4_P12ihipStream_tbEUlT_E1_NS1_11comp_targetILNS1_3genE0ELNS1_11target_archE4294967295ELNS1_3gpuE0ELNS1_3repE0EEENS1_30default_config_static_selectorELNS0_4arch9wavefront6targetE0EEEvS14_.private_seg_size, 0
	.set _ZN7rocprim17ROCPRIM_400000_NS6detail17trampoline_kernelINS0_14default_configENS1_22reduce_config_selectorIN6thrust23THRUST_200600_302600_NS5tupleIblNS6_9null_typeES8_S8_S8_S8_S8_S8_S8_EEEEZNS1_11reduce_implILb1ES3_NS6_12zip_iteratorINS7_INS6_11hip_rocprim26transform_input_iterator_tIbNSD_35transform_pair_of_input_iterators_tIbNS6_6detail15normal_iteratorINS6_10device_ptrIKtEEEESL_NS6_8equal_toItEEEENSG_9not_fun_tINSD_8identityEEEEENSD_19counting_iterator_tIlEES8_S8_S8_S8_S8_S8_S8_S8_EEEEPS9_S9_NSD_9__find_if7functorIS9_EEEE10hipError_tPvRmT1_T2_T3_mT4_P12ihipStream_tbEUlT_E1_NS1_11comp_targetILNS1_3genE0ELNS1_11target_archE4294967295ELNS1_3gpuE0ELNS1_3repE0EEENS1_30default_config_static_selectorELNS0_4arch9wavefront6targetE0EEEvS14_.uses_vcc, 0
	.set _ZN7rocprim17ROCPRIM_400000_NS6detail17trampoline_kernelINS0_14default_configENS1_22reduce_config_selectorIN6thrust23THRUST_200600_302600_NS5tupleIblNS6_9null_typeES8_S8_S8_S8_S8_S8_S8_EEEEZNS1_11reduce_implILb1ES3_NS6_12zip_iteratorINS7_INS6_11hip_rocprim26transform_input_iterator_tIbNSD_35transform_pair_of_input_iterators_tIbNS6_6detail15normal_iteratorINS6_10device_ptrIKtEEEESL_NS6_8equal_toItEEEENSG_9not_fun_tINSD_8identityEEEEENSD_19counting_iterator_tIlEES8_S8_S8_S8_S8_S8_S8_S8_EEEEPS9_S9_NSD_9__find_if7functorIS9_EEEE10hipError_tPvRmT1_T2_T3_mT4_P12ihipStream_tbEUlT_E1_NS1_11comp_targetILNS1_3genE0ELNS1_11target_archE4294967295ELNS1_3gpuE0ELNS1_3repE0EEENS1_30default_config_static_selectorELNS0_4arch9wavefront6targetE0EEEvS14_.uses_flat_scratch, 0
	.set _ZN7rocprim17ROCPRIM_400000_NS6detail17trampoline_kernelINS0_14default_configENS1_22reduce_config_selectorIN6thrust23THRUST_200600_302600_NS5tupleIblNS6_9null_typeES8_S8_S8_S8_S8_S8_S8_EEEEZNS1_11reduce_implILb1ES3_NS6_12zip_iteratorINS7_INS6_11hip_rocprim26transform_input_iterator_tIbNSD_35transform_pair_of_input_iterators_tIbNS6_6detail15normal_iteratorINS6_10device_ptrIKtEEEESL_NS6_8equal_toItEEEENSG_9not_fun_tINSD_8identityEEEEENSD_19counting_iterator_tIlEES8_S8_S8_S8_S8_S8_S8_S8_EEEEPS9_S9_NSD_9__find_if7functorIS9_EEEE10hipError_tPvRmT1_T2_T3_mT4_P12ihipStream_tbEUlT_E1_NS1_11comp_targetILNS1_3genE0ELNS1_11target_archE4294967295ELNS1_3gpuE0ELNS1_3repE0EEENS1_30default_config_static_selectorELNS0_4arch9wavefront6targetE0EEEvS14_.has_dyn_sized_stack, 0
	.set _ZN7rocprim17ROCPRIM_400000_NS6detail17trampoline_kernelINS0_14default_configENS1_22reduce_config_selectorIN6thrust23THRUST_200600_302600_NS5tupleIblNS6_9null_typeES8_S8_S8_S8_S8_S8_S8_EEEEZNS1_11reduce_implILb1ES3_NS6_12zip_iteratorINS7_INS6_11hip_rocprim26transform_input_iterator_tIbNSD_35transform_pair_of_input_iterators_tIbNS6_6detail15normal_iteratorINS6_10device_ptrIKtEEEESL_NS6_8equal_toItEEEENSG_9not_fun_tINSD_8identityEEEEENSD_19counting_iterator_tIlEES8_S8_S8_S8_S8_S8_S8_S8_EEEEPS9_S9_NSD_9__find_if7functorIS9_EEEE10hipError_tPvRmT1_T2_T3_mT4_P12ihipStream_tbEUlT_E1_NS1_11comp_targetILNS1_3genE0ELNS1_11target_archE4294967295ELNS1_3gpuE0ELNS1_3repE0EEENS1_30default_config_static_selectorELNS0_4arch9wavefront6targetE0EEEvS14_.has_recursion, 0
	.set _ZN7rocprim17ROCPRIM_400000_NS6detail17trampoline_kernelINS0_14default_configENS1_22reduce_config_selectorIN6thrust23THRUST_200600_302600_NS5tupleIblNS6_9null_typeES8_S8_S8_S8_S8_S8_S8_EEEEZNS1_11reduce_implILb1ES3_NS6_12zip_iteratorINS7_INS6_11hip_rocprim26transform_input_iterator_tIbNSD_35transform_pair_of_input_iterators_tIbNS6_6detail15normal_iteratorINS6_10device_ptrIKtEEEESL_NS6_8equal_toItEEEENSG_9not_fun_tINSD_8identityEEEEENSD_19counting_iterator_tIlEES8_S8_S8_S8_S8_S8_S8_S8_EEEEPS9_S9_NSD_9__find_if7functorIS9_EEEE10hipError_tPvRmT1_T2_T3_mT4_P12ihipStream_tbEUlT_E1_NS1_11comp_targetILNS1_3genE0ELNS1_11target_archE4294967295ELNS1_3gpuE0ELNS1_3repE0EEENS1_30default_config_static_selectorELNS0_4arch9wavefront6targetE0EEEvS14_.has_indirect_call, 0
	.section	.AMDGPU.csdata,"",@progbits
; Kernel info:
; codeLenInByte = 0
; TotalNumSgprs: 0
; NumVgprs: 0
; ScratchSize: 0
; MemoryBound: 0
; FloatMode: 240
; IeeeMode: 1
; LDSByteSize: 0 bytes/workgroup (compile time only)
; SGPRBlocks: 0
; VGPRBlocks: 0
; NumSGPRsForWavesPerEU: 1
; NumVGPRsForWavesPerEU: 1
; Occupancy: 16
; WaveLimiterHint : 0
; COMPUTE_PGM_RSRC2:SCRATCH_EN: 0
; COMPUTE_PGM_RSRC2:USER_SGPR: 6
; COMPUTE_PGM_RSRC2:TRAP_HANDLER: 0
; COMPUTE_PGM_RSRC2:TGID_X_EN: 1
; COMPUTE_PGM_RSRC2:TGID_Y_EN: 0
; COMPUTE_PGM_RSRC2:TGID_Z_EN: 0
; COMPUTE_PGM_RSRC2:TIDIG_COMP_CNT: 0
	.section	.text._ZN7rocprim17ROCPRIM_400000_NS6detail17trampoline_kernelINS0_14default_configENS1_22reduce_config_selectorIN6thrust23THRUST_200600_302600_NS5tupleIblNS6_9null_typeES8_S8_S8_S8_S8_S8_S8_EEEEZNS1_11reduce_implILb1ES3_NS6_12zip_iteratorINS7_INS6_11hip_rocprim26transform_input_iterator_tIbNSD_35transform_pair_of_input_iterators_tIbNS6_6detail15normal_iteratorINS6_10device_ptrIKtEEEESL_NS6_8equal_toItEEEENSG_9not_fun_tINSD_8identityEEEEENSD_19counting_iterator_tIlEES8_S8_S8_S8_S8_S8_S8_S8_EEEEPS9_S9_NSD_9__find_if7functorIS9_EEEE10hipError_tPvRmT1_T2_T3_mT4_P12ihipStream_tbEUlT_E1_NS1_11comp_targetILNS1_3genE5ELNS1_11target_archE942ELNS1_3gpuE9ELNS1_3repE0EEENS1_30default_config_static_selectorELNS0_4arch9wavefront6targetE0EEEvS14_,"axG",@progbits,_ZN7rocprim17ROCPRIM_400000_NS6detail17trampoline_kernelINS0_14default_configENS1_22reduce_config_selectorIN6thrust23THRUST_200600_302600_NS5tupleIblNS6_9null_typeES8_S8_S8_S8_S8_S8_S8_EEEEZNS1_11reduce_implILb1ES3_NS6_12zip_iteratorINS7_INS6_11hip_rocprim26transform_input_iterator_tIbNSD_35transform_pair_of_input_iterators_tIbNS6_6detail15normal_iteratorINS6_10device_ptrIKtEEEESL_NS6_8equal_toItEEEENSG_9not_fun_tINSD_8identityEEEEENSD_19counting_iterator_tIlEES8_S8_S8_S8_S8_S8_S8_S8_EEEEPS9_S9_NSD_9__find_if7functorIS9_EEEE10hipError_tPvRmT1_T2_T3_mT4_P12ihipStream_tbEUlT_E1_NS1_11comp_targetILNS1_3genE5ELNS1_11target_archE942ELNS1_3gpuE9ELNS1_3repE0EEENS1_30default_config_static_selectorELNS0_4arch9wavefront6targetE0EEEvS14_,comdat
	.protected	_ZN7rocprim17ROCPRIM_400000_NS6detail17trampoline_kernelINS0_14default_configENS1_22reduce_config_selectorIN6thrust23THRUST_200600_302600_NS5tupleIblNS6_9null_typeES8_S8_S8_S8_S8_S8_S8_EEEEZNS1_11reduce_implILb1ES3_NS6_12zip_iteratorINS7_INS6_11hip_rocprim26transform_input_iterator_tIbNSD_35transform_pair_of_input_iterators_tIbNS6_6detail15normal_iteratorINS6_10device_ptrIKtEEEESL_NS6_8equal_toItEEEENSG_9not_fun_tINSD_8identityEEEEENSD_19counting_iterator_tIlEES8_S8_S8_S8_S8_S8_S8_S8_EEEEPS9_S9_NSD_9__find_if7functorIS9_EEEE10hipError_tPvRmT1_T2_T3_mT4_P12ihipStream_tbEUlT_E1_NS1_11comp_targetILNS1_3genE5ELNS1_11target_archE942ELNS1_3gpuE9ELNS1_3repE0EEENS1_30default_config_static_selectorELNS0_4arch9wavefront6targetE0EEEvS14_ ; -- Begin function _ZN7rocprim17ROCPRIM_400000_NS6detail17trampoline_kernelINS0_14default_configENS1_22reduce_config_selectorIN6thrust23THRUST_200600_302600_NS5tupleIblNS6_9null_typeES8_S8_S8_S8_S8_S8_S8_EEEEZNS1_11reduce_implILb1ES3_NS6_12zip_iteratorINS7_INS6_11hip_rocprim26transform_input_iterator_tIbNSD_35transform_pair_of_input_iterators_tIbNS6_6detail15normal_iteratorINS6_10device_ptrIKtEEEESL_NS6_8equal_toItEEEENSG_9not_fun_tINSD_8identityEEEEENSD_19counting_iterator_tIlEES8_S8_S8_S8_S8_S8_S8_S8_EEEEPS9_S9_NSD_9__find_if7functorIS9_EEEE10hipError_tPvRmT1_T2_T3_mT4_P12ihipStream_tbEUlT_E1_NS1_11comp_targetILNS1_3genE5ELNS1_11target_archE942ELNS1_3gpuE9ELNS1_3repE0EEENS1_30default_config_static_selectorELNS0_4arch9wavefront6targetE0EEEvS14_
	.globl	_ZN7rocprim17ROCPRIM_400000_NS6detail17trampoline_kernelINS0_14default_configENS1_22reduce_config_selectorIN6thrust23THRUST_200600_302600_NS5tupleIblNS6_9null_typeES8_S8_S8_S8_S8_S8_S8_EEEEZNS1_11reduce_implILb1ES3_NS6_12zip_iteratorINS7_INS6_11hip_rocprim26transform_input_iterator_tIbNSD_35transform_pair_of_input_iterators_tIbNS6_6detail15normal_iteratorINS6_10device_ptrIKtEEEESL_NS6_8equal_toItEEEENSG_9not_fun_tINSD_8identityEEEEENSD_19counting_iterator_tIlEES8_S8_S8_S8_S8_S8_S8_S8_EEEEPS9_S9_NSD_9__find_if7functorIS9_EEEE10hipError_tPvRmT1_T2_T3_mT4_P12ihipStream_tbEUlT_E1_NS1_11comp_targetILNS1_3genE5ELNS1_11target_archE942ELNS1_3gpuE9ELNS1_3repE0EEENS1_30default_config_static_selectorELNS0_4arch9wavefront6targetE0EEEvS14_
	.p2align	8
	.type	_ZN7rocprim17ROCPRIM_400000_NS6detail17trampoline_kernelINS0_14default_configENS1_22reduce_config_selectorIN6thrust23THRUST_200600_302600_NS5tupleIblNS6_9null_typeES8_S8_S8_S8_S8_S8_S8_EEEEZNS1_11reduce_implILb1ES3_NS6_12zip_iteratorINS7_INS6_11hip_rocprim26transform_input_iterator_tIbNSD_35transform_pair_of_input_iterators_tIbNS6_6detail15normal_iteratorINS6_10device_ptrIKtEEEESL_NS6_8equal_toItEEEENSG_9not_fun_tINSD_8identityEEEEENSD_19counting_iterator_tIlEES8_S8_S8_S8_S8_S8_S8_S8_EEEEPS9_S9_NSD_9__find_if7functorIS9_EEEE10hipError_tPvRmT1_T2_T3_mT4_P12ihipStream_tbEUlT_E1_NS1_11comp_targetILNS1_3genE5ELNS1_11target_archE942ELNS1_3gpuE9ELNS1_3repE0EEENS1_30default_config_static_selectorELNS0_4arch9wavefront6targetE0EEEvS14_,@function
_ZN7rocprim17ROCPRIM_400000_NS6detail17trampoline_kernelINS0_14default_configENS1_22reduce_config_selectorIN6thrust23THRUST_200600_302600_NS5tupleIblNS6_9null_typeES8_S8_S8_S8_S8_S8_S8_EEEEZNS1_11reduce_implILb1ES3_NS6_12zip_iteratorINS7_INS6_11hip_rocprim26transform_input_iterator_tIbNSD_35transform_pair_of_input_iterators_tIbNS6_6detail15normal_iteratorINS6_10device_ptrIKtEEEESL_NS6_8equal_toItEEEENSG_9not_fun_tINSD_8identityEEEEENSD_19counting_iterator_tIlEES8_S8_S8_S8_S8_S8_S8_S8_EEEEPS9_S9_NSD_9__find_if7functorIS9_EEEE10hipError_tPvRmT1_T2_T3_mT4_P12ihipStream_tbEUlT_E1_NS1_11comp_targetILNS1_3genE5ELNS1_11target_archE942ELNS1_3gpuE9ELNS1_3repE0EEENS1_30default_config_static_selectorELNS0_4arch9wavefront6targetE0EEEvS14_: ; @_ZN7rocprim17ROCPRIM_400000_NS6detail17trampoline_kernelINS0_14default_configENS1_22reduce_config_selectorIN6thrust23THRUST_200600_302600_NS5tupleIblNS6_9null_typeES8_S8_S8_S8_S8_S8_S8_EEEEZNS1_11reduce_implILb1ES3_NS6_12zip_iteratorINS7_INS6_11hip_rocprim26transform_input_iterator_tIbNSD_35transform_pair_of_input_iterators_tIbNS6_6detail15normal_iteratorINS6_10device_ptrIKtEEEESL_NS6_8equal_toItEEEENSG_9not_fun_tINSD_8identityEEEEENSD_19counting_iterator_tIlEES8_S8_S8_S8_S8_S8_S8_S8_EEEEPS9_S9_NSD_9__find_if7functorIS9_EEEE10hipError_tPvRmT1_T2_T3_mT4_P12ihipStream_tbEUlT_E1_NS1_11comp_targetILNS1_3genE5ELNS1_11target_archE942ELNS1_3gpuE9ELNS1_3repE0EEENS1_30default_config_static_selectorELNS0_4arch9wavefront6targetE0EEEvS14_
; %bb.0:
	.section	.rodata,"a",@progbits
	.p2align	6, 0x0
	.amdhsa_kernel _ZN7rocprim17ROCPRIM_400000_NS6detail17trampoline_kernelINS0_14default_configENS1_22reduce_config_selectorIN6thrust23THRUST_200600_302600_NS5tupleIblNS6_9null_typeES8_S8_S8_S8_S8_S8_S8_EEEEZNS1_11reduce_implILb1ES3_NS6_12zip_iteratorINS7_INS6_11hip_rocprim26transform_input_iterator_tIbNSD_35transform_pair_of_input_iterators_tIbNS6_6detail15normal_iteratorINS6_10device_ptrIKtEEEESL_NS6_8equal_toItEEEENSG_9not_fun_tINSD_8identityEEEEENSD_19counting_iterator_tIlEES8_S8_S8_S8_S8_S8_S8_S8_EEEEPS9_S9_NSD_9__find_if7functorIS9_EEEE10hipError_tPvRmT1_T2_T3_mT4_P12ihipStream_tbEUlT_E1_NS1_11comp_targetILNS1_3genE5ELNS1_11target_archE942ELNS1_3gpuE9ELNS1_3repE0EEENS1_30default_config_static_selectorELNS0_4arch9wavefront6targetE0EEEvS14_
		.amdhsa_group_segment_fixed_size 0
		.amdhsa_private_segment_fixed_size 0
		.amdhsa_kernarg_size 88
		.amdhsa_user_sgpr_count 6
		.amdhsa_user_sgpr_private_segment_buffer 1
		.amdhsa_user_sgpr_dispatch_ptr 0
		.amdhsa_user_sgpr_queue_ptr 0
		.amdhsa_user_sgpr_kernarg_segment_ptr 1
		.amdhsa_user_sgpr_dispatch_id 0
		.amdhsa_user_sgpr_flat_scratch_init 0
		.amdhsa_user_sgpr_private_segment_size 0
		.amdhsa_wavefront_size32 1
		.amdhsa_uses_dynamic_stack 0
		.amdhsa_system_sgpr_private_segment_wavefront_offset 0
		.amdhsa_system_sgpr_workgroup_id_x 1
		.amdhsa_system_sgpr_workgroup_id_y 0
		.amdhsa_system_sgpr_workgroup_id_z 0
		.amdhsa_system_sgpr_workgroup_info 0
		.amdhsa_system_vgpr_workitem_id 0
		.amdhsa_next_free_vgpr 1
		.amdhsa_next_free_sgpr 1
		.amdhsa_reserve_vcc 0
		.amdhsa_reserve_flat_scratch 0
		.amdhsa_float_round_mode_32 0
		.amdhsa_float_round_mode_16_64 0
		.amdhsa_float_denorm_mode_32 3
		.amdhsa_float_denorm_mode_16_64 3
		.amdhsa_dx10_clamp 1
		.amdhsa_ieee_mode 1
		.amdhsa_fp16_overflow 0
		.amdhsa_workgroup_processor_mode 1
		.amdhsa_memory_ordered 1
		.amdhsa_forward_progress 1
		.amdhsa_shared_vgpr_count 0
		.amdhsa_exception_fp_ieee_invalid_op 0
		.amdhsa_exception_fp_denorm_src 0
		.amdhsa_exception_fp_ieee_div_zero 0
		.amdhsa_exception_fp_ieee_overflow 0
		.amdhsa_exception_fp_ieee_underflow 0
		.amdhsa_exception_fp_ieee_inexact 0
		.amdhsa_exception_int_div_zero 0
	.end_amdhsa_kernel
	.section	.text._ZN7rocprim17ROCPRIM_400000_NS6detail17trampoline_kernelINS0_14default_configENS1_22reduce_config_selectorIN6thrust23THRUST_200600_302600_NS5tupleIblNS6_9null_typeES8_S8_S8_S8_S8_S8_S8_EEEEZNS1_11reduce_implILb1ES3_NS6_12zip_iteratorINS7_INS6_11hip_rocprim26transform_input_iterator_tIbNSD_35transform_pair_of_input_iterators_tIbNS6_6detail15normal_iteratorINS6_10device_ptrIKtEEEESL_NS6_8equal_toItEEEENSG_9not_fun_tINSD_8identityEEEEENSD_19counting_iterator_tIlEES8_S8_S8_S8_S8_S8_S8_S8_EEEEPS9_S9_NSD_9__find_if7functorIS9_EEEE10hipError_tPvRmT1_T2_T3_mT4_P12ihipStream_tbEUlT_E1_NS1_11comp_targetILNS1_3genE5ELNS1_11target_archE942ELNS1_3gpuE9ELNS1_3repE0EEENS1_30default_config_static_selectorELNS0_4arch9wavefront6targetE0EEEvS14_,"axG",@progbits,_ZN7rocprim17ROCPRIM_400000_NS6detail17trampoline_kernelINS0_14default_configENS1_22reduce_config_selectorIN6thrust23THRUST_200600_302600_NS5tupleIblNS6_9null_typeES8_S8_S8_S8_S8_S8_S8_EEEEZNS1_11reduce_implILb1ES3_NS6_12zip_iteratorINS7_INS6_11hip_rocprim26transform_input_iterator_tIbNSD_35transform_pair_of_input_iterators_tIbNS6_6detail15normal_iteratorINS6_10device_ptrIKtEEEESL_NS6_8equal_toItEEEENSG_9not_fun_tINSD_8identityEEEEENSD_19counting_iterator_tIlEES8_S8_S8_S8_S8_S8_S8_S8_EEEEPS9_S9_NSD_9__find_if7functorIS9_EEEE10hipError_tPvRmT1_T2_T3_mT4_P12ihipStream_tbEUlT_E1_NS1_11comp_targetILNS1_3genE5ELNS1_11target_archE942ELNS1_3gpuE9ELNS1_3repE0EEENS1_30default_config_static_selectorELNS0_4arch9wavefront6targetE0EEEvS14_,comdat
.Lfunc_end198:
	.size	_ZN7rocprim17ROCPRIM_400000_NS6detail17trampoline_kernelINS0_14default_configENS1_22reduce_config_selectorIN6thrust23THRUST_200600_302600_NS5tupleIblNS6_9null_typeES8_S8_S8_S8_S8_S8_S8_EEEEZNS1_11reduce_implILb1ES3_NS6_12zip_iteratorINS7_INS6_11hip_rocprim26transform_input_iterator_tIbNSD_35transform_pair_of_input_iterators_tIbNS6_6detail15normal_iteratorINS6_10device_ptrIKtEEEESL_NS6_8equal_toItEEEENSG_9not_fun_tINSD_8identityEEEEENSD_19counting_iterator_tIlEES8_S8_S8_S8_S8_S8_S8_S8_EEEEPS9_S9_NSD_9__find_if7functorIS9_EEEE10hipError_tPvRmT1_T2_T3_mT4_P12ihipStream_tbEUlT_E1_NS1_11comp_targetILNS1_3genE5ELNS1_11target_archE942ELNS1_3gpuE9ELNS1_3repE0EEENS1_30default_config_static_selectorELNS0_4arch9wavefront6targetE0EEEvS14_, .Lfunc_end198-_ZN7rocprim17ROCPRIM_400000_NS6detail17trampoline_kernelINS0_14default_configENS1_22reduce_config_selectorIN6thrust23THRUST_200600_302600_NS5tupleIblNS6_9null_typeES8_S8_S8_S8_S8_S8_S8_EEEEZNS1_11reduce_implILb1ES3_NS6_12zip_iteratorINS7_INS6_11hip_rocprim26transform_input_iterator_tIbNSD_35transform_pair_of_input_iterators_tIbNS6_6detail15normal_iteratorINS6_10device_ptrIKtEEEESL_NS6_8equal_toItEEEENSG_9not_fun_tINSD_8identityEEEEENSD_19counting_iterator_tIlEES8_S8_S8_S8_S8_S8_S8_S8_EEEEPS9_S9_NSD_9__find_if7functorIS9_EEEE10hipError_tPvRmT1_T2_T3_mT4_P12ihipStream_tbEUlT_E1_NS1_11comp_targetILNS1_3genE5ELNS1_11target_archE942ELNS1_3gpuE9ELNS1_3repE0EEENS1_30default_config_static_selectorELNS0_4arch9wavefront6targetE0EEEvS14_
                                        ; -- End function
	.set _ZN7rocprim17ROCPRIM_400000_NS6detail17trampoline_kernelINS0_14default_configENS1_22reduce_config_selectorIN6thrust23THRUST_200600_302600_NS5tupleIblNS6_9null_typeES8_S8_S8_S8_S8_S8_S8_EEEEZNS1_11reduce_implILb1ES3_NS6_12zip_iteratorINS7_INS6_11hip_rocprim26transform_input_iterator_tIbNSD_35transform_pair_of_input_iterators_tIbNS6_6detail15normal_iteratorINS6_10device_ptrIKtEEEESL_NS6_8equal_toItEEEENSG_9not_fun_tINSD_8identityEEEEENSD_19counting_iterator_tIlEES8_S8_S8_S8_S8_S8_S8_S8_EEEEPS9_S9_NSD_9__find_if7functorIS9_EEEE10hipError_tPvRmT1_T2_T3_mT4_P12ihipStream_tbEUlT_E1_NS1_11comp_targetILNS1_3genE5ELNS1_11target_archE942ELNS1_3gpuE9ELNS1_3repE0EEENS1_30default_config_static_selectorELNS0_4arch9wavefront6targetE0EEEvS14_.num_vgpr, 0
	.set _ZN7rocprim17ROCPRIM_400000_NS6detail17trampoline_kernelINS0_14default_configENS1_22reduce_config_selectorIN6thrust23THRUST_200600_302600_NS5tupleIblNS6_9null_typeES8_S8_S8_S8_S8_S8_S8_EEEEZNS1_11reduce_implILb1ES3_NS6_12zip_iteratorINS7_INS6_11hip_rocprim26transform_input_iterator_tIbNSD_35transform_pair_of_input_iterators_tIbNS6_6detail15normal_iteratorINS6_10device_ptrIKtEEEESL_NS6_8equal_toItEEEENSG_9not_fun_tINSD_8identityEEEEENSD_19counting_iterator_tIlEES8_S8_S8_S8_S8_S8_S8_S8_EEEEPS9_S9_NSD_9__find_if7functorIS9_EEEE10hipError_tPvRmT1_T2_T3_mT4_P12ihipStream_tbEUlT_E1_NS1_11comp_targetILNS1_3genE5ELNS1_11target_archE942ELNS1_3gpuE9ELNS1_3repE0EEENS1_30default_config_static_selectorELNS0_4arch9wavefront6targetE0EEEvS14_.num_agpr, 0
	.set _ZN7rocprim17ROCPRIM_400000_NS6detail17trampoline_kernelINS0_14default_configENS1_22reduce_config_selectorIN6thrust23THRUST_200600_302600_NS5tupleIblNS6_9null_typeES8_S8_S8_S8_S8_S8_S8_EEEEZNS1_11reduce_implILb1ES3_NS6_12zip_iteratorINS7_INS6_11hip_rocprim26transform_input_iterator_tIbNSD_35transform_pair_of_input_iterators_tIbNS6_6detail15normal_iteratorINS6_10device_ptrIKtEEEESL_NS6_8equal_toItEEEENSG_9not_fun_tINSD_8identityEEEEENSD_19counting_iterator_tIlEES8_S8_S8_S8_S8_S8_S8_S8_EEEEPS9_S9_NSD_9__find_if7functorIS9_EEEE10hipError_tPvRmT1_T2_T3_mT4_P12ihipStream_tbEUlT_E1_NS1_11comp_targetILNS1_3genE5ELNS1_11target_archE942ELNS1_3gpuE9ELNS1_3repE0EEENS1_30default_config_static_selectorELNS0_4arch9wavefront6targetE0EEEvS14_.numbered_sgpr, 0
	.set _ZN7rocprim17ROCPRIM_400000_NS6detail17trampoline_kernelINS0_14default_configENS1_22reduce_config_selectorIN6thrust23THRUST_200600_302600_NS5tupleIblNS6_9null_typeES8_S8_S8_S8_S8_S8_S8_EEEEZNS1_11reduce_implILb1ES3_NS6_12zip_iteratorINS7_INS6_11hip_rocprim26transform_input_iterator_tIbNSD_35transform_pair_of_input_iterators_tIbNS6_6detail15normal_iteratorINS6_10device_ptrIKtEEEESL_NS6_8equal_toItEEEENSG_9not_fun_tINSD_8identityEEEEENSD_19counting_iterator_tIlEES8_S8_S8_S8_S8_S8_S8_S8_EEEEPS9_S9_NSD_9__find_if7functorIS9_EEEE10hipError_tPvRmT1_T2_T3_mT4_P12ihipStream_tbEUlT_E1_NS1_11comp_targetILNS1_3genE5ELNS1_11target_archE942ELNS1_3gpuE9ELNS1_3repE0EEENS1_30default_config_static_selectorELNS0_4arch9wavefront6targetE0EEEvS14_.num_named_barrier, 0
	.set _ZN7rocprim17ROCPRIM_400000_NS6detail17trampoline_kernelINS0_14default_configENS1_22reduce_config_selectorIN6thrust23THRUST_200600_302600_NS5tupleIblNS6_9null_typeES8_S8_S8_S8_S8_S8_S8_EEEEZNS1_11reduce_implILb1ES3_NS6_12zip_iteratorINS7_INS6_11hip_rocprim26transform_input_iterator_tIbNSD_35transform_pair_of_input_iterators_tIbNS6_6detail15normal_iteratorINS6_10device_ptrIKtEEEESL_NS6_8equal_toItEEEENSG_9not_fun_tINSD_8identityEEEEENSD_19counting_iterator_tIlEES8_S8_S8_S8_S8_S8_S8_S8_EEEEPS9_S9_NSD_9__find_if7functorIS9_EEEE10hipError_tPvRmT1_T2_T3_mT4_P12ihipStream_tbEUlT_E1_NS1_11comp_targetILNS1_3genE5ELNS1_11target_archE942ELNS1_3gpuE9ELNS1_3repE0EEENS1_30default_config_static_selectorELNS0_4arch9wavefront6targetE0EEEvS14_.private_seg_size, 0
	.set _ZN7rocprim17ROCPRIM_400000_NS6detail17trampoline_kernelINS0_14default_configENS1_22reduce_config_selectorIN6thrust23THRUST_200600_302600_NS5tupleIblNS6_9null_typeES8_S8_S8_S8_S8_S8_S8_EEEEZNS1_11reduce_implILb1ES3_NS6_12zip_iteratorINS7_INS6_11hip_rocprim26transform_input_iterator_tIbNSD_35transform_pair_of_input_iterators_tIbNS6_6detail15normal_iteratorINS6_10device_ptrIKtEEEESL_NS6_8equal_toItEEEENSG_9not_fun_tINSD_8identityEEEEENSD_19counting_iterator_tIlEES8_S8_S8_S8_S8_S8_S8_S8_EEEEPS9_S9_NSD_9__find_if7functorIS9_EEEE10hipError_tPvRmT1_T2_T3_mT4_P12ihipStream_tbEUlT_E1_NS1_11comp_targetILNS1_3genE5ELNS1_11target_archE942ELNS1_3gpuE9ELNS1_3repE0EEENS1_30default_config_static_selectorELNS0_4arch9wavefront6targetE0EEEvS14_.uses_vcc, 0
	.set _ZN7rocprim17ROCPRIM_400000_NS6detail17trampoline_kernelINS0_14default_configENS1_22reduce_config_selectorIN6thrust23THRUST_200600_302600_NS5tupleIblNS6_9null_typeES8_S8_S8_S8_S8_S8_S8_EEEEZNS1_11reduce_implILb1ES3_NS6_12zip_iteratorINS7_INS6_11hip_rocprim26transform_input_iterator_tIbNSD_35transform_pair_of_input_iterators_tIbNS6_6detail15normal_iteratorINS6_10device_ptrIKtEEEESL_NS6_8equal_toItEEEENSG_9not_fun_tINSD_8identityEEEEENSD_19counting_iterator_tIlEES8_S8_S8_S8_S8_S8_S8_S8_EEEEPS9_S9_NSD_9__find_if7functorIS9_EEEE10hipError_tPvRmT1_T2_T3_mT4_P12ihipStream_tbEUlT_E1_NS1_11comp_targetILNS1_3genE5ELNS1_11target_archE942ELNS1_3gpuE9ELNS1_3repE0EEENS1_30default_config_static_selectorELNS0_4arch9wavefront6targetE0EEEvS14_.uses_flat_scratch, 0
	.set _ZN7rocprim17ROCPRIM_400000_NS6detail17trampoline_kernelINS0_14default_configENS1_22reduce_config_selectorIN6thrust23THRUST_200600_302600_NS5tupleIblNS6_9null_typeES8_S8_S8_S8_S8_S8_S8_EEEEZNS1_11reduce_implILb1ES3_NS6_12zip_iteratorINS7_INS6_11hip_rocprim26transform_input_iterator_tIbNSD_35transform_pair_of_input_iterators_tIbNS6_6detail15normal_iteratorINS6_10device_ptrIKtEEEESL_NS6_8equal_toItEEEENSG_9not_fun_tINSD_8identityEEEEENSD_19counting_iterator_tIlEES8_S8_S8_S8_S8_S8_S8_S8_EEEEPS9_S9_NSD_9__find_if7functorIS9_EEEE10hipError_tPvRmT1_T2_T3_mT4_P12ihipStream_tbEUlT_E1_NS1_11comp_targetILNS1_3genE5ELNS1_11target_archE942ELNS1_3gpuE9ELNS1_3repE0EEENS1_30default_config_static_selectorELNS0_4arch9wavefront6targetE0EEEvS14_.has_dyn_sized_stack, 0
	.set _ZN7rocprim17ROCPRIM_400000_NS6detail17trampoline_kernelINS0_14default_configENS1_22reduce_config_selectorIN6thrust23THRUST_200600_302600_NS5tupleIblNS6_9null_typeES8_S8_S8_S8_S8_S8_S8_EEEEZNS1_11reduce_implILb1ES3_NS6_12zip_iteratorINS7_INS6_11hip_rocprim26transform_input_iterator_tIbNSD_35transform_pair_of_input_iterators_tIbNS6_6detail15normal_iteratorINS6_10device_ptrIKtEEEESL_NS6_8equal_toItEEEENSG_9not_fun_tINSD_8identityEEEEENSD_19counting_iterator_tIlEES8_S8_S8_S8_S8_S8_S8_S8_EEEEPS9_S9_NSD_9__find_if7functorIS9_EEEE10hipError_tPvRmT1_T2_T3_mT4_P12ihipStream_tbEUlT_E1_NS1_11comp_targetILNS1_3genE5ELNS1_11target_archE942ELNS1_3gpuE9ELNS1_3repE0EEENS1_30default_config_static_selectorELNS0_4arch9wavefront6targetE0EEEvS14_.has_recursion, 0
	.set _ZN7rocprim17ROCPRIM_400000_NS6detail17trampoline_kernelINS0_14default_configENS1_22reduce_config_selectorIN6thrust23THRUST_200600_302600_NS5tupleIblNS6_9null_typeES8_S8_S8_S8_S8_S8_S8_EEEEZNS1_11reduce_implILb1ES3_NS6_12zip_iteratorINS7_INS6_11hip_rocprim26transform_input_iterator_tIbNSD_35transform_pair_of_input_iterators_tIbNS6_6detail15normal_iteratorINS6_10device_ptrIKtEEEESL_NS6_8equal_toItEEEENSG_9not_fun_tINSD_8identityEEEEENSD_19counting_iterator_tIlEES8_S8_S8_S8_S8_S8_S8_S8_EEEEPS9_S9_NSD_9__find_if7functorIS9_EEEE10hipError_tPvRmT1_T2_T3_mT4_P12ihipStream_tbEUlT_E1_NS1_11comp_targetILNS1_3genE5ELNS1_11target_archE942ELNS1_3gpuE9ELNS1_3repE0EEENS1_30default_config_static_selectorELNS0_4arch9wavefront6targetE0EEEvS14_.has_indirect_call, 0
	.section	.AMDGPU.csdata,"",@progbits
; Kernel info:
; codeLenInByte = 0
; TotalNumSgprs: 0
; NumVgprs: 0
; ScratchSize: 0
; MemoryBound: 0
; FloatMode: 240
; IeeeMode: 1
; LDSByteSize: 0 bytes/workgroup (compile time only)
; SGPRBlocks: 0
; VGPRBlocks: 0
; NumSGPRsForWavesPerEU: 1
; NumVGPRsForWavesPerEU: 1
; Occupancy: 16
; WaveLimiterHint : 0
; COMPUTE_PGM_RSRC2:SCRATCH_EN: 0
; COMPUTE_PGM_RSRC2:USER_SGPR: 6
; COMPUTE_PGM_RSRC2:TRAP_HANDLER: 0
; COMPUTE_PGM_RSRC2:TGID_X_EN: 1
; COMPUTE_PGM_RSRC2:TGID_Y_EN: 0
; COMPUTE_PGM_RSRC2:TGID_Z_EN: 0
; COMPUTE_PGM_RSRC2:TIDIG_COMP_CNT: 0
	.section	.text._ZN7rocprim17ROCPRIM_400000_NS6detail17trampoline_kernelINS0_14default_configENS1_22reduce_config_selectorIN6thrust23THRUST_200600_302600_NS5tupleIblNS6_9null_typeES8_S8_S8_S8_S8_S8_S8_EEEEZNS1_11reduce_implILb1ES3_NS6_12zip_iteratorINS7_INS6_11hip_rocprim26transform_input_iterator_tIbNSD_35transform_pair_of_input_iterators_tIbNS6_6detail15normal_iteratorINS6_10device_ptrIKtEEEESL_NS6_8equal_toItEEEENSG_9not_fun_tINSD_8identityEEEEENSD_19counting_iterator_tIlEES8_S8_S8_S8_S8_S8_S8_S8_EEEEPS9_S9_NSD_9__find_if7functorIS9_EEEE10hipError_tPvRmT1_T2_T3_mT4_P12ihipStream_tbEUlT_E1_NS1_11comp_targetILNS1_3genE4ELNS1_11target_archE910ELNS1_3gpuE8ELNS1_3repE0EEENS1_30default_config_static_selectorELNS0_4arch9wavefront6targetE0EEEvS14_,"axG",@progbits,_ZN7rocprim17ROCPRIM_400000_NS6detail17trampoline_kernelINS0_14default_configENS1_22reduce_config_selectorIN6thrust23THRUST_200600_302600_NS5tupleIblNS6_9null_typeES8_S8_S8_S8_S8_S8_S8_EEEEZNS1_11reduce_implILb1ES3_NS6_12zip_iteratorINS7_INS6_11hip_rocprim26transform_input_iterator_tIbNSD_35transform_pair_of_input_iterators_tIbNS6_6detail15normal_iteratorINS6_10device_ptrIKtEEEESL_NS6_8equal_toItEEEENSG_9not_fun_tINSD_8identityEEEEENSD_19counting_iterator_tIlEES8_S8_S8_S8_S8_S8_S8_S8_EEEEPS9_S9_NSD_9__find_if7functorIS9_EEEE10hipError_tPvRmT1_T2_T3_mT4_P12ihipStream_tbEUlT_E1_NS1_11comp_targetILNS1_3genE4ELNS1_11target_archE910ELNS1_3gpuE8ELNS1_3repE0EEENS1_30default_config_static_selectorELNS0_4arch9wavefront6targetE0EEEvS14_,comdat
	.protected	_ZN7rocprim17ROCPRIM_400000_NS6detail17trampoline_kernelINS0_14default_configENS1_22reduce_config_selectorIN6thrust23THRUST_200600_302600_NS5tupleIblNS6_9null_typeES8_S8_S8_S8_S8_S8_S8_EEEEZNS1_11reduce_implILb1ES3_NS6_12zip_iteratorINS7_INS6_11hip_rocprim26transform_input_iterator_tIbNSD_35transform_pair_of_input_iterators_tIbNS6_6detail15normal_iteratorINS6_10device_ptrIKtEEEESL_NS6_8equal_toItEEEENSG_9not_fun_tINSD_8identityEEEEENSD_19counting_iterator_tIlEES8_S8_S8_S8_S8_S8_S8_S8_EEEEPS9_S9_NSD_9__find_if7functorIS9_EEEE10hipError_tPvRmT1_T2_T3_mT4_P12ihipStream_tbEUlT_E1_NS1_11comp_targetILNS1_3genE4ELNS1_11target_archE910ELNS1_3gpuE8ELNS1_3repE0EEENS1_30default_config_static_selectorELNS0_4arch9wavefront6targetE0EEEvS14_ ; -- Begin function _ZN7rocprim17ROCPRIM_400000_NS6detail17trampoline_kernelINS0_14default_configENS1_22reduce_config_selectorIN6thrust23THRUST_200600_302600_NS5tupleIblNS6_9null_typeES8_S8_S8_S8_S8_S8_S8_EEEEZNS1_11reduce_implILb1ES3_NS6_12zip_iteratorINS7_INS6_11hip_rocprim26transform_input_iterator_tIbNSD_35transform_pair_of_input_iterators_tIbNS6_6detail15normal_iteratorINS6_10device_ptrIKtEEEESL_NS6_8equal_toItEEEENSG_9not_fun_tINSD_8identityEEEEENSD_19counting_iterator_tIlEES8_S8_S8_S8_S8_S8_S8_S8_EEEEPS9_S9_NSD_9__find_if7functorIS9_EEEE10hipError_tPvRmT1_T2_T3_mT4_P12ihipStream_tbEUlT_E1_NS1_11comp_targetILNS1_3genE4ELNS1_11target_archE910ELNS1_3gpuE8ELNS1_3repE0EEENS1_30default_config_static_selectorELNS0_4arch9wavefront6targetE0EEEvS14_
	.globl	_ZN7rocprim17ROCPRIM_400000_NS6detail17trampoline_kernelINS0_14default_configENS1_22reduce_config_selectorIN6thrust23THRUST_200600_302600_NS5tupleIblNS6_9null_typeES8_S8_S8_S8_S8_S8_S8_EEEEZNS1_11reduce_implILb1ES3_NS6_12zip_iteratorINS7_INS6_11hip_rocprim26transform_input_iterator_tIbNSD_35transform_pair_of_input_iterators_tIbNS6_6detail15normal_iteratorINS6_10device_ptrIKtEEEESL_NS6_8equal_toItEEEENSG_9not_fun_tINSD_8identityEEEEENSD_19counting_iterator_tIlEES8_S8_S8_S8_S8_S8_S8_S8_EEEEPS9_S9_NSD_9__find_if7functorIS9_EEEE10hipError_tPvRmT1_T2_T3_mT4_P12ihipStream_tbEUlT_E1_NS1_11comp_targetILNS1_3genE4ELNS1_11target_archE910ELNS1_3gpuE8ELNS1_3repE0EEENS1_30default_config_static_selectorELNS0_4arch9wavefront6targetE0EEEvS14_
	.p2align	8
	.type	_ZN7rocprim17ROCPRIM_400000_NS6detail17trampoline_kernelINS0_14default_configENS1_22reduce_config_selectorIN6thrust23THRUST_200600_302600_NS5tupleIblNS6_9null_typeES8_S8_S8_S8_S8_S8_S8_EEEEZNS1_11reduce_implILb1ES3_NS6_12zip_iteratorINS7_INS6_11hip_rocprim26transform_input_iterator_tIbNSD_35transform_pair_of_input_iterators_tIbNS6_6detail15normal_iteratorINS6_10device_ptrIKtEEEESL_NS6_8equal_toItEEEENSG_9not_fun_tINSD_8identityEEEEENSD_19counting_iterator_tIlEES8_S8_S8_S8_S8_S8_S8_S8_EEEEPS9_S9_NSD_9__find_if7functorIS9_EEEE10hipError_tPvRmT1_T2_T3_mT4_P12ihipStream_tbEUlT_E1_NS1_11comp_targetILNS1_3genE4ELNS1_11target_archE910ELNS1_3gpuE8ELNS1_3repE0EEENS1_30default_config_static_selectorELNS0_4arch9wavefront6targetE0EEEvS14_,@function
_ZN7rocprim17ROCPRIM_400000_NS6detail17trampoline_kernelINS0_14default_configENS1_22reduce_config_selectorIN6thrust23THRUST_200600_302600_NS5tupleIblNS6_9null_typeES8_S8_S8_S8_S8_S8_S8_EEEEZNS1_11reduce_implILb1ES3_NS6_12zip_iteratorINS7_INS6_11hip_rocprim26transform_input_iterator_tIbNSD_35transform_pair_of_input_iterators_tIbNS6_6detail15normal_iteratorINS6_10device_ptrIKtEEEESL_NS6_8equal_toItEEEENSG_9not_fun_tINSD_8identityEEEEENSD_19counting_iterator_tIlEES8_S8_S8_S8_S8_S8_S8_S8_EEEEPS9_S9_NSD_9__find_if7functorIS9_EEEE10hipError_tPvRmT1_T2_T3_mT4_P12ihipStream_tbEUlT_E1_NS1_11comp_targetILNS1_3genE4ELNS1_11target_archE910ELNS1_3gpuE8ELNS1_3repE0EEENS1_30default_config_static_selectorELNS0_4arch9wavefront6targetE0EEEvS14_: ; @_ZN7rocprim17ROCPRIM_400000_NS6detail17trampoline_kernelINS0_14default_configENS1_22reduce_config_selectorIN6thrust23THRUST_200600_302600_NS5tupleIblNS6_9null_typeES8_S8_S8_S8_S8_S8_S8_EEEEZNS1_11reduce_implILb1ES3_NS6_12zip_iteratorINS7_INS6_11hip_rocprim26transform_input_iterator_tIbNSD_35transform_pair_of_input_iterators_tIbNS6_6detail15normal_iteratorINS6_10device_ptrIKtEEEESL_NS6_8equal_toItEEEENSG_9not_fun_tINSD_8identityEEEEENSD_19counting_iterator_tIlEES8_S8_S8_S8_S8_S8_S8_S8_EEEEPS9_S9_NSD_9__find_if7functorIS9_EEEE10hipError_tPvRmT1_T2_T3_mT4_P12ihipStream_tbEUlT_E1_NS1_11comp_targetILNS1_3genE4ELNS1_11target_archE910ELNS1_3gpuE8ELNS1_3repE0EEENS1_30default_config_static_selectorELNS0_4arch9wavefront6targetE0EEEvS14_
; %bb.0:
	.section	.rodata,"a",@progbits
	.p2align	6, 0x0
	.amdhsa_kernel _ZN7rocprim17ROCPRIM_400000_NS6detail17trampoline_kernelINS0_14default_configENS1_22reduce_config_selectorIN6thrust23THRUST_200600_302600_NS5tupleIblNS6_9null_typeES8_S8_S8_S8_S8_S8_S8_EEEEZNS1_11reduce_implILb1ES3_NS6_12zip_iteratorINS7_INS6_11hip_rocprim26transform_input_iterator_tIbNSD_35transform_pair_of_input_iterators_tIbNS6_6detail15normal_iteratorINS6_10device_ptrIKtEEEESL_NS6_8equal_toItEEEENSG_9not_fun_tINSD_8identityEEEEENSD_19counting_iterator_tIlEES8_S8_S8_S8_S8_S8_S8_S8_EEEEPS9_S9_NSD_9__find_if7functorIS9_EEEE10hipError_tPvRmT1_T2_T3_mT4_P12ihipStream_tbEUlT_E1_NS1_11comp_targetILNS1_3genE4ELNS1_11target_archE910ELNS1_3gpuE8ELNS1_3repE0EEENS1_30default_config_static_selectorELNS0_4arch9wavefront6targetE0EEEvS14_
		.amdhsa_group_segment_fixed_size 0
		.amdhsa_private_segment_fixed_size 0
		.amdhsa_kernarg_size 88
		.amdhsa_user_sgpr_count 6
		.amdhsa_user_sgpr_private_segment_buffer 1
		.amdhsa_user_sgpr_dispatch_ptr 0
		.amdhsa_user_sgpr_queue_ptr 0
		.amdhsa_user_sgpr_kernarg_segment_ptr 1
		.amdhsa_user_sgpr_dispatch_id 0
		.amdhsa_user_sgpr_flat_scratch_init 0
		.amdhsa_user_sgpr_private_segment_size 0
		.amdhsa_wavefront_size32 1
		.amdhsa_uses_dynamic_stack 0
		.amdhsa_system_sgpr_private_segment_wavefront_offset 0
		.amdhsa_system_sgpr_workgroup_id_x 1
		.amdhsa_system_sgpr_workgroup_id_y 0
		.amdhsa_system_sgpr_workgroup_id_z 0
		.amdhsa_system_sgpr_workgroup_info 0
		.amdhsa_system_vgpr_workitem_id 0
		.amdhsa_next_free_vgpr 1
		.amdhsa_next_free_sgpr 1
		.amdhsa_reserve_vcc 0
		.amdhsa_reserve_flat_scratch 0
		.amdhsa_float_round_mode_32 0
		.amdhsa_float_round_mode_16_64 0
		.amdhsa_float_denorm_mode_32 3
		.amdhsa_float_denorm_mode_16_64 3
		.amdhsa_dx10_clamp 1
		.amdhsa_ieee_mode 1
		.amdhsa_fp16_overflow 0
		.amdhsa_workgroup_processor_mode 1
		.amdhsa_memory_ordered 1
		.amdhsa_forward_progress 1
		.amdhsa_shared_vgpr_count 0
		.amdhsa_exception_fp_ieee_invalid_op 0
		.amdhsa_exception_fp_denorm_src 0
		.amdhsa_exception_fp_ieee_div_zero 0
		.amdhsa_exception_fp_ieee_overflow 0
		.amdhsa_exception_fp_ieee_underflow 0
		.amdhsa_exception_fp_ieee_inexact 0
		.amdhsa_exception_int_div_zero 0
	.end_amdhsa_kernel
	.section	.text._ZN7rocprim17ROCPRIM_400000_NS6detail17trampoline_kernelINS0_14default_configENS1_22reduce_config_selectorIN6thrust23THRUST_200600_302600_NS5tupleIblNS6_9null_typeES8_S8_S8_S8_S8_S8_S8_EEEEZNS1_11reduce_implILb1ES3_NS6_12zip_iteratorINS7_INS6_11hip_rocprim26transform_input_iterator_tIbNSD_35transform_pair_of_input_iterators_tIbNS6_6detail15normal_iteratorINS6_10device_ptrIKtEEEESL_NS6_8equal_toItEEEENSG_9not_fun_tINSD_8identityEEEEENSD_19counting_iterator_tIlEES8_S8_S8_S8_S8_S8_S8_S8_EEEEPS9_S9_NSD_9__find_if7functorIS9_EEEE10hipError_tPvRmT1_T2_T3_mT4_P12ihipStream_tbEUlT_E1_NS1_11comp_targetILNS1_3genE4ELNS1_11target_archE910ELNS1_3gpuE8ELNS1_3repE0EEENS1_30default_config_static_selectorELNS0_4arch9wavefront6targetE0EEEvS14_,"axG",@progbits,_ZN7rocprim17ROCPRIM_400000_NS6detail17trampoline_kernelINS0_14default_configENS1_22reduce_config_selectorIN6thrust23THRUST_200600_302600_NS5tupleIblNS6_9null_typeES8_S8_S8_S8_S8_S8_S8_EEEEZNS1_11reduce_implILb1ES3_NS6_12zip_iteratorINS7_INS6_11hip_rocprim26transform_input_iterator_tIbNSD_35transform_pair_of_input_iterators_tIbNS6_6detail15normal_iteratorINS6_10device_ptrIKtEEEESL_NS6_8equal_toItEEEENSG_9not_fun_tINSD_8identityEEEEENSD_19counting_iterator_tIlEES8_S8_S8_S8_S8_S8_S8_S8_EEEEPS9_S9_NSD_9__find_if7functorIS9_EEEE10hipError_tPvRmT1_T2_T3_mT4_P12ihipStream_tbEUlT_E1_NS1_11comp_targetILNS1_3genE4ELNS1_11target_archE910ELNS1_3gpuE8ELNS1_3repE0EEENS1_30default_config_static_selectorELNS0_4arch9wavefront6targetE0EEEvS14_,comdat
.Lfunc_end199:
	.size	_ZN7rocprim17ROCPRIM_400000_NS6detail17trampoline_kernelINS0_14default_configENS1_22reduce_config_selectorIN6thrust23THRUST_200600_302600_NS5tupleIblNS6_9null_typeES8_S8_S8_S8_S8_S8_S8_EEEEZNS1_11reduce_implILb1ES3_NS6_12zip_iteratorINS7_INS6_11hip_rocprim26transform_input_iterator_tIbNSD_35transform_pair_of_input_iterators_tIbNS6_6detail15normal_iteratorINS6_10device_ptrIKtEEEESL_NS6_8equal_toItEEEENSG_9not_fun_tINSD_8identityEEEEENSD_19counting_iterator_tIlEES8_S8_S8_S8_S8_S8_S8_S8_EEEEPS9_S9_NSD_9__find_if7functorIS9_EEEE10hipError_tPvRmT1_T2_T3_mT4_P12ihipStream_tbEUlT_E1_NS1_11comp_targetILNS1_3genE4ELNS1_11target_archE910ELNS1_3gpuE8ELNS1_3repE0EEENS1_30default_config_static_selectorELNS0_4arch9wavefront6targetE0EEEvS14_, .Lfunc_end199-_ZN7rocprim17ROCPRIM_400000_NS6detail17trampoline_kernelINS0_14default_configENS1_22reduce_config_selectorIN6thrust23THRUST_200600_302600_NS5tupleIblNS6_9null_typeES8_S8_S8_S8_S8_S8_S8_EEEEZNS1_11reduce_implILb1ES3_NS6_12zip_iteratorINS7_INS6_11hip_rocprim26transform_input_iterator_tIbNSD_35transform_pair_of_input_iterators_tIbNS6_6detail15normal_iteratorINS6_10device_ptrIKtEEEESL_NS6_8equal_toItEEEENSG_9not_fun_tINSD_8identityEEEEENSD_19counting_iterator_tIlEES8_S8_S8_S8_S8_S8_S8_S8_EEEEPS9_S9_NSD_9__find_if7functorIS9_EEEE10hipError_tPvRmT1_T2_T3_mT4_P12ihipStream_tbEUlT_E1_NS1_11comp_targetILNS1_3genE4ELNS1_11target_archE910ELNS1_3gpuE8ELNS1_3repE0EEENS1_30default_config_static_selectorELNS0_4arch9wavefront6targetE0EEEvS14_
                                        ; -- End function
	.set _ZN7rocprim17ROCPRIM_400000_NS6detail17trampoline_kernelINS0_14default_configENS1_22reduce_config_selectorIN6thrust23THRUST_200600_302600_NS5tupleIblNS6_9null_typeES8_S8_S8_S8_S8_S8_S8_EEEEZNS1_11reduce_implILb1ES3_NS6_12zip_iteratorINS7_INS6_11hip_rocprim26transform_input_iterator_tIbNSD_35transform_pair_of_input_iterators_tIbNS6_6detail15normal_iteratorINS6_10device_ptrIKtEEEESL_NS6_8equal_toItEEEENSG_9not_fun_tINSD_8identityEEEEENSD_19counting_iterator_tIlEES8_S8_S8_S8_S8_S8_S8_S8_EEEEPS9_S9_NSD_9__find_if7functorIS9_EEEE10hipError_tPvRmT1_T2_T3_mT4_P12ihipStream_tbEUlT_E1_NS1_11comp_targetILNS1_3genE4ELNS1_11target_archE910ELNS1_3gpuE8ELNS1_3repE0EEENS1_30default_config_static_selectorELNS0_4arch9wavefront6targetE0EEEvS14_.num_vgpr, 0
	.set _ZN7rocprim17ROCPRIM_400000_NS6detail17trampoline_kernelINS0_14default_configENS1_22reduce_config_selectorIN6thrust23THRUST_200600_302600_NS5tupleIblNS6_9null_typeES8_S8_S8_S8_S8_S8_S8_EEEEZNS1_11reduce_implILb1ES3_NS6_12zip_iteratorINS7_INS6_11hip_rocprim26transform_input_iterator_tIbNSD_35transform_pair_of_input_iterators_tIbNS6_6detail15normal_iteratorINS6_10device_ptrIKtEEEESL_NS6_8equal_toItEEEENSG_9not_fun_tINSD_8identityEEEEENSD_19counting_iterator_tIlEES8_S8_S8_S8_S8_S8_S8_S8_EEEEPS9_S9_NSD_9__find_if7functorIS9_EEEE10hipError_tPvRmT1_T2_T3_mT4_P12ihipStream_tbEUlT_E1_NS1_11comp_targetILNS1_3genE4ELNS1_11target_archE910ELNS1_3gpuE8ELNS1_3repE0EEENS1_30default_config_static_selectorELNS0_4arch9wavefront6targetE0EEEvS14_.num_agpr, 0
	.set _ZN7rocprim17ROCPRIM_400000_NS6detail17trampoline_kernelINS0_14default_configENS1_22reduce_config_selectorIN6thrust23THRUST_200600_302600_NS5tupleIblNS6_9null_typeES8_S8_S8_S8_S8_S8_S8_EEEEZNS1_11reduce_implILb1ES3_NS6_12zip_iteratorINS7_INS6_11hip_rocprim26transform_input_iterator_tIbNSD_35transform_pair_of_input_iterators_tIbNS6_6detail15normal_iteratorINS6_10device_ptrIKtEEEESL_NS6_8equal_toItEEEENSG_9not_fun_tINSD_8identityEEEEENSD_19counting_iterator_tIlEES8_S8_S8_S8_S8_S8_S8_S8_EEEEPS9_S9_NSD_9__find_if7functorIS9_EEEE10hipError_tPvRmT1_T2_T3_mT4_P12ihipStream_tbEUlT_E1_NS1_11comp_targetILNS1_3genE4ELNS1_11target_archE910ELNS1_3gpuE8ELNS1_3repE0EEENS1_30default_config_static_selectorELNS0_4arch9wavefront6targetE0EEEvS14_.numbered_sgpr, 0
	.set _ZN7rocprim17ROCPRIM_400000_NS6detail17trampoline_kernelINS0_14default_configENS1_22reduce_config_selectorIN6thrust23THRUST_200600_302600_NS5tupleIblNS6_9null_typeES8_S8_S8_S8_S8_S8_S8_EEEEZNS1_11reduce_implILb1ES3_NS6_12zip_iteratorINS7_INS6_11hip_rocprim26transform_input_iterator_tIbNSD_35transform_pair_of_input_iterators_tIbNS6_6detail15normal_iteratorINS6_10device_ptrIKtEEEESL_NS6_8equal_toItEEEENSG_9not_fun_tINSD_8identityEEEEENSD_19counting_iterator_tIlEES8_S8_S8_S8_S8_S8_S8_S8_EEEEPS9_S9_NSD_9__find_if7functorIS9_EEEE10hipError_tPvRmT1_T2_T3_mT4_P12ihipStream_tbEUlT_E1_NS1_11comp_targetILNS1_3genE4ELNS1_11target_archE910ELNS1_3gpuE8ELNS1_3repE0EEENS1_30default_config_static_selectorELNS0_4arch9wavefront6targetE0EEEvS14_.num_named_barrier, 0
	.set _ZN7rocprim17ROCPRIM_400000_NS6detail17trampoline_kernelINS0_14default_configENS1_22reduce_config_selectorIN6thrust23THRUST_200600_302600_NS5tupleIblNS6_9null_typeES8_S8_S8_S8_S8_S8_S8_EEEEZNS1_11reduce_implILb1ES3_NS6_12zip_iteratorINS7_INS6_11hip_rocprim26transform_input_iterator_tIbNSD_35transform_pair_of_input_iterators_tIbNS6_6detail15normal_iteratorINS6_10device_ptrIKtEEEESL_NS6_8equal_toItEEEENSG_9not_fun_tINSD_8identityEEEEENSD_19counting_iterator_tIlEES8_S8_S8_S8_S8_S8_S8_S8_EEEEPS9_S9_NSD_9__find_if7functorIS9_EEEE10hipError_tPvRmT1_T2_T3_mT4_P12ihipStream_tbEUlT_E1_NS1_11comp_targetILNS1_3genE4ELNS1_11target_archE910ELNS1_3gpuE8ELNS1_3repE0EEENS1_30default_config_static_selectorELNS0_4arch9wavefront6targetE0EEEvS14_.private_seg_size, 0
	.set _ZN7rocprim17ROCPRIM_400000_NS6detail17trampoline_kernelINS0_14default_configENS1_22reduce_config_selectorIN6thrust23THRUST_200600_302600_NS5tupleIblNS6_9null_typeES8_S8_S8_S8_S8_S8_S8_EEEEZNS1_11reduce_implILb1ES3_NS6_12zip_iteratorINS7_INS6_11hip_rocprim26transform_input_iterator_tIbNSD_35transform_pair_of_input_iterators_tIbNS6_6detail15normal_iteratorINS6_10device_ptrIKtEEEESL_NS6_8equal_toItEEEENSG_9not_fun_tINSD_8identityEEEEENSD_19counting_iterator_tIlEES8_S8_S8_S8_S8_S8_S8_S8_EEEEPS9_S9_NSD_9__find_if7functorIS9_EEEE10hipError_tPvRmT1_T2_T3_mT4_P12ihipStream_tbEUlT_E1_NS1_11comp_targetILNS1_3genE4ELNS1_11target_archE910ELNS1_3gpuE8ELNS1_3repE0EEENS1_30default_config_static_selectorELNS0_4arch9wavefront6targetE0EEEvS14_.uses_vcc, 0
	.set _ZN7rocprim17ROCPRIM_400000_NS6detail17trampoline_kernelINS0_14default_configENS1_22reduce_config_selectorIN6thrust23THRUST_200600_302600_NS5tupleIblNS6_9null_typeES8_S8_S8_S8_S8_S8_S8_EEEEZNS1_11reduce_implILb1ES3_NS6_12zip_iteratorINS7_INS6_11hip_rocprim26transform_input_iterator_tIbNSD_35transform_pair_of_input_iterators_tIbNS6_6detail15normal_iteratorINS6_10device_ptrIKtEEEESL_NS6_8equal_toItEEEENSG_9not_fun_tINSD_8identityEEEEENSD_19counting_iterator_tIlEES8_S8_S8_S8_S8_S8_S8_S8_EEEEPS9_S9_NSD_9__find_if7functorIS9_EEEE10hipError_tPvRmT1_T2_T3_mT4_P12ihipStream_tbEUlT_E1_NS1_11comp_targetILNS1_3genE4ELNS1_11target_archE910ELNS1_3gpuE8ELNS1_3repE0EEENS1_30default_config_static_selectorELNS0_4arch9wavefront6targetE0EEEvS14_.uses_flat_scratch, 0
	.set _ZN7rocprim17ROCPRIM_400000_NS6detail17trampoline_kernelINS0_14default_configENS1_22reduce_config_selectorIN6thrust23THRUST_200600_302600_NS5tupleIblNS6_9null_typeES8_S8_S8_S8_S8_S8_S8_EEEEZNS1_11reduce_implILb1ES3_NS6_12zip_iteratorINS7_INS6_11hip_rocprim26transform_input_iterator_tIbNSD_35transform_pair_of_input_iterators_tIbNS6_6detail15normal_iteratorINS6_10device_ptrIKtEEEESL_NS6_8equal_toItEEEENSG_9not_fun_tINSD_8identityEEEEENSD_19counting_iterator_tIlEES8_S8_S8_S8_S8_S8_S8_S8_EEEEPS9_S9_NSD_9__find_if7functorIS9_EEEE10hipError_tPvRmT1_T2_T3_mT4_P12ihipStream_tbEUlT_E1_NS1_11comp_targetILNS1_3genE4ELNS1_11target_archE910ELNS1_3gpuE8ELNS1_3repE0EEENS1_30default_config_static_selectorELNS0_4arch9wavefront6targetE0EEEvS14_.has_dyn_sized_stack, 0
	.set _ZN7rocprim17ROCPRIM_400000_NS6detail17trampoline_kernelINS0_14default_configENS1_22reduce_config_selectorIN6thrust23THRUST_200600_302600_NS5tupleIblNS6_9null_typeES8_S8_S8_S8_S8_S8_S8_EEEEZNS1_11reduce_implILb1ES3_NS6_12zip_iteratorINS7_INS6_11hip_rocprim26transform_input_iterator_tIbNSD_35transform_pair_of_input_iterators_tIbNS6_6detail15normal_iteratorINS6_10device_ptrIKtEEEESL_NS6_8equal_toItEEEENSG_9not_fun_tINSD_8identityEEEEENSD_19counting_iterator_tIlEES8_S8_S8_S8_S8_S8_S8_S8_EEEEPS9_S9_NSD_9__find_if7functorIS9_EEEE10hipError_tPvRmT1_T2_T3_mT4_P12ihipStream_tbEUlT_E1_NS1_11comp_targetILNS1_3genE4ELNS1_11target_archE910ELNS1_3gpuE8ELNS1_3repE0EEENS1_30default_config_static_selectorELNS0_4arch9wavefront6targetE0EEEvS14_.has_recursion, 0
	.set _ZN7rocprim17ROCPRIM_400000_NS6detail17trampoline_kernelINS0_14default_configENS1_22reduce_config_selectorIN6thrust23THRUST_200600_302600_NS5tupleIblNS6_9null_typeES8_S8_S8_S8_S8_S8_S8_EEEEZNS1_11reduce_implILb1ES3_NS6_12zip_iteratorINS7_INS6_11hip_rocprim26transform_input_iterator_tIbNSD_35transform_pair_of_input_iterators_tIbNS6_6detail15normal_iteratorINS6_10device_ptrIKtEEEESL_NS6_8equal_toItEEEENSG_9not_fun_tINSD_8identityEEEEENSD_19counting_iterator_tIlEES8_S8_S8_S8_S8_S8_S8_S8_EEEEPS9_S9_NSD_9__find_if7functorIS9_EEEE10hipError_tPvRmT1_T2_T3_mT4_P12ihipStream_tbEUlT_E1_NS1_11comp_targetILNS1_3genE4ELNS1_11target_archE910ELNS1_3gpuE8ELNS1_3repE0EEENS1_30default_config_static_selectorELNS0_4arch9wavefront6targetE0EEEvS14_.has_indirect_call, 0
	.section	.AMDGPU.csdata,"",@progbits
; Kernel info:
; codeLenInByte = 0
; TotalNumSgprs: 0
; NumVgprs: 0
; ScratchSize: 0
; MemoryBound: 0
; FloatMode: 240
; IeeeMode: 1
; LDSByteSize: 0 bytes/workgroup (compile time only)
; SGPRBlocks: 0
; VGPRBlocks: 0
; NumSGPRsForWavesPerEU: 1
; NumVGPRsForWavesPerEU: 1
; Occupancy: 16
; WaveLimiterHint : 0
; COMPUTE_PGM_RSRC2:SCRATCH_EN: 0
; COMPUTE_PGM_RSRC2:USER_SGPR: 6
; COMPUTE_PGM_RSRC2:TRAP_HANDLER: 0
; COMPUTE_PGM_RSRC2:TGID_X_EN: 1
; COMPUTE_PGM_RSRC2:TGID_Y_EN: 0
; COMPUTE_PGM_RSRC2:TGID_Z_EN: 0
; COMPUTE_PGM_RSRC2:TIDIG_COMP_CNT: 0
	.section	.text._ZN7rocprim17ROCPRIM_400000_NS6detail17trampoline_kernelINS0_14default_configENS1_22reduce_config_selectorIN6thrust23THRUST_200600_302600_NS5tupleIblNS6_9null_typeES8_S8_S8_S8_S8_S8_S8_EEEEZNS1_11reduce_implILb1ES3_NS6_12zip_iteratorINS7_INS6_11hip_rocprim26transform_input_iterator_tIbNSD_35transform_pair_of_input_iterators_tIbNS6_6detail15normal_iteratorINS6_10device_ptrIKtEEEESL_NS6_8equal_toItEEEENSG_9not_fun_tINSD_8identityEEEEENSD_19counting_iterator_tIlEES8_S8_S8_S8_S8_S8_S8_S8_EEEEPS9_S9_NSD_9__find_if7functorIS9_EEEE10hipError_tPvRmT1_T2_T3_mT4_P12ihipStream_tbEUlT_E1_NS1_11comp_targetILNS1_3genE3ELNS1_11target_archE908ELNS1_3gpuE7ELNS1_3repE0EEENS1_30default_config_static_selectorELNS0_4arch9wavefront6targetE0EEEvS14_,"axG",@progbits,_ZN7rocprim17ROCPRIM_400000_NS6detail17trampoline_kernelINS0_14default_configENS1_22reduce_config_selectorIN6thrust23THRUST_200600_302600_NS5tupleIblNS6_9null_typeES8_S8_S8_S8_S8_S8_S8_EEEEZNS1_11reduce_implILb1ES3_NS6_12zip_iteratorINS7_INS6_11hip_rocprim26transform_input_iterator_tIbNSD_35transform_pair_of_input_iterators_tIbNS6_6detail15normal_iteratorINS6_10device_ptrIKtEEEESL_NS6_8equal_toItEEEENSG_9not_fun_tINSD_8identityEEEEENSD_19counting_iterator_tIlEES8_S8_S8_S8_S8_S8_S8_S8_EEEEPS9_S9_NSD_9__find_if7functorIS9_EEEE10hipError_tPvRmT1_T2_T3_mT4_P12ihipStream_tbEUlT_E1_NS1_11comp_targetILNS1_3genE3ELNS1_11target_archE908ELNS1_3gpuE7ELNS1_3repE0EEENS1_30default_config_static_selectorELNS0_4arch9wavefront6targetE0EEEvS14_,comdat
	.protected	_ZN7rocprim17ROCPRIM_400000_NS6detail17trampoline_kernelINS0_14default_configENS1_22reduce_config_selectorIN6thrust23THRUST_200600_302600_NS5tupleIblNS6_9null_typeES8_S8_S8_S8_S8_S8_S8_EEEEZNS1_11reduce_implILb1ES3_NS6_12zip_iteratorINS7_INS6_11hip_rocprim26transform_input_iterator_tIbNSD_35transform_pair_of_input_iterators_tIbNS6_6detail15normal_iteratorINS6_10device_ptrIKtEEEESL_NS6_8equal_toItEEEENSG_9not_fun_tINSD_8identityEEEEENSD_19counting_iterator_tIlEES8_S8_S8_S8_S8_S8_S8_S8_EEEEPS9_S9_NSD_9__find_if7functorIS9_EEEE10hipError_tPvRmT1_T2_T3_mT4_P12ihipStream_tbEUlT_E1_NS1_11comp_targetILNS1_3genE3ELNS1_11target_archE908ELNS1_3gpuE7ELNS1_3repE0EEENS1_30default_config_static_selectorELNS0_4arch9wavefront6targetE0EEEvS14_ ; -- Begin function _ZN7rocprim17ROCPRIM_400000_NS6detail17trampoline_kernelINS0_14default_configENS1_22reduce_config_selectorIN6thrust23THRUST_200600_302600_NS5tupleIblNS6_9null_typeES8_S8_S8_S8_S8_S8_S8_EEEEZNS1_11reduce_implILb1ES3_NS6_12zip_iteratorINS7_INS6_11hip_rocprim26transform_input_iterator_tIbNSD_35transform_pair_of_input_iterators_tIbNS6_6detail15normal_iteratorINS6_10device_ptrIKtEEEESL_NS6_8equal_toItEEEENSG_9not_fun_tINSD_8identityEEEEENSD_19counting_iterator_tIlEES8_S8_S8_S8_S8_S8_S8_S8_EEEEPS9_S9_NSD_9__find_if7functorIS9_EEEE10hipError_tPvRmT1_T2_T3_mT4_P12ihipStream_tbEUlT_E1_NS1_11comp_targetILNS1_3genE3ELNS1_11target_archE908ELNS1_3gpuE7ELNS1_3repE0EEENS1_30default_config_static_selectorELNS0_4arch9wavefront6targetE0EEEvS14_
	.globl	_ZN7rocprim17ROCPRIM_400000_NS6detail17trampoline_kernelINS0_14default_configENS1_22reduce_config_selectorIN6thrust23THRUST_200600_302600_NS5tupleIblNS6_9null_typeES8_S8_S8_S8_S8_S8_S8_EEEEZNS1_11reduce_implILb1ES3_NS6_12zip_iteratorINS7_INS6_11hip_rocprim26transform_input_iterator_tIbNSD_35transform_pair_of_input_iterators_tIbNS6_6detail15normal_iteratorINS6_10device_ptrIKtEEEESL_NS6_8equal_toItEEEENSG_9not_fun_tINSD_8identityEEEEENSD_19counting_iterator_tIlEES8_S8_S8_S8_S8_S8_S8_S8_EEEEPS9_S9_NSD_9__find_if7functorIS9_EEEE10hipError_tPvRmT1_T2_T3_mT4_P12ihipStream_tbEUlT_E1_NS1_11comp_targetILNS1_3genE3ELNS1_11target_archE908ELNS1_3gpuE7ELNS1_3repE0EEENS1_30default_config_static_selectorELNS0_4arch9wavefront6targetE0EEEvS14_
	.p2align	8
	.type	_ZN7rocprim17ROCPRIM_400000_NS6detail17trampoline_kernelINS0_14default_configENS1_22reduce_config_selectorIN6thrust23THRUST_200600_302600_NS5tupleIblNS6_9null_typeES8_S8_S8_S8_S8_S8_S8_EEEEZNS1_11reduce_implILb1ES3_NS6_12zip_iteratorINS7_INS6_11hip_rocprim26transform_input_iterator_tIbNSD_35transform_pair_of_input_iterators_tIbNS6_6detail15normal_iteratorINS6_10device_ptrIKtEEEESL_NS6_8equal_toItEEEENSG_9not_fun_tINSD_8identityEEEEENSD_19counting_iterator_tIlEES8_S8_S8_S8_S8_S8_S8_S8_EEEEPS9_S9_NSD_9__find_if7functorIS9_EEEE10hipError_tPvRmT1_T2_T3_mT4_P12ihipStream_tbEUlT_E1_NS1_11comp_targetILNS1_3genE3ELNS1_11target_archE908ELNS1_3gpuE7ELNS1_3repE0EEENS1_30default_config_static_selectorELNS0_4arch9wavefront6targetE0EEEvS14_,@function
_ZN7rocprim17ROCPRIM_400000_NS6detail17trampoline_kernelINS0_14default_configENS1_22reduce_config_selectorIN6thrust23THRUST_200600_302600_NS5tupleIblNS6_9null_typeES8_S8_S8_S8_S8_S8_S8_EEEEZNS1_11reduce_implILb1ES3_NS6_12zip_iteratorINS7_INS6_11hip_rocprim26transform_input_iterator_tIbNSD_35transform_pair_of_input_iterators_tIbNS6_6detail15normal_iteratorINS6_10device_ptrIKtEEEESL_NS6_8equal_toItEEEENSG_9not_fun_tINSD_8identityEEEEENSD_19counting_iterator_tIlEES8_S8_S8_S8_S8_S8_S8_S8_EEEEPS9_S9_NSD_9__find_if7functorIS9_EEEE10hipError_tPvRmT1_T2_T3_mT4_P12ihipStream_tbEUlT_E1_NS1_11comp_targetILNS1_3genE3ELNS1_11target_archE908ELNS1_3gpuE7ELNS1_3repE0EEENS1_30default_config_static_selectorELNS0_4arch9wavefront6targetE0EEEvS14_: ; @_ZN7rocprim17ROCPRIM_400000_NS6detail17trampoline_kernelINS0_14default_configENS1_22reduce_config_selectorIN6thrust23THRUST_200600_302600_NS5tupleIblNS6_9null_typeES8_S8_S8_S8_S8_S8_S8_EEEEZNS1_11reduce_implILb1ES3_NS6_12zip_iteratorINS7_INS6_11hip_rocprim26transform_input_iterator_tIbNSD_35transform_pair_of_input_iterators_tIbNS6_6detail15normal_iteratorINS6_10device_ptrIKtEEEESL_NS6_8equal_toItEEEENSG_9not_fun_tINSD_8identityEEEEENSD_19counting_iterator_tIlEES8_S8_S8_S8_S8_S8_S8_S8_EEEEPS9_S9_NSD_9__find_if7functorIS9_EEEE10hipError_tPvRmT1_T2_T3_mT4_P12ihipStream_tbEUlT_E1_NS1_11comp_targetILNS1_3genE3ELNS1_11target_archE908ELNS1_3gpuE7ELNS1_3repE0EEENS1_30default_config_static_selectorELNS0_4arch9wavefront6targetE0EEEvS14_
; %bb.0:
	.section	.rodata,"a",@progbits
	.p2align	6, 0x0
	.amdhsa_kernel _ZN7rocprim17ROCPRIM_400000_NS6detail17trampoline_kernelINS0_14default_configENS1_22reduce_config_selectorIN6thrust23THRUST_200600_302600_NS5tupleIblNS6_9null_typeES8_S8_S8_S8_S8_S8_S8_EEEEZNS1_11reduce_implILb1ES3_NS6_12zip_iteratorINS7_INS6_11hip_rocprim26transform_input_iterator_tIbNSD_35transform_pair_of_input_iterators_tIbNS6_6detail15normal_iteratorINS6_10device_ptrIKtEEEESL_NS6_8equal_toItEEEENSG_9not_fun_tINSD_8identityEEEEENSD_19counting_iterator_tIlEES8_S8_S8_S8_S8_S8_S8_S8_EEEEPS9_S9_NSD_9__find_if7functorIS9_EEEE10hipError_tPvRmT1_T2_T3_mT4_P12ihipStream_tbEUlT_E1_NS1_11comp_targetILNS1_3genE3ELNS1_11target_archE908ELNS1_3gpuE7ELNS1_3repE0EEENS1_30default_config_static_selectorELNS0_4arch9wavefront6targetE0EEEvS14_
		.amdhsa_group_segment_fixed_size 0
		.amdhsa_private_segment_fixed_size 0
		.amdhsa_kernarg_size 88
		.amdhsa_user_sgpr_count 6
		.amdhsa_user_sgpr_private_segment_buffer 1
		.amdhsa_user_sgpr_dispatch_ptr 0
		.amdhsa_user_sgpr_queue_ptr 0
		.amdhsa_user_sgpr_kernarg_segment_ptr 1
		.amdhsa_user_sgpr_dispatch_id 0
		.amdhsa_user_sgpr_flat_scratch_init 0
		.amdhsa_user_sgpr_private_segment_size 0
		.amdhsa_wavefront_size32 1
		.amdhsa_uses_dynamic_stack 0
		.amdhsa_system_sgpr_private_segment_wavefront_offset 0
		.amdhsa_system_sgpr_workgroup_id_x 1
		.amdhsa_system_sgpr_workgroup_id_y 0
		.amdhsa_system_sgpr_workgroup_id_z 0
		.amdhsa_system_sgpr_workgroup_info 0
		.amdhsa_system_vgpr_workitem_id 0
		.amdhsa_next_free_vgpr 1
		.amdhsa_next_free_sgpr 1
		.amdhsa_reserve_vcc 0
		.amdhsa_reserve_flat_scratch 0
		.amdhsa_float_round_mode_32 0
		.amdhsa_float_round_mode_16_64 0
		.amdhsa_float_denorm_mode_32 3
		.amdhsa_float_denorm_mode_16_64 3
		.amdhsa_dx10_clamp 1
		.amdhsa_ieee_mode 1
		.amdhsa_fp16_overflow 0
		.amdhsa_workgroup_processor_mode 1
		.amdhsa_memory_ordered 1
		.amdhsa_forward_progress 1
		.amdhsa_shared_vgpr_count 0
		.amdhsa_exception_fp_ieee_invalid_op 0
		.amdhsa_exception_fp_denorm_src 0
		.amdhsa_exception_fp_ieee_div_zero 0
		.amdhsa_exception_fp_ieee_overflow 0
		.amdhsa_exception_fp_ieee_underflow 0
		.amdhsa_exception_fp_ieee_inexact 0
		.amdhsa_exception_int_div_zero 0
	.end_amdhsa_kernel
	.section	.text._ZN7rocprim17ROCPRIM_400000_NS6detail17trampoline_kernelINS0_14default_configENS1_22reduce_config_selectorIN6thrust23THRUST_200600_302600_NS5tupleIblNS6_9null_typeES8_S8_S8_S8_S8_S8_S8_EEEEZNS1_11reduce_implILb1ES3_NS6_12zip_iteratorINS7_INS6_11hip_rocprim26transform_input_iterator_tIbNSD_35transform_pair_of_input_iterators_tIbNS6_6detail15normal_iteratorINS6_10device_ptrIKtEEEESL_NS6_8equal_toItEEEENSG_9not_fun_tINSD_8identityEEEEENSD_19counting_iterator_tIlEES8_S8_S8_S8_S8_S8_S8_S8_EEEEPS9_S9_NSD_9__find_if7functorIS9_EEEE10hipError_tPvRmT1_T2_T3_mT4_P12ihipStream_tbEUlT_E1_NS1_11comp_targetILNS1_3genE3ELNS1_11target_archE908ELNS1_3gpuE7ELNS1_3repE0EEENS1_30default_config_static_selectorELNS0_4arch9wavefront6targetE0EEEvS14_,"axG",@progbits,_ZN7rocprim17ROCPRIM_400000_NS6detail17trampoline_kernelINS0_14default_configENS1_22reduce_config_selectorIN6thrust23THRUST_200600_302600_NS5tupleIblNS6_9null_typeES8_S8_S8_S8_S8_S8_S8_EEEEZNS1_11reduce_implILb1ES3_NS6_12zip_iteratorINS7_INS6_11hip_rocprim26transform_input_iterator_tIbNSD_35transform_pair_of_input_iterators_tIbNS6_6detail15normal_iteratorINS6_10device_ptrIKtEEEESL_NS6_8equal_toItEEEENSG_9not_fun_tINSD_8identityEEEEENSD_19counting_iterator_tIlEES8_S8_S8_S8_S8_S8_S8_S8_EEEEPS9_S9_NSD_9__find_if7functorIS9_EEEE10hipError_tPvRmT1_T2_T3_mT4_P12ihipStream_tbEUlT_E1_NS1_11comp_targetILNS1_3genE3ELNS1_11target_archE908ELNS1_3gpuE7ELNS1_3repE0EEENS1_30default_config_static_selectorELNS0_4arch9wavefront6targetE0EEEvS14_,comdat
.Lfunc_end200:
	.size	_ZN7rocprim17ROCPRIM_400000_NS6detail17trampoline_kernelINS0_14default_configENS1_22reduce_config_selectorIN6thrust23THRUST_200600_302600_NS5tupleIblNS6_9null_typeES8_S8_S8_S8_S8_S8_S8_EEEEZNS1_11reduce_implILb1ES3_NS6_12zip_iteratorINS7_INS6_11hip_rocprim26transform_input_iterator_tIbNSD_35transform_pair_of_input_iterators_tIbNS6_6detail15normal_iteratorINS6_10device_ptrIKtEEEESL_NS6_8equal_toItEEEENSG_9not_fun_tINSD_8identityEEEEENSD_19counting_iterator_tIlEES8_S8_S8_S8_S8_S8_S8_S8_EEEEPS9_S9_NSD_9__find_if7functorIS9_EEEE10hipError_tPvRmT1_T2_T3_mT4_P12ihipStream_tbEUlT_E1_NS1_11comp_targetILNS1_3genE3ELNS1_11target_archE908ELNS1_3gpuE7ELNS1_3repE0EEENS1_30default_config_static_selectorELNS0_4arch9wavefront6targetE0EEEvS14_, .Lfunc_end200-_ZN7rocprim17ROCPRIM_400000_NS6detail17trampoline_kernelINS0_14default_configENS1_22reduce_config_selectorIN6thrust23THRUST_200600_302600_NS5tupleIblNS6_9null_typeES8_S8_S8_S8_S8_S8_S8_EEEEZNS1_11reduce_implILb1ES3_NS6_12zip_iteratorINS7_INS6_11hip_rocprim26transform_input_iterator_tIbNSD_35transform_pair_of_input_iterators_tIbNS6_6detail15normal_iteratorINS6_10device_ptrIKtEEEESL_NS6_8equal_toItEEEENSG_9not_fun_tINSD_8identityEEEEENSD_19counting_iterator_tIlEES8_S8_S8_S8_S8_S8_S8_S8_EEEEPS9_S9_NSD_9__find_if7functorIS9_EEEE10hipError_tPvRmT1_T2_T3_mT4_P12ihipStream_tbEUlT_E1_NS1_11comp_targetILNS1_3genE3ELNS1_11target_archE908ELNS1_3gpuE7ELNS1_3repE0EEENS1_30default_config_static_selectorELNS0_4arch9wavefront6targetE0EEEvS14_
                                        ; -- End function
	.set _ZN7rocprim17ROCPRIM_400000_NS6detail17trampoline_kernelINS0_14default_configENS1_22reduce_config_selectorIN6thrust23THRUST_200600_302600_NS5tupleIblNS6_9null_typeES8_S8_S8_S8_S8_S8_S8_EEEEZNS1_11reduce_implILb1ES3_NS6_12zip_iteratorINS7_INS6_11hip_rocprim26transform_input_iterator_tIbNSD_35transform_pair_of_input_iterators_tIbNS6_6detail15normal_iteratorINS6_10device_ptrIKtEEEESL_NS6_8equal_toItEEEENSG_9not_fun_tINSD_8identityEEEEENSD_19counting_iterator_tIlEES8_S8_S8_S8_S8_S8_S8_S8_EEEEPS9_S9_NSD_9__find_if7functorIS9_EEEE10hipError_tPvRmT1_T2_T3_mT4_P12ihipStream_tbEUlT_E1_NS1_11comp_targetILNS1_3genE3ELNS1_11target_archE908ELNS1_3gpuE7ELNS1_3repE0EEENS1_30default_config_static_selectorELNS0_4arch9wavefront6targetE0EEEvS14_.num_vgpr, 0
	.set _ZN7rocprim17ROCPRIM_400000_NS6detail17trampoline_kernelINS0_14default_configENS1_22reduce_config_selectorIN6thrust23THRUST_200600_302600_NS5tupleIblNS6_9null_typeES8_S8_S8_S8_S8_S8_S8_EEEEZNS1_11reduce_implILb1ES3_NS6_12zip_iteratorINS7_INS6_11hip_rocprim26transform_input_iterator_tIbNSD_35transform_pair_of_input_iterators_tIbNS6_6detail15normal_iteratorINS6_10device_ptrIKtEEEESL_NS6_8equal_toItEEEENSG_9not_fun_tINSD_8identityEEEEENSD_19counting_iterator_tIlEES8_S8_S8_S8_S8_S8_S8_S8_EEEEPS9_S9_NSD_9__find_if7functorIS9_EEEE10hipError_tPvRmT1_T2_T3_mT4_P12ihipStream_tbEUlT_E1_NS1_11comp_targetILNS1_3genE3ELNS1_11target_archE908ELNS1_3gpuE7ELNS1_3repE0EEENS1_30default_config_static_selectorELNS0_4arch9wavefront6targetE0EEEvS14_.num_agpr, 0
	.set _ZN7rocprim17ROCPRIM_400000_NS6detail17trampoline_kernelINS0_14default_configENS1_22reduce_config_selectorIN6thrust23THRUST_200600_302600_NS5tupleIblNS6_9null_typeES8_S8_S8_S8_S8_S8_S8_EEEEZNS1_11reduce_implILb1ES3_NS6_12zip_iteratorINS7_INS6_11hip_rocprim26transform_input_iterator_tIbNSD_35transform_pair_of_input_iterators_tIbNS6_6detail15normal_iteratorINS6_10device_ptrIKtEEEESL_NS6_8equal_toItEEEENSG_9not_fun_tINSD_8identityEEEEENSD_19counting_iterator_tIlEES8_S8_S8_S8_S8_S8_S8_S8_EEEEPS9_S9_NSD_9__find_if7functorIS9_EEEE10hipError_tPvRmT1_T2_T3_mT4_P12ihipStream_tbEUlT_E1_NS1_11comp_targetILNS1_3genE3ELNS1_11target_archE908ELNS1_3gpuE7ELNS1_3repE0EEENS1_30default_config_static_selectorELNS0_4arch9wavefront6targetE0EEEvS14_.numbered_sgpr, 0
	.set _ZN7rocprim17ROCPRIM_400000_NS6detail17trampoline_kernelINS0_14default_configENS1_22reduce_config_selectorIN6thrust23THRUST_200600_302600_NS5tupleIblNS6_9null_typeES8_S8_S8_S8_S8_S8_S8_EEEEZNS1_11reduce_implILb1ES3_NS6_12zip_iteratorINS7_INS6_11hip_rocprim26transform_input_iterator_tIbNSD_35transform_pair_of_input_iterators_tIbNS6_6detail15normal_iteratorINS6_10device_ptrIKtEEEESL_NS6_8equal_toItEEEENSG_9not_fun_tINSD_8identityEEEEENSD_19counting_iterator_tIlEES8_S8_S8_S8_S8_S8_S8_S8_EEEEPS9_S9_NSD_9__find_if7functorIS9_EEEE10hipError_tPvRmT1_T2_T3_mT4_P12ihipStream_tbEUlT_E1_NS1_11comp_targetILNS1_3genE3ELNS1_11target_archE908ELNS1_3gpuE7ELNS1_3repE0EEENS1_30default_config_static_selectorELNS0_4arch9wavefront6targetE0EEEvS14_.num_named_barrier, 0
	.set _ZN7rocprim17ROCPRIM_400000_NS6detail17trampoline_kernelINS0_14default_configENS1_22reduce_config_selectorIN6thrust23THRUST_200600_302600_NS5tupleIblNS6_9null_typeES8_S8_S8_S8_S8_S8_S8_EEEEZNS1_11reduce_implILb1ES3_NS6_12zip_iteratorINS7_INS6_11hip_rocprim26transform_input_iterator_tIbNSD_35transform_pair_of_input_iterators_tIbNS6_6detail15normal_iteratorINS6_10device_ptrIKtEEEESL_NS6_8equal_toItEEEENSG_9not_fun_tINSD_8identityEEEEENSD_19counting_iterator_tIlEES8_S8_S8_S8_S8_S8_S8_S8_EEEEPS9_S9_NSD_9__find_if7functorIS9_EEEE10hipError_tPvRmT1_T2_T3_mT4_P12ihipStream_tbEUlT_E1_NS1_11comp_targetILNS1_3genE3ELNS1_11target_archE908ELNS1_3gpuE7ELNS1_3repE0EEENS1_30default_config_static_selectorELNS0_4arch9wavefront6targetE0EEEvS14_.private_seg_size, 0
	.set _ZN7rocprim17ROCPRIM_400000_NS6detail17trampoline_kernelINS0_14default_configENS1_22reduce_config_selectorIN6thrust23THRUST_200600_302600_NS5tupleIblNS6_9null_typeES8_S8_S8_S8_S8_S8_S8_EEEEZNS1_11reduce_implILb1ES3_NS6_12zip_iteratorINS7_INS6_11hip_rocprim26transform_input_iterator_tIbNSD_35transform_pair_of_input_iterators_tIbNS6_6detail15normal_iteratorINS6_10device_ptrIKtEEEESL_NS6_8equal_toItEEEENSG_9not_fun_tINSD_8identityEEEEENSD_19counting_iterator_tIlEES8_S8_S8_S8_S8_S8_S8_S8_EEEEPS9_S9_NSD_9__find_if7functorIS9_EEEE10hipError_tPvRmT1_T2_T3_mT4_P12ihipStream_tbEUlT_E1_NS1_11comp_targetILNS1_3genE3ELNS1_11target_archE908ELNS1_3gpuE7ELNS1_3repE0EEENS1_30default_config_static_selectorELNS0_4arch9wavefront6targetE0EEEvS14_.uses_vcc, 0
	.set _ZN7rocprim17ROCPRIM_400000_NS6detail17trampoline_kernelINS0_14default_configENS1_22reduce_config_selectorIN6thrust23THRUST_200600_302600_NS5tupleIblNS6_9null_typeES8_S8_S8_S8_S8_S8_S8_EEEEZNS1_11reduce_implILb1ES3_NS6_12zip_iteratorINS7_INS6_11hip_rocprim26transform_input_iterator_tIbNSD_35transform_pair_of_input_iterators_tIbNS6_6detail15normal_iteratorINS6_10device_ptrIKtEEEESL_NS6_8equal_toItEEEENSG_9not_fun_tINSD_8identityEEEEENSD_19counting_iterator_tIlEES8_S8_S8_S8_S8_S8_S8_S8_EEEEPS9_S9_NSD_9__find_if7functorIS9_EEEE10hipError_tPvRmT1_T2_T3_mT4_P12ihipStream_tbEUlT_E1_NS1_11comp_targetILNS1_3genE3ELNS1_11target_archE908ELNS1_3gpuE7ELNS1_3repE0EEENS1_30default_config_static_selectorELNS0_4arch9wavefront6targetE0EEEvS14_.uses_flat_scratch, 0
	.set _ZN7rocprim17ROCPRIM_400000_NS6detail17trampoline_kernelINS0_14default_configENS1_22reduce_config_selectorIN6thrust23THRUST_200600_302600_NS5tupleIblNS6_9null_typeES8_S8_S8_S8_S8_S8_S8_EEEEZNS1_11reduce_implILb1ES3_NS6_12zip_iteratorINS7_INS6_11hip_rocprim26transform_input_iterator_tIbNSD_35transform_pair_of_input_iterators_tIbNS6_6detail15normal_iteratorINS6_10device_ptrIKtEEEESL_NS6_8equal_toItEEEENSG_9not_fun_tINSD_8identityEEEEENSD_19counting_iterator_tIlEES8_S8_S8_S8_S8_S8_S8_S8_EEEEPS9_S9_NSD_9__find_if7functorIS9_EEEE10hipError_tPvRmT1_T2_T3_mT4_P12ihipStream_tbEUlT_E1_NS1_11comp_targetILNS1_3genE3ELNS1_11target_archE908ELNS1_3gpuE7ELNS1_3repE0EEENS1_30default_config_static_selectorELNS0_4arch9wavefront6targetE0EEEvS14_.has_dyn_sized_stack, 0
	.set _ZN7rocprim17ROCPRIM_400000_NS6detail17trampoline_kernelINS0_14default_configENS1_22reduce_config_selectorIN6thrust23THRUST_200600_302600_NS5tupleIblNS6_9null_typeES8_S8_S8_S8_S8_S8_S8_EEEEZNS1_11reduce_implILb1ES3_NS6_12zip_iteratorINS7_INS6_11hip_rocprim26transform_input_iterator_tIbNSD_35transform_pair_of_input_iterators_tIbNS6_6detail15normal_iteratorINS6_10device_ptrIKtEEEESL_NS6_8equal_toItEEEENSG_9not_fun_tINSD_8identityEEEEENSD_19counting_iterator_tIlEES8_S8_S8_S8_S8_S8_S8_S8_EEEEPS9_S9_NSD_9__find_if7functorIS9_EEEE10hipError_tPvRmT1_T2_T3_mT4_P12ihipStream_tbEUlT_E1_NS1_11comp_targetILNS1_3genE3ELNS1_11target_archE908ELNS1_3gpuE7ELNS1_3repE0EEENS1_30default_config_static_selectorELNS0_4arch9wavefront6targetE0EEEvS14_.has_recursion, 0
	.set _ZN7rocprim17ROCPRIM_400000_NS6detail17trampoline_kernelINS0_14default_configENS1_22reduce_config_selectorIN6thrust23THRUST_200600_302600_NS5tupleIblNS6_9null_typeES8_S8_S8_S8_S8_S8_S8_EEEEZNS1_11reduce_implILb1ES3_NS6_12zip_iteratorINS7_INS6_11hip_rocprim26transform_input_iterator_tIbNSD_35transform_pair_of_input_iterators_tIbNS6_6detail15normal_iteratorINS6_10device_ptrIKtEEEESL_NS6_8equal_toItEEEENSG_9not_fun_tINSD_8identityEEEEENSD_19counting_iterator_tIlEES8_S8_S8_S8_S8_S8_S8_S8_EEEEPS9_S9_NSD_9__find_if7functorIS9_EEEE10hipError_tPvRmT1_T2_T3_mT4_P12ihipStream_tbEUlT_E1_NS1_11comp_targetILNS1_3genE3ELNS1_11target_archE908ELNS1_3gpuE7ELNS1_3repE0EEENS1_30default_config_static_selectorELNS0_4arch9wavefront6targetE0EEEvS14_.has_indirect_call, 0
	.section	.AMDGPU.csdata,"",@progbits
; Kernel info:
; codeLenInByte = 0
; TotalNumSgprs: 0
; NumVgprs: 0
; ScratchSize: 0
; MemoryBound: 0
; FloatMode: 240
; IeeeMode: 1
; LDSByteSize: 0 bytes/workgroup (compile time only)
; SGPRBlocks: 0
; VGPRBlocks: 0
; NumSGPRsForWavesPerEU: 1
; NumVGPRsForWavesPerEU: 1
; Occupancy: 16
; WaveLimiterHint : 0
; COMPUTE_PGM_RSRC2:SCRATCH_EN: 0
; COMPUTE_PGM_RSRC2:USER_SGPR: 6
; COMPUTE_PGM_RSRC2:TRAP_HANDLER: 0
; COMPUTE_PGM_RSRC2:TGID_X_EN: 1
; COMPUTE_PGM_RSRC2:TGID_Y_EN: 0
; COMPUTE_PGM_RSRC2:TGID_Z_EN: 0
; COMPUTE_PGM_RSRC2:TIDIG_COMP_CNT: 0
	.section	.text._ZN7rocprim17ROCPRIM_400000_NS6detail17trampoline_kernelINS0_14default_configENS1_22reduce_config_selectorIN6thrust23THRUST_200600_302600_NS5tupleIblNS6_9null_typeES8_S8_S8_S8_S8_S8_S8_EEEEZNS1_11reduce_implILb1ES3_NS6_12zip_iteratorINS7_INS6_11hip_rocprim26transform_input_iterator_tIbNSD_35transform_pair_of_input_iterators_tIbNS6_6detail15normal_iteratorINS6_10device_ptrIKtEEEESL_NS6_8equal_toItEEEENSG_9not_fun_tINSD_8identityEEEEENSD_19counting_iterator_tIlEES8_S8_S8_S8_S8_S8_S8_S8_EEEEPS9_S9_NSD_9__find_if7functorIS9_EEEE10hipError_tPvRmT1_T2_T3_mT4_P12ihipStream_tbEUlT_E1_NS1_11comp_targetILNS1_3genE2ELNS1_11target_archE906ELNS1_3gpuE6ELNS1_3repE0EEENS1_30default_config_static_selectorELNS0_4arch9wavefront6targetE0EEEvS14_,"axG",@progbits,_ZN7rocprim17ROCPRIM_400000_NS6detail17trampoline_kernelINS0_14default_configENS1_22reduce_config_selectorIN6thrust23THRUST_200600_302600_NS5tupleIblNS6_9null_typeES8_S8_S8_S8_S8_S8_S8_EEEEZNS1_11reduce_implILb1ES3_NS6_12zip_iteratorINS7_INS6_11hip_rocprim26transform_input_iterator_tIbNSD_35transform_pair_of_input_iterators_tIbNS6_6detail15normal_iteratorINS6_10device_ptrIKtEEEESL_NS6_8equal_toItEEEENSG_9not_fun_tINSD_8identityEEEEENSD_19counting_iterator_tIlEES8_S8_S8_S8_S8_S8_S8_S8_EEEEPS9_S9_NSD_9__find_if7functorIS9_EEEE10hipError_tPvRmT1_T2_T3_mT4_P12ihipStream_tbEUlT_E1_NS1_11comp_targetILNS1_3genE2ELNS1_11target_archE906ELNS1_3gpuE6ELNS1_3repE0EEENS1_30default_config_static_selectorELNS0_4arch9wavefront6targetE0EEEvS14_,comdat
	.protected	_ZN7rocprim17ROCPRIM_400000_NS6detail17trampoline_kernelINS0_14default_configENS1_22reduce_config_selectorIN6thrust23THRUST_200600_302600_NS5tupleIblNS6_9null_typeES8_S8_S8_S8_S8_S8_S8_EEEEZNS1_11reduce_implILb1ES3_NS6_12zip_iteratorINS7_INS6_11hip_rocprim26transform_input_iterator_tIbNSD_35transform_pair_of_input_iterators_tIbNS6_6detail15normal_iteratorINS6_10device_ptrIKtEEEESL_NS6_8equal_toItEEEENSG_9not_fun_tINSD_8identityEEEEENSD_19counting_iterator_tIlEES8_S8_S8_S8_S8_S8_S8_S8_EEEEPS9_S9_NSD_9__find_if7functorIS9_EEEE10hipError_tPvRmT1_T2_T3_mT4_P12ihipStream_tbEUlT_E1_NS1_11comp_targetILNS1_3genE2ELNS1_11target_archE906ELNS1_3gpuE6ELNS1_3repE0EEENS1_30default_config_static_selectorELNS0_4arch9wavefront6targetE0EEEvS14_ ; -- Begin function _ZN7rocprim17ROCPRIM_400000_NS6detail17trampoline_kernelINS0_14default_configENS1_22reduce_config_selectorIN6thrust23THRUST_200600_302600_NS5tupleIblNS6_9null_typeES8_S8_S8_S8_S8_S8_S8_EEEEZNS1_11reduce_implILb1ES3_NS6_12zip_iteratorINS7_INS6_11hip_rocprim26transform_input_iterator_tIbNSD_35transform_pair_of_input_iterators_tIbNS6_6detail15normal_iteratorINS6_10device_ptrIKtEEEESL_NS6_8equal_toItEEEENSG_9not_fun_tINSD_8identityEEEEENSD_19counting_iterator_tIlEES8_S8_S8_S8_S8_S8_S8_S8_EEEEPS9_S9_NSD_9__find_if7functorIS9_EEEE10hipError_tPvRmT1_T2_T3_mT4_P12ihipStream_tbEUlT_E1_NS1_11comp_targetILNS1_3genE2ELNS1_11target_archE906ELNS1_3gpuE6ELNS1_3repE0EEENS1_30default_config_static_selectorELNS0_4arch9wavefront6targetE0EEEvS14_
	.globl	_ZN7rocprim17ROCPRIM_400000_NS6detail17trampoline_kernelINS0_14default_configENS1_22reduce_config_selectorIN6thrust23THRUST_200600_302600_NS5tupleIblNS6_9null_typeES8_S8_S8_S8_S8_S8_S8_EEEEZNS1_11reduce_implILb1ES3_NS6_12zip_iteratorINS7_INS6_11hip_rocprim26transform_input_iterator_tIbNSD_35transform_pair_of_input_iterators_tIbNS6_6detail15normal_iteratorINS6_10device_ptrIKtEEEESL_NS6_8equal_toItEEEENSG_9not_fun_tINSD_8identityEEEEENSD_19counting_iterator_tIlEES8_S8_S8_S8_S8_S8_S8_S8_EEEEPS9_S9_NSD_9__find_if7functorIS9_EEEE10hipError_tPvRmT1_T2_T3_mT4_P12ihipStream_tbEUlT_E1_NS1_11comp_targetILNS1_3genE2ELNS1_11target_archE906ELNS1_3gpuE6ELNS1_3repE0EEENS1_30default_config_static_selectorELNS0_4arch9wavefront6targetE0EEEvS14_
	.p2align	8
	.type	_ZN7rocprim17ROCPRIM_400000_NS6detail17trampoline_kernelINS0_14default_configENS1_22reduce_config_selectorIN6thrust23THRUST_200600_302600_NS5tupleIblNS6_9null_typeES8_S8_S8_S8_S8_S8_S8_EEEEZNS1_11reduce_implILb1ES3_NS6_12zip_iteratorINS7_INS6_11hip_rocprim26transform_input_iterator_tIbNSD_35transform_pair_of_input_iterators_tIbNS6_6detail15normal_iteratorINS6_10device_ptrIKtEEEESL_NS6_8equal_toItEEEENSG_9not_fun_tINSD_8identityEEEEENSD_19counting_iterator_tIlEES8_S8_S8_S8_S8_S8_S8_S8_EEEEPS9_S9_NSD_9__find_if7functorIS9_EEEE10hipError_tPvRmT1_T2_T3_mT4_P12ihipStream_tbEUlT_E1_NS1_11comp_targetILNS1_3genE2ELNS1_11target_archE906ELNS1_3gpuE6ELNS1_3repE0EEENS1_30default_config_static_selectorELNS0_4arch9wavefront6targetE0EEEvS14_,@function
_ZN7rocprim17ROCPRIM_400000_NS6detail17trampoline_kernelINS0_14default_configENS1_22reduce_config_selectorIN6thrust23THRUST_200600_302600_NS5tupleIblNS6_9null_typeES8_S8_S8_S8_S8_S8_S8_EEEEZNS1_11reduce_implILb1ES3_NS6_12zip_iteratorINS7_INS6_11hip_rocprim26transform_input_iterator_tIbNSD_35transform_pair_of_input_iterators_tIbNS6_6detail15normal_iteratorINS6_10device_ptrIKtEEEESL_NS6_8equal_toItEEEENSG_9not_fun_tINSD_8identityEEEEENSD_19counting_iterator_tIlEES8_S8_S8_S8_S8_S8_S8_S8_EEEEPS9_S9_NSD_9__find_if7functorIS9_EEEE10hipError_tPvRmT1_T2_T3_mT4_P12ihipStream_tbEUlT_E1_NS1_11comp_targetILNS1_3genE2ELNS1_11target_archE906ELNS1_3gpuE6ELNS1_3repE0EEENS1_30default_config_static_selectorELNS0_4arch9wavefront6targetE0EEEvS14_: ; @_ZN7rocprim17ROCPRIM_400000_NS6detail17trampoline_kernelINS0_14default_configENS1_22reduce_config_selectorIN6thrust23THRUST_200600_302600_NS5tupleIblNS6_9null_typeES8_S8_S8_S8_S8_S8_S8_EEEEZNS1_11reduce_implILb1ES3_NS6_12zip_iteratorINS7_INS6_11hip_rocprim26transform_input_iterator_tIbNSD_35transform_pair_of_input_iterators_tIbNS6_6detail15normal_iteratorINS6_10device_ptrIKtEEEESL_NS6_8equal_toItEEEENSG_9not_fun_tINSD_8identityEEEEENSD_19counting_iterator_tIlEES8_S8_S8_S8_S8_S8_S8_S8_EEEEPS9_S9_NSD_9__find_if7functorIS9_EEEE10hipError_tPvRmT1_T2_T3_mT4_P12ihipStream_tbEUlT_E1_NS1_11comp_targetILNS1_3genE2ELNS1_11target_archE906ELNS1_3gpuE6ELNS1_3repE0EEENS1_30default_config_static_selectorELNS0_4arch9wavefront6targetE0EEEvS14_
; %bb.0:
	.section	.rodata,"a",@progbits
	.p2align	6, 0x0
	.amdhsa_kernel _ZN7rocprim17ROCPRIM_400000_NS6detail17trampoline_kernelINS0_14default_configENS1_22reduce_config_selectorIN6thrust23THRUST_200600_302600_NS5tupleIblNS6_9null_typeES8_S8_S8_S8_S8_S8_S8_EEEEZNS1_11reduce_implILb1ES3_NS6_12zip_iteratorINS7_INS6_11hip_rocprim26transform_input_iterator_tIbNSD_35transform_pair_of_input_iterators_tIbNS6_6detail15normal_iteratorINS6_10device_ptrIKtEEEESL_NS6_8equal_toItEEEENSG_9not_fun_tINSD_8identityEEEEENSD_19counting_iterator_tIlEES8_S8_S8_S8_S8_S8_S8_S8_EEEEPS9_S9_NSD_9__find_if7functorIS9_EEEE10hipError_tPvRmT1_T2_T3_mT4_P12ihipStream_tbEUlT_E1_NS1_11comp_targetILNS1_3genE2ELNS1_11target_archE906ELNS1_3gpuE6ELNS1_3repE0EEENS1_30default_config_static_selectorELNS0_4arch9wavefront6targetE0EEEvS14_
		.amdhsa_group_segment_fixed_size 0
		.amdhsa_private_segment_fixed_size 0
		.amdhsa_kernarg_size 88
		.amdhsa_user_sgpr_count 6
		.amdhsa_user_sgpr_private_segment_buffer 1
		.amdhsa_user_sgpr_dispatch_ptr 0
		.amdhsa_user_sgpr_queue_ptr 0
		.amdhsa_user_sgpr_kernarg_segment_ptr 1
		.amdhsa_user_sgpr_dispatch_id 0
		.amdhsa_user_sgpr_flat_scratch_init 0
		.amdhsa_user_sgpr_private_segment_size 0
		.amdhsa_wavefront_size32 1
		.amdhsa_uses_dynamic_stack 0
		.amdhsa_system_sgpr_private_segment_wavefront_offset 0
		.amdhsa_system_sgpr_workgroup_id_x 1
		.amdhsa_system_sgpr_workgroup_id_y 0
		.amdhsa_system_sgpr_workgroup_id_z 0
		.amdhsa_system_sgpr_workgroup_info 0
		.amdhsa_system_vgpr_workitem_id 0
		.amdhsa_next_free_vgpr 1
		.amdhsa_next_free_sgpr 1
		.amdhsa_reserve_vcc 0
		.amdhsa_reserve_flat_scratch 0
		.amdhsa_float_round_mode_32 0
		.amdhsa_float_round_mode_16_64 0
		.amdhsa_float_denorm_mode_32 3
		.amdhsa_float_denorm_mode_16_64 3
		.amdhsa_dx10_clamp 1
		.amdhsa_ieee_mode 1
		.amdhsa_fp16_overflow 0
		.amdhsa_workgroup_processor_mode 1
		.amdhsa_memory_ordered 1
		.amdhsa_forward_progress 1
		.amdhsa_shared_vgpr_count 0
		.amdhsa_exception_fp_ieee_invalid_op 0
		.amdhsa_exception_fp_denorm_src 0
		.amdhsa_exception_fp_ieee_div_zero 0
		.amdhsa_exception_fp_ieee_overflow 0
		.amdhsa_exception_fp_ieee_underflow 0
		.amdhsa_exception_fp_ieee_inexact 0
		.amdhsa_exception_int_div_zero 0
	.end_amdhsa_kernel
	.section	.text._ZN7rocprim17ROCPRIM_400000_NS6detail17trampoline_kernelINS0_14default_configENS1_22reduce_config_selectorIN6thrust23THRUST_200600_302600_NS5tupleIblNS6_9null_typeES8_S8_S8_S8_S8_S8_S8_EEEEZNS1_11reduce_implILb1ES3_NS6_12zip_iteratorINS7_INS6_11hip_rocprim26transform_input_iterator_tIbNSD_35transform_pair_of_input_iterators_tIbNS6_6detail15normal_iteratorINS6_10device_ptrIKtEEEESL_NS6_8equal_toItEEEENSG_9not_fun_tINSD_8identityEEEEENSD_19counting_iterator_tIlEES8_S8_S8_S8_S8_S8_S8_S8_EEEEPS9_S9_NSD_9__find_if7functorIS9_EEEE10hipError_tPvRmT1_T2_T3_mT4_P12ihipStream_tbEUlT_E1_NS1_11comp_targetILNS1_3genE2ELNS1_11target_archE906ELNS1_3gpuE6ELNS1_3repE0EEENS1_30default_config_static_selectorELNS0_4arch9wavefront6targetE0EEEvS14_,"axG",@progbits,_ZN7rocprim17ROCPRIM_400000_NS6detail17trampoline_kernelINS0_14default_configENS1_22reduce_config_selectorIN6thrust23THRUST_200600_302600_NS5tupleIblNS6_9null_typeES8_S8_S8_S8_S8_S8_S8_EEEEZNS1_11reduce_implILb1ES3_NS6_12zip_iteratorINS7_INS6_11hip_rocprim26transform_input_iterator_tIbNSD_35transform_pair_of_input_iterators_tIbNS6_6detail15normal_iteratorINS6_10device_ptrIKtEEEESL_NS6_8equal_toItEEEENSG_9not_fun_tINSD_8identityEEEEENSD_19counting_iterator_tIlEES8_S8_S8_S8_S8_S8_S8_S8_EEEEPS9_S9_NSD_9__find_if7functorIS9_EEEE10hipError_tPvRmT1_T2_T3_mT4_P12ihipStream_tbEUlT_E1_NS1_11comp_targetILNS1_3genE2ELNS1_11target_archE906ELNS1_3gpuE6ELNS1_3repE0EEENS1_30default_config_static_selectorELNS0_4arch9wavefront6targetE0EEEvS14_,comdat
.Lfunc_end201:
	.size	_ZN7rocprim17ROCPRIM_400000_NS6detail17trampoline_kernelINS0_14default_configENS1_22reduce_config_selectorIN6thrust23THRUST_200600_302600_NS5tupleIblNS6_9null_typeES8_S8_S8_S8_S8_S8_S8_EEEEZNS1_11reduce_implILb1ES3_NS6_12zip_iteratorINS7_INS6_11hip_rocprim26transform_input_iterator_tIbNSD_35transform_pair_of_input_iterators_tIbNS6_6detail15normal_iteratorINS6_10device_ptrIKtEEEESL_NS6_8equal_toItEEEENSG_9not_fun_tINSD_8identityEEEEENSD_19counting_iterator_tIlEES8_S8_S8_S8_S8_S8_S8_S8_EEEEPS9_S9_NSD_9__find_if7functorIS9_EEEE10hipError_tPvRmT1_T2_T3_mT4_P12ihipStream_tbEUlT_E1_NS1_11comp_targetILNS1_3genE2ELNS1_11target_archE906ELNS1_3gpuE6ELNS1_3repE0EEENS1_30default_config_static_selectorELNS0_4arch9wavefront6targetE0EEEvS14_, .Lfunc_end201-_ZN7rocprim17ROCPRIM_400000_NS6detail17trampoline_kernelINS0_14default_configENS1_22reduce_config_selectorIN6thrust23THRUST_200600_302600_NS5tupleIblNS6_9null_typeES8_S8_S8_S8_S8_S8_S8_EEEEZNS1_11reduce_implILb1ES3_NS6_12zip_iteratorINS7_INS6_11hip_rocprim26transform_input_iterator_tIbNSD_35transform_pair_of_input_iterators_tIbNS6_6detail15normal_iteratorINS6_10device_ptrIKtEEEESL_NS6_8equal_toItEEEENSG_9not_fun_tINSD_8identityEEEEENSD_19counting_iterator_tIlEES8_S8_S8_S8_S8_S8_S8_S8_EEEEPS9_S9_NSD_9__find_if7functorIS9_EEEE10hipError_tPvRmT1_T2_T3_mT4_P12ihipStream_tbEUlT_E1_NS1_11comp_targetILNS1_3genE2ELNS1_11target_archE906ELNS1_3gpuE6ELNS1_3repE0EEENS1_30default_config_static_selectorELNS0_4arch9wavefront6targetE0EEEvS14_
                                        ; -- End function
	.set _ZN7rocprim17ROCPRIM_400000_NS6detail17trampoline_kernelINS0_14default_configENS1_22reduce_config_selectorIN6thrust23THRUST_200600_302600_NS5tupleIblNS6_9null_typeES8_S8_S8_S8_S8_S8_S8_EEEEZNS1_11reduce_implILb1ES3_NS6_12zip_iteratorINS7_INS6_11hip_rocprim26transform_input_iterator_tIbNSD_35transform_pair_of_input_iterators_tIbNS6_6detail15normal_iteratorINS6_10device_ptrIKtEEEESL_NS6_8equal_toItEEEENSG_9not_fun_tINSD_8identityEEEEENSD_19counting_iterator_tIlEES8_S8_S8_S8_S8_S8_S8_S8_EEEEPS9_S9_NSD_9__find_if7functorIS9_EEEE10hipError_tPvRmT1_T2_T3_mT4_P12ihipStream_tbEUlT_E1_NS1_11comp_targetILNS1_3genE2ELNS1_11target_archE906ELNS1_3gpuE6ELNS1_3repE0EEENS1_30default_config_static_selectorELNS0_4arch9wavefront6targetE0EEEvS14_.num_vgpr, 0
	.set _ZN7rocprim17ROCPRIM_400000_NS6detail17trampoline_kernelINS0_14default_configENS1_22reduce_config_selectorIN6thrust23THRUST_200600_302600_NS5tupleIblNS6_9null_typeES8_S8_S8_S8_S8_S8_S8_EEEEZNS1_11reduce_implILb1ES3_NS6_12zip_iteratorINS7_INS6_11hip_rocprim26transform_input_iterator_tIbNSD_35transform_pair_of_input_iterators_tIbNS6_6detail15normal_iteratorINS6_10device_ptrIKtEEEESL_NS6_8equal_toItEEEENSG_9not_fun_tINSD_8identityEEEEENSD_19counting_iterator_tIlEES8_S8_S8_S8_S8_S8_S8_S8_EEEEPS9_S9_NSD_9__find_if7functorIS9_EEEE10hipError_tPvRmT1_T2_T3_mT4_P12ihipStream_tbEUlT_E1_NS1_11comp_targetILNS1_3genE2ELNS1_11target_archE906ELNS1_3gpuE6ELNS1_3repE0EEENS1_30default_config_static_selectorELNS0_4arch9wavefront6targetE0EEEvS14_.num_agpr, 0
	.set _ZN7rocprim17ROCPRIM_400000_NS6detail17trampoline_kernelINS0_14default_configENS1_22reduce_config_selectorIN6thrust23THRUST_200600_302600_NS5tupleIblNS6_9null_typeES8_S8_S8_S8_S8_S8_S8_EEEEZNS1_11reduce_implILb1ES3_NS6_12zip_iteratorINS7_INS6_11hip_rocprim26transform_input_iterator_tIbNSD_35transform_pair_of_input_iterators_tIbNS6_6detail15normal_iteratorINS6_10device_ptrIKtEEEESL_NS6_8equal_toItEEEENSG_9not_fun_tINSD_8identityEEEEENSD_19counting_iterator_tIlEES8_S8_S8_S8_S8_S8_S8_S8_EEEEPS9_S9_NSD_9__find_if7functorIS9_EEEE10hipError_tPvRmT1_T2_T3_mT4_P12ihipStream_tbEUlT_E1_NS1_11comp_targetILNS1_3genE2ELNS1_11target_archE906ELNS1_3gpuE6ELNS1_3repE0EEENS1_30default_config_static_selectorELNS0_4arch9wavefront6targetE0EEEvS14_.numbered_sgpr, 0
	.set _ZN7rocprim17ROCPRIM_400000_NS6detail17trampoline_kernelINS0_14default_configENS1_22reduce_config_selectorIN6thrust23THRUST_200600_302600_NS5tupleIblNS6_9null_typeES8_S8_S8_S8_S8_S8_S8_EEEEZNS1_11reduce_implILb1ES3_NS6_12zip_iteratorINS7_INS6_11hip_rocprim26transform_input_iterator_tIbNSD_35transform_pair_of_input_iterators_tIbNS6_6detail15normal_iteratorINS6_10device_ptrIKtEEEESL_NS6_8equal_toItEEEENSG_9not_fun_tINSD_8identityEEEEENSD_19counting_iterator_tIlEES8_S8_S8_S8_S8_S8_S8_S8_EEEEPS9_S9_NSD_9__find_if7functorIS9_EEEE10hipError_tPvRmT1_T2_T3_mT4_P12ihipStream_tbEUlT_E1_NS1_11comp_targetILNS1_3genE2ELNS1_11target_archE906ELNS1_3gpuE6ELNS1_3repE0EEENS1_30default_config_static_selectorELNS0_4arch9wavefront6targetE0EEEvS14_.num_named_barrier, 0
	.set _ZN7rocprim17ROCPRIM_400000_NS6detail17trampoline_kernelINS0_14default_configENS1_22reduce_config_selectorIN6thrust23THRUST_200600_302600_NS5tupleIblNS6_9null_typeES8_S8_S8_S8_S8_S8_S8_EEEEZNS1_11reduce_implILb1ES3_NS6_12zip_iteratorINS7_INS6_11hip_rocprim26transform_input_iterator_tIbNSD_35transform_pair_of_input_iterators_tIbNS6_6detail15normal_iteratorINS6_10device_ptrIKtEEEESL_NS6_8equal_toItEEEENSG_9not_fun_tINSD_8identityEEEEENSD_19counting_iterator_tIlEES8_S8_S8_S8_S8_S8_S8_S8_EEEEPS9_S9_NSD_9__find_if7functorIS9_EEEE10hipError_tPvRmT1_T2_T3_mT4_P12ihipStream_tbEUlT_E1_NS1_11comp_targetILNS1_3genE2ELNS1_11target_archE906ELNS1_3gpuE6ELNS1_3repE0EEENS1_30default_config_static_selectorELNS0_4arch9wavefront6targetE0EEEvS14_.private_seg_size, 0
	.set _ZN7rocprim17ROCPRIM_400000_NS6detail17trampoline_kernelINS0_14default_configENS1_22reduce_config_selectorIN6thrust23THRUST_200600_302600_NS5tupleIblNS6_9null_typeES8_S8_S8_S8_S8_S8_S8_EEEEZNS1_11reduce_implILb1ES3_NS6_12zip_iteratorINS7_INS6_11hip_rocprim26transform_input_iterator_tIbNSD_35transform_pair_of_input_iterators_tIbNS6_6detail15normal_iteratorINS6_10device_ptrIKtEEEESL_NS6_8equal_toItEEEENSG_9not_fun_tINSD_8identityEEEEENSD_19counting_iterator_tIlEES8_S8_S8_S8_S8_S8_S8_S8_EEEEPS9_S9_NSD_9__find_if7functorIS9_EEEE10hipError_tPvRmT1_T2_T3_mT4_P12ihipStream_tbEUlT_E1_NS1_11comp_targetILNS1_3genE2ELNS1_11target_archE906ELNS1_3gpuE6ELNS1_3repE0EEENS1_30default_config_static_selectorELNS0_4arch9wavefront6targetE0EEEvS14_.uses_vcc, 0
	.set _ZN7rocprim17ROCPRIM_400000_NS6detail17trampoline_kernelINS0_14default_configENS1_22reduce_config_selectorIN6thrust23THRUST_200600_302600_NS5tupleIblNS6_9null_typeES8_S8_S8_S8_S8_S8_S8_EEEEZNS1_11reduce_implILb1ES3_NS6_12zip_iteratorINS7_INS6_11hip_rocprim26transform_input_iterator_tIbNSD_35transform_pair_of_input_iterators_tIbNS6_6detail15normal_iteratorINS6_10device_ptrIKtEEEESL_NS6_8equal_toItEEEENSG_9not_fun_tINSD_8identityEEEEENSD_19counting_iterator_tIlEES8_S8_S8_S8_S8_S8_S8_S8_EEEEPS9_S9_NSD_9__find_if7functorIS9_EEEE10hipError_tPvRmT1_T2_T3_mT4_P12ihipStream_tbEUlT_E1_NS1_11comp_targetILNS1_3genE2ELNS1_11target_archE906ELNS1_3gpuE6ELNS1_3repE0EEENS1_30default_config_static_selectorELNS0_4arch9wavefront6targetE0EEEvS14_.uses_flat_scratch, 0
	.set _ZN7rocprim17ROCPRIM_400000_NS6detail17trampoline_kernelINS0_14default_configENS1_22reduce_config_selectorIN6thrust23THRUST_200600_302600_NS5tupleIblNS6_9null_typeES8_S8_S8_S8_S8_S8_S8_EEEEZNS1_11reduce_implILb1ES3_NS6_12zip_iteratorINS7_INS6_11hip_rocprim26transform_input_iterator_tIbNSD_35transform_pair_of_input_iterators_tIbNS6_6detail15normal_iteratorINS6_10device_ptrIKtEEEESL_NS6_8equal_toItEEEENSG_9not_fun_tINSD_8identityEEEEENSD_19counting_iterator_tIlEES8_S8_S8_S8_S8_S8_S8_S8_EEEEPS9_S9_NSD_9__find_if7functorIS9_EEEE10hipError_tPvRmT1_T2_T3_mT4_P12ihipStream_tbEUlT_E1_NS1_11comp_targetILNS1_3genE2ELNS1_11target_archE906ELNS1_3gpuE6ELNS1_3repE0EEENS1_30default_config_static_selectorELNS0_4arch9wavefront6targetE0EEEvS14_.has_dyn_sized_stack, 0
	.set _ZN7rocprim17ROCPRIM_400000_NS6detail17trampoline_kernelINS0_14default_configENS1_22reduce_config_selectorIN6thrust23THRUST_200600_302600_NS5tupleIblNS6_9null_typeES8_S8_S8_S8_S8_S8_S8_EEEEZNS1_11reduce_implILb1ES3_NS6_12zip_iteratorINS7_INS6_11hip_rocprim26transform_input_iterator_tIbNSD_35transform_pair_of_input_iterators_tIbNS6_6detail15normal_iteratorINS6_10device_ptrIKtEEEESL_NS6_8equal_toItEEEENSG_9not_fun_tINSD_8identityEEEEENSD_19counting_iterator_tIlEES8_S8_S8_S8_S8_S8_S8_S8_EEEEPS9_S9_NSD_9__find_if7functorIS9_EEEE10hipError_tPvRmT1_T2_T3_mT4_P12ihipStream_tbEUlT_E1_NS1_11comp_targetILNS1_3genE2ELNS1_11target_archE906ELNS1_3gpuE6ELNS1_3repE0EEENS1_30default_config_static_selectorELNS0_4arch9wavefront6targetE0EEEvS14_.has_recursion, 0
	.set _ZN7rocprim17ROCPRIM_400000_NS6detail17trampoline_kernelINS0_14default_configENS1_22reduce_config_selectorIN6thrust23THRUST_200600_302600_NS5tupleIblNS6_9null_typeES8_S8_S8_S8_S8_S8_S8_EEEEZNS1_11reduce_implILb1ES3_NS6_12zip_iteratorINS7_INS6_11hip_rocprim26transform_input_iterator_tIbNSD_35transform_pair_of_input_iterators_tIbNS6_6detail15normal_iteratorINS6_10device_ptrIKtEEEESL_NS6_8equal_toItEEEENSG_9not_fun_tINSD_8identityEEEEENSD_19counting_iterator_tIlEES8_S8_S8_S8_S8_S8_S8_S8_EEEEPS9_S9_NSD_9__find_if7functorIS9_EEEE10hipError_tPvRmT1_T2_T3_mT4_P12ihipStream_tbEUlT_E1_NS1_11comp_targetILNS1_3genE2ELNS1_11target_archE906ELNS1_3gpuE6ELNS1_3repE0EEENS1_30default_config_static_selectorELNS0_4arch9wavefront6targetE0EEEvS14_.has_indirect_call, 0
	.section	.AMDGPU.csdata,"",@progbits
; Kernel info:
; codeLenInByte = 0
; TotalNumSgprs: 0
; NumVgprs: 0
; ScratchSize: 0
; MemoryBound: 0
; FloatMode: 240
; IeeeMode: 1
; LDSByteSize: 0 bytes/workgroup (compile time only)
; SGPRBlocks: 0
; VGPRBlocks: 0
; NumSGPRsForWavesPerEU: 1
; NumVGPRsForWavesPerEU: 1
; Occupancy: 16
; WaveLimiterHint : 0
; COMPUTE_PGM_RSRC2:SCRATCH_EN: 0
; COMPUTE_PGM_RSRC2:USER_SGPR: 6
; COMPUTE_PGM_RSRC2:TRAP_HANDLER: 0
; COMPUTE_PGM_RSRC2:TGID_X_EN: 1
; COMPUTE_PGM_RSRC2:TGID_Y_EN: 0
; COMPUTE_PGM_RSRC2:TGID_Z_EN: 0
; COMPUTE_PGM_RSRC2:TIDIG_COMP_CNT: 0
	.section	.text._ZN7rocprim17ROCPRIM_400000_NS6detail17trampoline_kernelINS0_14default_configENS1_22reduce_config_selectorIN6thrust23THRUST_200600_302600_NS5tupleIblNS6_9null_typeES8_S8_S8_S8_S8_S8_S8_EEEEZNS1_11reduce_implILb1ES3_NS6_12zip_iteratorINS7_INS6_11hip_rocprim26transform_input_iterator_tIbNSD_35transform_pair_of_input_iterators_tIbNS6_6detail15normal_iteratorINS6_10device_ptrIKtEEEESL_NS6_8equal_toItEEEENSG_9not_fun_tINSD_8identityEEEEENSD_19counting_iterator_tIlEES8_S8_S8_S8_S8_S8_S8_S8_EEEEPS9_S9_NSD_9__find_if7functorIS9_EEEE10hipError_tPvRmT1_T2_T3_mT4_P12ihipStream_tbEUlT_E1_NS1_11comp_targetILNS1_3genE10ELNS1_11target_archE1201ELNS1_3gpuE5ELNS1_3repE0EEENS1_30default_config_static_selectorELNS0_4arch9wavefront6targetE0EEEvS14_,"axG",@progbits,_ZN7rocprim17ROCPRIM_400000_NS6detail17trampoline_kernelINS0_14default_configENS1_22reduce_config_selectorIN6thrust23THRUST_200600_302600_NS5tupleIblNS6_9null_typeES8_S8_S8_S8_S8_S8_S8_EEEEZNS1_11reduce_implILb1ES3_NS6_12zip_iteratorINS7_INS6_11hip_rocprim26transform_input_iterator_tIbNSD_35transform_pair_of_input_iterators_tIbNS6_6detail15normal_iteratorINS6_10device_ptrIKtEEEESL_NS6_8equal_toItEEEENSG_9not_fun_tINSD_8identityEEEEENSD_19counting_iterator_tIlEES8_S8_S8_S8_S8_S8_S8_S8_EEEEPS9_S9_NSD_9__find_if7functorIS9_EEEE10hipError_tPvRmT1_T2_T3_mT4_P12ihipStream_tbEUlT_E1_NS1_11comp_targetILNS1_3genE10ELNS1_11target_archE1201ELNS1_3gpuE5ELNS1_3repE0EEENS1_30default_config_static_selectorELNS0_4arch9wavefront6targetE0EEEvS14_,comdat
	.protected	_ZN7rocprim17ROCPRIM_400000_NS6detail17trampoline_kernelINS0_14default_configENS1_22reduce_config_selectorIN6thrust23THRUST_200600_302600_NS5tupleIblNS6_9null_typeES8_S8_S8_S8_S8_S8_S8_EEEEZNS1_11reduce_implILb1ES3_NS6_12zip_iteratorINS7_INS6_11hip_rocprim26transform_input_iterator_tIbNSD_35transform_pair_of_input_iterators_tIbNS6_6detail15normal_iteratorINS6_10device_ptrIKtEEEESL_NS6_8equal_toItEEEENSG_9not_fun_tINSD_8identityEEEEENSD_19counting_iterator_tIlEES8_S8_S8_S8_S8_S8_S8_S8_EEEEPS9_S9_NSD_9__find_if7functorIS9_EEEE10hipError_tPvRmT1_T2_T3_mT4_P12ihipStream_tbEUlT_E1_NS1_11comp_targetILNS1_3genE10ELNS1_11target_archE1201ELNS1_3gpuE5ELNS1_3repE0EEENS1_30default_config_static_selectorELNS0_4arch9wavefront6targetE0EEEvS14_ ; -- Begin function _ZN7rocprim17ROCPRIM_400000_NS6detail17trampoline_kernelINS0_14default_configENS1_22reduce_config_selectorIN6thrust23THRUST_200600_302600_NS5tupleIblNS6_9null_typeES8_S8_S8_S8_S8_S8_S8_EEEEZNS1_11reduce_implILb1ES3_NS6_12zip_iteratorINS7_INS6_11hip_rocprim26transform_input_iterator_tIbNSD_35transform_pair_of_input_iterators_tIbNS6_6detail15normal_iteratorINS6_10device_ptrIKtEEEESL_NS6_8equal_toItEEEENSG_9not_fun_tINSD_8identityEEEEENSD_19counting_iterator_tIlEES8_S8_S8_S8_S8_S8_S8_S8_EEEEPS9_S9_NSD_9__find_if7functorIS9_EEEE10hipError_tPvRmT1_T2_T3_mT4_P12ihipStream_tbEUlT_E1_NS1_11comp_targetILNS1_3genE10ELNS1_11target_archE1201ELNS1_3gpuE5ELNS1_3repE0EEENS1_30default_config_static_selectorELNS0_4arch9wavefront6targetE0EEEvS14_
	.globl	_ZN7rocprim17ROCPRIM_400000_NS6detail17trampoline_kernelINS0_14default_configENS1_22reduce_config_selectorIN6thrust23THRUST_200600_302600_NS5tupleIblNS6_9null_typeES8_S8_S8_S8_S8_S8_S8_EEEEZNS1_11reduce_implILb1ES3_NS6_12zip_iteratorINS7_INS6_11hip_rocprim26transform_input_iterator_tIbNSD_35transform_pair_of_input_iterators_tIbNS6_6detail15normal_iteratorINS6_10device_ptrIKtEEEESL_NS6_8equal_toItEEEENSG_9not_fun_tINSD_8identityEEEEENSD_19counting_iterator_tIlEES8_S8_S8_S8_S8_S8_S8_S8_EEEEPS9_S9_NSD_9__find_if7functorIS9_EEEE10hipError_tPvRmT1_T2_T3_mT4_P12ihipStream_tbEUlT_E1_NS1_11comp_targetILNS1_3genE10ELNS1_11target_archE1201ELNS1_3gpuE5ELNS1_3repE0EEENS1_30default_config_static_selectorELNS0_4arch9wavefront6targetE0EEEvS14_
	.p2align	8
	.type	_ZN7rocprim17ROCPRIM_400000_NS6detail17trampoline_kernelINS0_14default_configENS1_22reduce_config_selectorIN6thrust23THRUST_200600_302600_NS5tupleIblNS6_9null_typeES8_S8_S8_S8_S8_S8_S8_EEEEZNS1_11reduce_implILb1ES3_NS6_12zip_iteratorINS7_INS6_11hip_rocprim26transform_input_iterator_tIbNSD_35transform_pair_of_input_iterators_tIbNS6_6detail15normal_iteratorINS6_10device_ptrIKtEEEESL_NS6_8equal_toItEEEENSG_9not_fun_tINSD_8identityEEEEENSD_19counting_iterator_tIlEES8_S8_S8_S8_S8_S8_S8_S8_EEEEPS9_S9_NSD_9__find_if7functorIS9_EEEE10hipError_tPvRmT1_T2_T3_mT4_P12ihipStream_tbEUlT_E1_NS1_11comp_targetILNS1_3genE10ELNS1_11target_archE1201ELNS1_3gpuE5ELNS1_3repE0EEENS1_30default_config_static_selectorELNS0_4arch9wavefront6targetE0EEEvS14_,@function
_ZN7rocprim17ROCPRIM_400000_NS6detail17trampoline_kernelINS0_14default_configENS1_22reduce_config_selectorIN6thrust23THRUST_200600_302600_NS5tupleIblNS6_9null_typeES8_S8_S8_S8_S8_S8_S8_EEEEZNS1_11reduce_implILb1ES3_NS6_12zip_iteratorINS7_INS6_11hip_rocprim26transform_input_iterator_tIbNSD_35transform_pair_of_input_iterators_tIbNS6_6detail15normal_iteratorINS6_10device_ptrIKtEEEESL_NS6_8equal_toItEEEENSG_9not_fun_tINSD_8identityEEEEENSD_19counting_iterator_tIlEES8_S8_S8_S8_S8_S8_S8_S8_EEEEPS9_S9_NSD_9__find_if7functorIS9_EEEE10hipError_tPvRmT1_T2_T3_mT4_P12ihipStream_tbEUlT_E1_NS1_11comp_targetILNS1_3genE10ELNS1_11target_archE1201ELNS1_3gpuE5ELNS1_3repE0EEENS1_30default_config_static_selectorELNS0_4arch9wavefront6targetE0EEEvS14_: ; @_ZN7rocprim17ROCPRIM_400000_NS6detail17trampoline_kernelINS0_14default_configENS1_22reduce_config_selectorIN6thrust23THRUST_200600_302600_NS5tupleIblNS6_9null_typeES8_S8_S8_S8_S8_S8_S8_EEEEZNS1_11reduce_implILb1ES3_NS6_12zip_iteratorINS7_INS6_11hip_rocprim26transform_input_iterator_tIbNSD_35transform_pair_of_input_iterators_tIbNS6_6detail15normal_iteratorINS6_10device_ptrIKtEEEESL_NS6_8equal_toItEEEENSG_9not_fun_tINSD_8identityEEEEENSD_19counting_iterator_tIlEES8_S8_S8_S8_S8_S8_S8_S8_EEEEPS9_S9_NSD_9__find_if7functorIS9_EEEE10hipError_tPvRmT1_T2_T3_mT4_P12ihipStream_tbEUlT_E1_NS1_11comp_targetILNS1_3genE10ELNS1_11target_archE1201ELNS1_3gpuE5ELNS1_3repE0EEENS1_30default_config_static_selectorELNS0_4arch9wavefront6targetE0EEEvS14_
; %bb.0:
	.section	.rodata,"a",@progbits
	.p2align	6, 0x0
	.amdhsa_kernel _ZN7rocprim17ROCPRIM_400000_NS6detail17trampoline_kernelINS0_14default_configENS1_22reduce_config_selectorIN6thrust23THRUST_200600_302600_NS5tupleIblNS6_9null_typeES8_S8_S8_S8_S8_S8_S8_EEEEZNS1_11reduce_implILb1ES3_NS6_12zip_iteratorINS7_INS6_11hip_rocprim26transform_input_iterator_tIbNSD_35transform_pair_of_input_iterators_tIbNS6_6detail15normal_iteratorINS6_10device_ptrIKtEEEESL_NS6_8equal_toItEEEENSG_9not_fun_tINSD_8identityEEEEENSD_19counting_iterator_tIlEES8_S8_S8_S8_S8_S8_S8_S8_EEEEPS9_S9_NSD_9__find_if7functorIS9_EEEE10hipError_tPvRmT1_T2_T3_mT4_P12ihipStream_tbEUlT_E1_NS1_11comp_targetILNS1_3genE10ELNS1_11target_archE1201ELNS1_3gpuE5ELNS1_3repE0EEENS1_30default_config_static_selectorELNS0_4arch9wavefront6targetE0EEEvS14_
		.amdhsa_group_segment_fixed_size 0
		.amdhsa_private_segment_fixed_size 0
		.amdhsa_kernarg_size 88
		.amdhsa_user_sgpr_count 6
		.amdhsa_user_sgpr_private_segment_buffer 1
		.amdhsa_user_sgpr_dispatch_ptr 0
		.amdhsa_user_sgpr_queue_ptr 0
		.amdhsa_user_sgpr_kernarg_segment_ptr 1
		.amdhsa_user_sgpr_dispatch_id 0
		.amdhsa_user_sgpr_flat_scratch_init 0
		.amdhsa_user_sgpr_private_segment_size 0
		.amdhsa_wavefront_size32 1
		.amdhsa_uses_dynamic_stack 0
		.amdhsa_system_sgpr_private_segment_wavefront_offset 0
		.amdhsa_system_sgpr_workgroup_id_x 1
		.amdhsa_system_sgpr_workgroup_id_y 0
		.amdhsa_system_sgpr_workgroup_id_z 0
		.amdhsa_system_sgpr_workgroup_info 0
		.amdhsa_system_vgpr_workitem_id 0
		.amdhsa_next_free_vgpr 1
		.amdhsa_next_free_sgpr 1
		.amdhsa_reserve_vcc 0
		.amdhsa_reserve_flat_scratch 0
		.amdhsa_float_round_mode_32 0
		.amdhsa_float_round_mode_16_64 0
		.amdhsa_float_denorm_mode_32 3
		.amdhsa_float_denorm_mode_16_64 3
		.amdhsa_dx10_clamp 1
		.amdhsa_ieee_mode 1
		.amdhsa_fp16_overflow 0
		.amdhsa_workgroup_processor_mode 1
		.amdhsa_memory_ordered 1
		.amdhsa_forward_progress 1
		.amdhsa_shared_vgpr_count 0
		.amdhsa_exception_fp_ieee_invalid_op 0
		.amdhsa_exception_fp_denorm_src 0
		.amdhsa_exception_fp_ieee_div_zero 0
		.amdhsa_exception_fp_ieee_overflow 0
		.amdhsa_exception_fp_ieee_underflow 0
		.amdhsa_exception_fp_ieee_inexact 0
		.amdhsa_exception_int_div_zero 0
	.end_amdhsa_kernel
	.section	.text._ZN7rocprim17ROCPRIM_400000_NS6detail17trampoline_kernelINS0_14default_configENS1_22reduce_config_selectorIN6thrust23THRUST_200600_302600_NS5tupleIblNS6_9null_typeES8_S8_S8_S8_S8_S8_S8_EEEEZNS1_11reduce_implILb1ES3_NS6_12zip_iteratorINS7_INS6_11hip_rocprim26transform_input_iterator_tIbNSD_35transform_pair_of_input_iterators_tIbNS6_6detail15normal_iteratorINS6_10device_ptrIKtEEEESL_NS6_8equal_toItEEEENSG_9not_fun_tINSD_8identityEEEEENSD_19counting_iterator_tIlEES8_S8_S8_S8_S8_S8_S8_S8_EEEEPS9_S9_NSD_9__find_if7functorIS9_EEEE10hipError_tPvRmT1_T2_T3_mT4_P12ihipStream_tbEUlT_E1_NS1_11comp_targetILNS1_3genE10ELNS1_11target_archE1201ELNS1_3gpuE5ELNS1_3repE0EEENS1_30default_config_static_selectorELNS0_4arch9wavefront6targetE0EEEvS14_,"axG",@progbits,_ZN7rocprim17ROCPRIM_400000_NS6detail17trampoline_kernelINS0_14default_configENS1_22reduce_config_selectorIN6thrust23THRUST_200600_302600_NS5tupleIblNS6_9null_typeES8_S8_S8_S8_S8_S8_S8_EEEEZNS1_11reduce_implILb1ES3_NS6_12zip_iteratorINS7_INS6_11hip_rocprim26transform_input_iterator_tIbNSD_35transform_pair_of_input_iterators_tIbNS6_6detail15normal_iteratorINS6_10device_ptrIKtEEEESL_NS6_8equal_toItEEEENSG_9not_fun_tINSD_8identityEEEEENSD_19counting_iterator_tIlEES8_S8_S8_S8_S8_S8_S8_S8_EEEEPS9_S9_NSD_9__find_if7functorIS9_EEEE10hipError_tPvRmT1_T2_T3_mT4_P12ihipStream_tbEUlT_E1_NS1_11comp_targetILNS1_3genE10ELNS1_11target_archE1201ELNS1_3gpuE5ELNS1_3repE0EEENS1_30default_config_static_selectorELNS0_4arch9wavefront6targetE0EEEvS14_,comdat
.Lfunc_end202:
	.size	_ZN7rocprim17ROCPRIM_400000_NS6detail17trampoline_kernelINS0_14default_configENS1_22reduce_config_selectorIN6thrust23THRUST_200600_302600_NS5tupleIblNS6_9null_typeES8_S8_S8_S8_S8_S8_S8_EEEEZNS1_11reduce_implILb1ES3_NS6_12zip_iteratorINS7_INS6_11hip_rocprim26transform_input_iterator_tIbNSD_35transform_pair_of_input_iterators_tIbNS6_6detail15normal_iteratorINS6_10device_ptrIKtEEEESL_NS6_8equal_toItEEEENSG_9not_fun_tINSD_8identityEEEEENSD_19counting_iterator_tIlEES8_S8_S8_S8_S8_S8_S8_S8_EEEEPS9_S9_NSD_9__find_if7functorIS9_EEEE10hipError_tPvRmT1_T2_T3_mT4_P12ihipStream_tbEUlT_E1_NS1_11comp_targetILNS1_3genE10ELNS1_11target_archE1201ELNS1_3gpuE5ELNS1_3repE0EEENS1_30default_config_static_selectorELNS0_4arch9wavefront6targetE0EEEvS14_, .Lfunc_end202-_ZN7rocprim17ROCPRIM_400000_NS6detail17trampoline_kernelINS0_14default_configENS1_22reduce_config_selectorIN6thrust23THRUST_200600_302600_NS5tupleIblNS6_9null_typeES8_S8_S8_S8_S8_S8_S8_EEEEZNS1_11reduce_implILb1ES3_NS6_12zip_iteratorINS7_INS6_11hip_rocprim26transform_input_iterator_tIbNSD_35transform_pair_of_input_iterators_tIbNS6_6detail15normal_iteratorINS6_10device_ptrIKtEEEESL_NS6_8equal_toItEEEENSG_9not_fun_tINSD_8identityEEEEENSD_19counting_iterator_tIlEES8_S8_S8_S8_S8_S8_S8_S8_EEEEPS9_S9_NSD_9__find_if7functorIS9_EEEE10hipError_tPvRmT1_T2_T3_mT4_P12ihipStream_tbEUlT_E1_NS1_11comp_targetILNS1_3genE10ELNS1_11target_archE1201ELNS1_3gpuE5ELNS1_3repE0EEENS1_30default_config_static_selectorELNS0_4arch9wavefront6targetE0EEEvS14_
                                        ; -- End function
	.set _ZN7rocprim17ROCPRIM_400000_NS6detail17trampoline_kernelINS0_14default_configENS1_22reduce_config_selectorIN6thrust23THRUST_200600_302600_NS5tupleIblNS6_9null_typeES8_S8_S8_S8_S8_S8_S8_EEEEZNS1_11reduce_implILb1ES3_NS6_12zip_iteratorINS7_INS6_11hip_rocprim26transform_input_iterator_tIbNSD_35transform_pair_of_input_iterators_tIbNS6_6detail15normal_iteratorINS6_10device_ptrIKtEEEESL_NS6_8equal_toItEEEENSG_9not_fun_tINSD_8identityEEEEENSD_19counting_iterator_tIlEES8_S8_S8_S8_S8_S8_S8_S8_EEEEPS9_S9_NSD_9__find_if7functorIS9_EEEE10hipError_tPvRmT1_T2_T3_mT4_P12ihipStream_tbEUlT_E1_NS1_11comp_targetILNS1_3genE10ELNS1_11target_archE1201ELNS1_3gpuE5ELNS1_3repE0EEENS1_30default_config_static_selectorELNS0_4arch9wavefront6targetE0EEEvS14_.num_vgpr, 0
	.set _ZN7rocprim17ROCPRIM_400000_NS6detail17trampoline_kernelINS0_14default_configENS1_22reduce_config_selectorIN6thrust23THRUST_200600_302600_NS5tupleIblNS6_9null_typeES8_S8_S8_S8_S8_S8_S8_EEEEZNS1_11reduce_implILb1ES3_NS6_12zip_iteratorINS7_INS6_11hip_rocprim26transform_input_iterator_tIbNSD_35transform_pair_of_input_iterators_tIbNS6_6detail15normal_iteratorINS6_10device_ptrIKtEEEESL_NS6_8equal_toItEEEENSG_9not_fun_tINSD_8identityEEEEENSD_19counting_iterator_tIlEES8_S8_S8_S8_S8_S8_S8_S8_EEEEPS9_S9_NSD_9__find_if7functorIS9_EEEE10hipError_tPvRmT1_T2_T3_mT4_P12ihipStream_tbEUlT_E1_NS1_11comp_targetILNS1_3genE10ELNS1_11target_archE1201ELNS1_3gpuE5ELNS1_3repE0EEENS1_30default_config_static_selectorELNS0_4arch9wavefront6targetE0EEEvS14_.num_agpr, 0
	.set _ZN7rocprim17ROCPRIM_400000_NS6detail17trampoline_kernelINS0_14default_configENS1_22reduce_config_selectorIN6thrust23THRUST_200600_302600_NS5tupleIblNS6_9null_typeES8_S8_S8_S8_S8_S8_S8_EEEEZNS1_11reduce_implILb1ES3_NS6_12zip_iteratorINS7_INS6_11hip_rocprim26transform_input_iterator_tIbNSD_35transform_pair_of_input_iterators_tIbNS6_6detail15normal_iteratorINS6_10device_ptrIKtEEEESL_NS6_8equal_toItEEEENSG_9not_fun_tINSD_8identityEEEEENSD_19counting_iterator_tIlEES8_S8_S8_S8_S8_S8_S8_S8_EEEEPS9_S9_NSD_9__find_if7functorIS9_EEEE10hipError_tPvRmT1_T2_T3_mT4_P12ihipStream_tbEUlT_E1_NS1_11comp_targetILNS1_3genE10ELNS1_11target_archE1201ELNS1_3gpuE5ELNS1_3repE0EEENS1_30default_config_static_selectorELNS0_4arch9wavefront6targetE0EEEvS14_.numbered_sgpr, 0
	.set _ZN7rocprim17ROCPRIM_400000_NS6detail17trampoline_kernelINS0_14default_configENS1_22reduce_config_selectorIN6thrust23THRUST_200600_302600_NS5tupleIblNS6_9null_typeES8_S8_S8_S8_S8_S8_S8_EEEEZNS1_11reduce_implILb1ES3_NS6_12zip_iteratorINS7_INS6_11hip_rocprim26transform_input_iterator_tIbNSD_35transform_pair_of_input_iterators_tIbNS6_6detail15normal_iteratorINS6_10device_ptrIKtEEEESL_NS6_8equal_toItEEEENSG_9not_fun_tINSD_8identityEEEEENSD_19counting_iterator_tIlEES8_S8_S8_S8_S8_S8_S8_S8_EEEEPS9_S9_NSD_9__find_if7functorIS9_EEEE10hipError_tPvRmT1_T2_T3_mT4_P12ihipStream_tbEUlT_E1_NS1_11comp_targetILNS1_3genE10ELNS1_11target_archE1201ELNS1_3gpuE5ELNS1_3repE0EEENS1_30default_config_static_selectorELNS0_4arch9wavefront6targetE0EEEvS14_.num_named_barrier, 0
	.set _ZN7rocprim17ROCPRIM_400000_NS6detail17trampoline_kernelINS0_14default_configENS1_22reduce_config_selectorIN6thrust23THRUST_200600_302600_NS5tupleIblNS6_9null_typeES8_S8_S8_S8_S8_S8_S8_EEEEZNS1_11reduce_implILb1ES3_NS6_12zip_iteratorINS7_INS6_11hip_rocprim26transform_input_iterator_tIbNSD_35transform_pair_of_input_iterators_tIbNS6_6detail15normal_iteratorINS6_10device_ptrIKtEEEESL_NS6_8equal_toItEEEENSG_9not_fun_tINSD_8identityEEEEENSD_19counting_iterator_tIlEES8_S8_S8_S8_S8_S8_S8_S8_EEEEPS9_S9_NSD_9__find_if7functorIS9_EEEE10hipError_tPvRmT1_T2_T3_mT4_P12ihipStream_tbEUlT_E1_NS1_11comp_targetILNS1_3genE10ELNS1_11target_archE1201ELNS1_3gpuE5ELNS1_3repE0EEENS1_30default_config_static_selectorELNS0_4arch9wavefront6targetE0EEEvS14_.private_seg_size, 0
	.set _ZN7rocprim17ROCPRIM_400000_NS6detail17trampoline_kernelINS0_14default_configENS1_22reduce_config_selectorIN6thrust23THRUST_200600_302600_NS5tupleIblNS6_9null_typeES8_S8_S8_S8_S8_S8_S8_EEEEZNS1_11reduce_implILb1ES3_NS6_12zip_iteratorINS7_INS6_11hip_rocprim26transform_input_iterator_tIbNSD_35transform_pair_of_input_iterators_tIbNS6_6detail15normal_iteratorINS6_10device_ptrIKtEEEESL_NS6_8equal_toItEEEENSG_9not_fun_tINSD_8identityEEEEENSD_19counting_iterator_tIlEES8_S8_S8_S8_S8_S8_S8_S8_EEEEPS9_S9_NSD_9__find_if7functorIS9_EEEE10hipError_tPvRmT1_T2_T3_mT4_P12ihipStream_tbEUlT_E1_NS1_11comp_targetILNS1_3genE10ELNS1_11target_archE1201ELNS1_3gpuE5ELNS1_3repE0EEENS1_30default_config_static_selectorELNS0_4arch9wavefront6targetE0EEEvS14_.uses_vcc, 0
	.set _ZN7rocprim17ROCPRIM_400000_NS6detail17trampoline_kernelINS0_14default_configENS1_22reduce_config_selectorIN6thrust23THRUST_200600_302600_NS5tupleIblNS6_9null_typeES8_S8_S8_S8_S8_S8_S8_EEEEZNS1_11reduce_implILb1ES3_NS6_12zip_iteratorINS7_INS6_11hip_rocprim26transform_input_iterator_tIbNSD_35transform_pair_of_input_iterators_tIbNS6_6detail15normal_iteratorINS6_10device_ptrIKtEEEESL_NS6_8equal_toItEEEENSG_9not_fun_tINSD_8identityEEEEENSD_19counting_iterator_tIlEES8_S8_S8_S8_S8_S8_S8_S8_EEEEPS9_S9_NSD_9__find_if7functorIS9_EEEE10hipError_tPvRmT1_T2_T3_mT4_P12ihipStream_tbEUlT_E1_NS1_11comp_targetILNS1_3genE10ELNS1_11target_archE1201ELNS1_3gpuE5ELNS1_3repE0EEENS1_30default_config_static_selectorELNS0_4arch9wavefront6targetE0EEEvS14_.uses_flat_scratch, 0
	.set _ZN7rocprim17ROCPRIM_400000_NS6detail17trampoline_kernelINS0_14default_configENS1_22reduce_config_selectorIN6thrust23THRUST_200600_302600_NS5tupleIblNS6_9null_typeES8_S8_S8_S8_S8_S8_S8_EEEEZNS1_11reduce_implILb1ES3_NS6_12zip_iteratorINS7_INS6_11hip_rocprim26transform_input_iterator_tIbNSD_35transform_pair_of_input_iterators_tIbNS6_6detail15normal_iteratorINS6_10device_ptrIKtEEEESL_NS6_8equal_toItEEEENSG_9not_fun_tINSD_8identityEEEEENSD_19counting_iterator_tIlEES8_S8_S8_S8_S8_S8_S8_S8_EEEEPS9_S9_NSD_9__find_if7functorIS9_EEEE10hipError_tPvRmT1_T2_T3_mT4_P12ihipStream_tbEUlT_E1_NS1_11comp_targetILNS1_3genE10ELNS1_11target_archE1201ELNS1_3gpuE5ELNS1_3repE0EEENS1_30default_config_static_selectorELNS0_4arch9wavefront6targetE0EEEvS14_.has_dyn_sized_stack, 0
	.set _ZN7rocprim17ROCPRIM_400000_NS6detail17trampoline_kernelINS0_14default_configENS1_22reduce_config_selectorIN6thrust23THRUST_200600_302600_NS5tupleIblNS6_9null_typeES8_S8_S8_S8_S8_S8_S8_EEEEZNS1_11reduce_implILb1ES3_NS6_12zip_iteratorINS7_INS6_11hip_rocprim26transform_input_iterator_tIbNSD_35transform_pair_of_input_iterators_tIbNS6_6detail15normal_iteratorINS6_10device_ptrIKtEEEESL_NS6_8equal_toItEEEENSG_9not_fun_tINSD_8identityEEEEENSD_19counting_iterator_tIlEES8_S8_S8_S8_S8_S8_S8_S8_EEEEPS9_S9_NSD_9__find_if7functorIS9_EEEE10hipError_tPvRmT1_T2_T3_mT4_P12ihipStream_tbEUlT_E1_NS1_11comp_targetILNS1_3genE10ELNS1_11target_archE1201ELNS1_3gpuE5ELNS1_3repE0EEENS1_30default_config_static_selectorELNS0_4arch9wavefront6targetE0EEEvS14_.has_recursion, 0
	.set _ZN7rocprim17ROCPRIM_400000_NS6detail17trampoline_kernelINS0_14default_configENS1_22reduce_config_selectorIN6thrust23THRUST_200600_302600_NS5tupleIblNS6_9null_typeES8_S8_S8_S8_S8_S8_S8_EEEEZNS1_11reduce_implILb1ES3_NS6_12zip_iteratorINS7_INS6_11hip_rocprim26transform_input_iterator_tIbNSD_35transform_pair_of_input_iterators_tIbNS6_6detail15normal_iteratorINS6_10device_ptrIKtEEEESL_NS6_8equal_toItEEEENSG_9not_fun_tINSD_8identityEEEEENSD_19counting_iterator_tIlEES8_S8_S8_S8_S8_S8_S8_S8_EEEEPS9_S9_NSD_9__find_if7functorIS9_EEEE10hipError_tPvRmT1_T2_T3_mT4_P12ihipStream_tbEUlT_E1_NS1_11comp_targetILNS1_3genE10ELNS1_11target_archE1201ELNS1_3gpuE5ELNS1_3repE0EEENS1_30default_config_static_selectorELNS0_4arch9wavefront6targetE0EEEvS14_.has_indirect_call, 0
	.section	.AMDGPU.csdata,"",@progbits
; Kernel info:
; codeLenInByte = 0
; TotalNumSgprs: 0
; NumVgprs: 0
; ScratchSize: 0
; MemoryBound: 0
; FloatMode: 240
; IeeeMode: 1
; LDSByteSize: 0 bytes/workgroup (compile time only)
; SGPRBlocks: 0
; VGPRBlocks: 0
; NumSGPRsForWavesPerEU: 1
; NumVGPRsForWavesPerEU: 1
; Occupancy: 16
; WaveLimiterHint : 0
; COMPUTE_PGM_RSRC2:SCRATCH_EN: 0
; COMPUTE_PGM_RSRC2:USER_SGPR: 6
; COMPUTE_PGM_RSRC2:TRAP_HANDLER: 0
; COMPUTE_PGM_RSRC2:TGID_X_EN: 1
; COMPUTE_PGM_RSRC2:TGID_Y_EN: 0
; COMPUTE_PGM_RSRC2:TGID_Z_EN: 0
; COMPUTE_PGM_RSRC2:TIDIG_COMP_CNT: 0
	.section	.text._ZN7rocprim17ROCPRIM_400000_NS6detail17trampoline_kernelINS0_14default_configENS1_22reduce_config_selectorIN6thrust23THRUST_200600_302600_NS5tupleIblNS6_9null_typeES8_S8_S8_S8_S8_S8_S8_EEEEZNS1_11reduce_implILb1ES3_NS6_12zip_iteratorINS7_INS6_11hip_rocprim26transform_input_iterator_tIbNSD_35transform_pair_of_input_iterators_tIbNS6_6detail15normal_iteratorINS6_10device_ptrIKtEEEESL_NS6_8equal_toItEEEENSG_9not_fun_tINSD_8identityEEEEENSD_19counting_iterator_tIlEES8_S8_S8_S8_S8_S8_S8_S8_EEEEPS9_S9_NSD_9__find_if7functorIS9_EEEE10hipError_tPvRmT1_T2_T3_mT4_P12ihipStream_tbEUlT_E1_NS1_11comp_targetILNS1_3genE10ELNS1_11target_archE1200ELNS1_3gpuE4ELNS1_3repE0EEENS1_30default_config_static_selectorELNS0_4arch9wavefront6targetE0EEEvS14_,"axG",@progbits,_ZN7rocprim17ROCPRIM_400000_NS6detail17trampoline_kernelINS0_14default_configENS1_22reduce_config_selectorIN6thrust23THRUST_200600_302600_NS5tupleIblNS6_9null_typeES8_S8_S8_S8_S8_S8_S8_EEEEZNS1_11reduce_implILb1ES3_NS6_12zip_iteratorINS7_INS6_11hip_rocprim26transform_input_iterator_tIbNSD_35transform_pair_of_input_iterators_tIbNS6_6detail15normal_iteratorINS6_10device_ptrIKtEEEESL_NS6_8equal_toItEEEENSG_9not_fun_tINSD_8identityEEEEENSD_19counting_iterator_tIlEES8_S8_S8_S8_S8_S8_S8_S8_EEEEPS9_S9_NSD_9__find_if7functorIS9_EEEE10hipError_tPvRmT1_T2_T3_mT4_P12ihipStream_tbEUlT_E1_NS1_11comp_targetILNS1_3genE10ELNS1_11target_archE1200ELNS1_3gpuE4ELNS1_3repE0EEENS1_30default_config_static_selectorELNS0_4arch9wavefront6targetE0EEEvS14_,comdat
	.protected	_ZN7rocprim17ROCPRIM_400000_NS6detail17trampoline_kernelINS0_14default_configENS1_22reduce_config_selectorIN6thrust23THRUST_200600_302600_NS5tupleIblNS6_9null_typeES8_S8_S8_S8_S8_S8_S8_EEEEZNS1_11reduce_implILb1ES3_NS6_12zip_iteratorINS7_INS6_11hip_rocprim26transform_input_iterator_tIbNSD_35transform_pair_of_input_iterators_tIbNS6_6detail15normal_iteratorINS6_10device_ptrIKtEEEESL_NS6_8equal_toItEEEENSG_9not_fun_tINSD_8identityEEEEENSD_19counting_iterator_tIlEES8_S8_S8_S8_S8_S8_S8_S8_EEEEPS9_S9_NSD_9__find_if7functorIS9_EEEE10hipError_tPvRmT1_T2_T3_mT4_P12ihipStream_tbEUlT_E1_NS1_11comp_targetILNS1_3genE10ELNS1_11target_archE1200ELNS1_3gpuE4ELNS1_3repE0EEENS1_30default_config_static_selectorELNS0_4arch9wavefront6targetE0EEEvS14_ ; -- Begin function _ZN7rocprim17ROCPRIM_400000_NS6detail17trampoline_kernelINS0_14default_configENS1_22reduce_config_selectorIN6thrust23THRUST_200600_302600_NS5tupleIblNS6_9null_typeES8_S8_S8_S8_S8_S8_S8_EEEEZNS1_11reduce_implILb1ES3_NS6_12zip_iteratorINS7_INS6_11hip_rocprim26transform_input_iterator_tIbNSD_35transform_pair_of_input_iterators_tIbNS6_6detail15normal_iteratorINS6_10device_ptrIKtEEEESL_NS6_8equal_toItEEEENSG_9not_fun_tINSD_8identityEEEEENSD_19counting_iterator_tIlEES8_S8_S8_S8_S8_S8_S8_S8_EEEEPS9_S9_NSD_9__find_if7functorIS9_EEEE10hipError_tPvRmT1_T2_T3_mT4_P12ihipStream_tbEUlT_E1_NS1_11comp_targetILNS1_3genE10ELNS1_11target_archE1200ELNS1_3gpuE4ELNS1_3repE0EEENS1_30default_config_static_selectorELNS0_4arch9wavefront6targetE0EEEvS14_
	.globl	_ZN7rocprim17ROCPRIM_400000_NS6detail17trampoline_kernelINS0_14default_configENS1_22reduce_config_selectorIN6thrust23THRUST_200600_302600_NS5tupleIblNS6_9null_typeES8_S8_S8_S8_S8_S8_S8_EEEEZNS1_11reduce_implILb1ES3_NS6_12zip_iteratorINS7_INS6_11hip_rocprim26transform_input_iterator_tIbNSD_35transform_pair_of_input_iterators_tIbNS6_6detail15normal_iteratorINS6_10device_ptrIKtEEEESL_NS6_8equal_toItEEEENSG_9not_fun_tINSD_8identityEEEEENSD_19counting_iterator_tIlEES8_S8_S8_S8_S8_S8_S8_S8_EEEEPS9_S9_NSD_9__find_if7functorIS9_EEEE10hipError_tPvRmT1_T2_T3_mT4_P12ihipStream_tbEUlT_E1_NS1_11comp_targetILNS1_3genE10ELNS1_11target_archE1200ELNS1_3gpuE4ELNS1_3repE0EEENS1_30default_config_static_selectorELNS0_4arch9wavefront6targetE0EEEvS14_
	.p2align	8
	.type	_ZN7rocprim17ROCPRIM_400000_NS6detail17trampoline_kernelINS0_14default_configENS1_22reduce_config_selectorIN6thrust23THRUST_200600_302600_NS5tupleIblNS6_9null_typeES8_S8_S8_S8_S8_S8_S8_EEEEZNS1_11reduce_implILb1ES3_NS6_12zip_iteratorINS7_INS6_11hip_rocprim26transform_input_iterator_tIbNSD_35transform_pair_of_input_iterators_tIbNS6_6detail15normal_iteratorINS6_10device_ptrIKtEEEESL_NS6_8equal_toItEEEENSG_9not_fun_tINSD_8identityEEEEENSD_19counting_iterator_tIlEES8_S8_S8_S8_S8_S8_S8_S8_EEEEPS9_S9_NSD_9__find_if7functorIS9_EEEE10hipError_tPvRmT1_T2_T3_mT4_P12ihipStream_tbEUlT_E1_NS1_11comp_targetILNS1_3genE10ELNS1_11target_archE1200ELNS1_3gpuE4ELNS1_3repE0EEENS1_30default_config_static_selectorELNS0_4arch9wavefront6targetE0EEEvS14_,@function
_ZN7rocprim17ROCPRIM_400000_NS6detail17trampoline_kernelINS0_14default_configENS1_22reduce_config_selectorIN6thrust23THRUST_200600_302600_NS5tupleIblNS6_9null_typeES8_S8_S8_S8_S8_S8_S8_EEEEZNS1_11reduce_implILb1ES3_NS6_12zip_iteratorINS7_INS6_11hip_rocprim26transform_input_iterator_tIbNSD_35transform_pair_of_input_iterators_tIbNS6_6detail15normal_iteratorINS6_10device_ptrIKtEEEESL_NS6_8equal_toItEEEENSG_9not_fun_tINSD_8identityEEEEENSD_19counting_iterator_tIlEES8_S8_S8_S8_S8_S8_S8_S8_EEEEPS9_S9_NSD_9__find_if7functorIS9_EEEE10hipError_tPvRmT1_T2_T3_mT4_P12ihipStream_tbEUlT_E1_NS1_11comp_targetILNS1_3genE10ELNS1_11target_archE1200ELNS1_3gpuE4ELNS1_3repE0EEENS1_30default_config_static_selectorELNS0_4arch9wavefront6targetE0EEEvS14_: ; @_ZN7rocprim17ROCPRIM_400000_NS6detail17trampoline_kernelINS0_14default_configENS1_22reduce_config_selectorIN6thrust23THRUST_200600_302600_NS5tupleIblNS6_9null_typeES8_S8_S8_S8_S8_S8_S8_EEEEZNS1_11reduce_implILb1ES3_NS6_12zip_iteratorINS7_INS6_11hip_rocprim26transform_input_iterator_tIbNSD_35transform_pair_of_input_iterators_tIbNS6_6detail15normal_iteratorINS6_10device_ptrIKtEEEESL_NS6_8equal_toItEEEENSG_9not_fun_tINSD_8identityEEEEENSD_19counting_iterator_tIlEES8_S8_S8_S8_S8_S8_S8_S8_EEEEPS9_S9_NSD_9__find_if7functorIS9_EEEE10hipError_tPvRmT1_T2_T3_mT4_P12ihipStream_tbEUlT_E1_NS1_11comp_targetILNS1_3genE10ELNS1_11target_archE1200ELNS1_3gpuE4ELNS1_3repE0EEENS1_30default_config_static_selectorELNS0_4arch9wavefront6targetE0EEEvS14_
; %bb.0:
	.section	.rodata,"a",@progbits
	.p2align	6, 0x0
	.amdhsa_kernel _ZN7rocprim17ROCPRIM_400000_NS6detail17trampoline_kernelINS0_14default_configENS1_22reduce_config_selectorIN6thrust23THRUST_200600_302600_NS5tupleIblNS6_9null_typeES8_S8_S8_S8_S8_S8_S8_EEEEZNS1_11reduce_implILb1ES3_NS6_12zip_iteratorINS7_INS6_11hip_rocprim26transform_input_iterator_tIbNSD_35transform_pair_of_input_iterators_tIbNS6_6detail15normal_iteratorINS6_10device_ptrIKtEEEESL_NS6_8equal_toItEEEENSG_9not_fun_tINSD_8identityEEEEENSD_19counting_iterator_tIlEES8_S8_S8_S8_S8_S8_S8_S8_EEEEPS9_S9_NSD_9__find_if7functorIS9_EEEE10hipError_tPvRmT1_T2_T3_mT4_P12ihipStream_tbEUlT_E1_NS1_11comp_targetILNS1_3genE10ELNS1_11target_archE1200ELNS1_3gpuE4ELNS1_3repE0EEENS1_30default_config_static_selectorELNS0_4arch9wavefront6targetE0EEEvS14_
		.amdhsa_group_segment_fixed_size 0
		.amdhsa_private_segment_fixed_size 0
		.amdhsa_kernarg_size 88
		.amdhsa_user_sgpr_count 6
		.amdhsa_user_sgpr_private_segment_buffer 1
		.amdhsa_user_sgpr_dispatch_ptr 0
		.amdhsa_user_sgpr_queue_ptr 0
		.amdhsa_user_sgpr_kernarg_segment_ptr 1
		.amdhsa_user_sgpr_dispatch_id 0
		.amdhsa_user_sgpr_flat_scratch_init 0
		.amdhsa_user_sgpr_private_segment_size 0
		.amdhsa_wavefront_size32 1
		.amdhsa_uses_dynamic_stack 0
		.amdhsa_system_sgpr_private_segment_wavefront_offset 0
		.amdhsa_system_sgpr_workgroup_id_x 1
		.amdhsa_system_sgpr_workgroup_id_y 0
		.amdhsa_system_sgpr_workgroup_id_z 0
		.amdhsa_system_sgpr_workgroup_info 0
		.amdhsa_system_vgpr_workitem_id 0
		.amdhsa_next_free_vgpr 1
		.amdhsa_next_free_sgpr 1
		.amdhsa_reserve_vcc 0
		.amdhsa_reserve_flat_scratch 0
		.amdhsa_float_round_mode_32 0
		.amdhsa_float_round_mode_16_64 0
		.amdhsa_float_denorm_mode_32 3
		.amdhsa_float_denorm_mode_16_64 3
		.amdhsa_dx10_clamp 1
		.amdhsa_ieee_mode 1
		.amdhsa_fp16_overflow 0
		.amdhsa_workgroup_processor_mode 1
		.amdhsa_memory_ordered 1
		.amdhsa_forward_progress 1
		.amdhsa_shared_vgpr_count 0
		.amdhsa_exception_fp_ieee_invalid_op 0
		.amdhsa_exception_fp_denorm_src 0
		.amdhsa_exception_fp_ieee_div_zero 0
		.amdhsa_exception_fp_ieee_overflow 0
		.amdhsa_exception_fp_ieee_underflow 0
		.amdhsa_exception_fp_ieee_inexact 0
		.amdhsa_exception_int_div_zero 0
	.end_amdhsa_kernel
	.section	.text._ZN7rocprim17ROCPRIM_400000_NS6detail17trampoline_kernelINS0_14default_configENS1_22reduce_config_selectorIN6thrust23THRUST_200600_302600_NS5tupleIblNS6_9null_typeES8_S8_S8_S8_S8_S8_S8_EEEEZNS1_11reduce_implILb1ES3_NS6_12zip_iteratorINS7_INS6_11hip_rocprim26transform_input_iterator_tIbNSD_35transform_pair_of_input_iterators_tIbNS6_6detail15normal_iteratorINS6_10device_ptrIKtEEEESL_NS6_8equal_toItEEEENSG_9not_fun_tINSD_8identityEEEEENSD_19counting_iterator_tIlEES8_S8_S8_S8_S8_S8_S8_S8_EEEEPS9_S9_NSD_9__find_if7functorIS9_EEEE10hipError_tPvRmT1_T2_T3_mT4_P12ihipStream_tbEUlT_E1_NS1_11comp_targetILNS1_3genE10ELNS1_11target_archE1200ELNS1_3gpuE4ELNS1_3repE0EEENS1_30default_config_static_selectorELNS0_4arch9wavefront6targetE0EEEvS14_,"axG",@progbits,_ZN7rocprim17ROCPRIM_400000_NS6detail17trampoline_kernelINS0_14default_configENS1_22reduce_config_selectorIN6thrust23THRUST_200600_302600_NS5tupleIblNS6_9null_typeES8_S8_S8_S8_S8_S8_S8_EEEEZNS1_11reduce_implILb1ES3_NS6_12zip_iteratorINS7_INS6_11hip_rocprim26transform_input_iterator_tIbNSD_35transform_pair_of_input_iterators_tIbNS6_6detail15normal_iteratorINS6_10device_ptrIKtEEEESL_NS6_8equal_toItEEEENSG_9not_fun_tINSD_8identityEEEEENSD_19counting_iterator_tIlEES8_S8_S8_S8_S8_S8_S8_S8_EEEEPS9_S9_NSD_9__find_if7functorIS9_EEEE10hipError_tPvRmT1_T2_T3_mT4_P12ihipStream_tbEUlT_E1_NS1_11comp_targetILNS1_3genE10ELNS1_11target_archE1200ELNS1_3gpuE4ELNS1_3repE0EEENS1_30default_config_static_selectorELNS0_4arch9wavefront6targetE0EEEvS14_,comdat
.Lfunc_end203:
	.size	_ZN7rocprim17ROCPRIM_400000_NS6detail17trampoline_kernelINS0_14default_configENS1_22reduce_config_selectorIN6thrust23THRUST_200600_302600_NS5tupleIblNS6_9null_typeES8_S8_S8_S8_S8_S8_S8_EEEEZNS1_11reduce_implILb1ES3_NS6_12zip_iteratorINS7_INS6_11hip_rocprim26transform_input_iterator_tIbNSD_35transform_pair_of_input_iterators_tIbNS6_6detail15normal_iteratorINS6_10device_ptrIKtEEEESL_NS6_8equal_toItEEEENSG_9not_fun_tINSD_8identityEEEEENSD_19counting_iterator_tIlEES8_S8_S8_S8_S8_S8_S8_S8_EEEEPS9_S9_NSD_9__find_if7functorIS9_EEEE10hipError_tPvRmT1_T2_T3_mT4_P12ihipStream_tbEUlT_E1_NS1_11comp_targetILNS1_3genE10ELNS1_11target_archE1200ELNS1_3gpuE4ELNS1_3repE0EEENS1_30default_config_static_selectorELNS0_4arch9wavefront6targetE0EEEvS14_, .Lfunc_end203-_ZN7rocprim17ROCPRIM_400000_NS6detail17trampoline_kernelINS0_14default_configENS1_22reduce_config_selectorIN6thrust23THRUST_200600_302600_NS5tupleIblNS6_9null_typeES8_S8_S8_S8_S8_S8_S8_EEEEZNS1_11reduce_implILb1ES3_NS6_12zip_iteratorINS7_INS6_11hip_rocprim26transform_input_iterator_tIbNSD_35transform_pair_of_input_iterators_tIbNS6_6detail15normal_iteratorINS6_10device_ptrIKtEEEESL_NS6_8equal_toItEEEENSG_9not_fun_tINSD_8identityEEEEENSD_19counting_iterator_tIlEES8_S8_S8_S8_S8_S8_S8_S8_EEEEPS9_S9_NSD_9__find_if7functorIS9_EEEE10hipError_tPvRmT1_T2_T3_mT4_P12ihipStream_tbEUlT_E1_NS1_11comp_targetILNS1_3genE10ELNS1_11target_archE1200ELNS1_3gpuE4ELNS1_3repE0EEENS1_30default_config_static_selectorELNS0_4arch9wavefront6targetE0EEEvS14_
                                        ; -- End function
	.set _ZN7rocprim17ROCPRIM_400000_NS6detail17trampoline_kernelINS0_14default_configENS1_22reduce_config_selectorIN6thrust23THRUST_200600_302600_NS5tupleIblNS6_9null_typeES8_S8_S8_S8_S8_S8_S8_EEEEZNS1_11reduce_implILb1ES3_NS6_12zip_iteratorINS7_INS6_11hip_rocprim26transform_input_iterator_tIbNSD_35transform_pair_of_input_iterators_tIbNS6_6detail15normal_iteratorINS6_10device_ptrIKtEEEESL_NS6_8equal_toItEEEENSG_9not_fun_tINSD_8identityEEEEENSD_19counting_iterator_tIlEES8_S8_S8_S8_S8_S8_S8_S8_EEEEPS9_S9_NSD_9__find_if7functorIS9_EEEE10hipError_tPvRmT1_T2_T3_mT4_P12ihipStream_tbEUlT_E1_NS1_11comp_targetILNS1_3genE10ELNS1_11target_archE1200ELNS1_3gpuE4ELNS1_3repE0EEENS1_30default_config_static_selectorELNS0_4arch9wavefront6targetE0EEEvS14_.num_vgpr, 0
	.set _ZN7rocprim17ROCPRIM_400000_NS6detail17trampoline_kernelINS0_14default_configENS1_22reduce_config_selectorIN6thrust23THRUST_200600_302600_NS5tupleIblNS6_9null_typeES8_S8_S8_S8_S8_S8_S8_EEEEZNS1_11reduce_implILb1ES3_NS6_12zip_iteratorINS7_INS6_11hip_rocprim26transform_input_iterator_tIbNSD_35transform_pair_of_input_iterators_tIbNS6_6detail15normal_iteratorINS6_10device_ptrIKtEEEESL_NS6_8equal_toItEEEENSG_9not_fun_tINSD_8identityEEEEENSD_19counting_iterator_tIlEES8_S8_S8_S8_S8_S8_S8_S8_EEEEPS9_S9_NSD_9__find_if7functorIS9_EEEE10hipError_tPvRmT1_T2_T3_mT4_P12ihipStream_tbEUlT_E1_NS1_11comp_targetILNS1_3genE10ELNS1_11target_archE1200ELNS1_3gpuE4ELNS1_3repE0EEENS1_30default_config_static_selectorELNS0_4arch9wavefront6targetE0EEEvS14_.num_agpr, 0
	.set _ZN7rocprim17ROCPRIM_400000_NS6detail17trampoline_kernelINS0_14default_configENS1_22reduce_config_selectorIN6thrust23THRUST_200600_302600_NS5tupleIblNS6_9null_typeES8_S8_S8_S8_S8_S8_S8_EEEEZNS1_11reduce_implILb1ES3_NS6_12zip_iteratorINS7_INS6_11hip_rocprim26transform_input_iterator_tIbNSD_35transform_pair_of_input_iterators_tIbNS6_6detail15normal_iteratorINS6_10device_ptrIKtEEEESL_NS6_8equal_toItEEEENSG_9not_fun_tINSD_8identityEEEEENSD_19counting_iterator_tIlEES8_S8_S8_S8_S8_S8_S8_S8_EEEEPS9_S9_NSD_9__find_if7functorIS9_EEEE10hipError_tPvRmT1_T2_T3_mT4_P12ihipStream_tbEUlT_E1_NS1_11comp_targetILNS1_3genE10ELNS1_11target_archE1200ELNS1_3gpuE4ELNS1_3repE0EEENS1_30default_config_static_selectorELNS0_4arch9wavefront6targetE0EEEvS14_.numbered_sgpr, 0
	.set _ZN7rocprim17ROCPRIM_400000_NS6detail17trampoline_kernelINS0_14default_configENS1_22reduce_config_selectorIN6thrust23THRUST_200600_302600_NS5tupleIblNS6_9null_typeES8_S8_S8_S8_S8_S8_S8_EEEEZNS1_11reduce_implILb1ES3_NS6_12zip_iteratorINS7_INS6_11hip_rocprim26transform_input_iterator_tIbNSD_35transform_pair_of_input_iterators_tIbNS6_6detail15normal_iteratorINS6_10device_ptrIKtEEEESL_NS6_8equal_toItEEEENSG_9not_fun_tINSD_8identityEEEEENSD_19counting_iterator_tIlEES8_S8_S8_S8_S8_S8_S8_S8_EEEEPS9_S9_NSD_9__find_if7functorIS9_EEEE10hipError_tPvRmT1_T2_T3_mT4_P12ihipStream_tbEUlT_E1_NS1_11comp_targetILNS1_3genE10ELNS1_11target_archE1200ELNS1_3gpuE4ELNS1_3repE0EEENS1_30default_config_static_selectorELNS0_4arch9wavefront6targetE0EEEvS14_.num_named_barrier, 0
	.set _ZN7rocprim17ROCPRIM_400000_NS6detail17trampoline_kernelINS0_14default_configENS1_22reduce_config_selectorIN6thrust23THRUST_200600_302600_NS5tupleIblNS6_9null_typeES8_S8_S8_S8_S8_S8_S8_EEEEZNS1_11reduce_implILb1ES3_NS6_12zip_iteratorINS7_INS6_11hip_rocprim26transform_input_iterator_tIbNSD_35transform_pair_of_input_iterators_tIbNS6_6detail15normal_iteratorINS6_10device_ptrIKtEEEESL_NS6_8equal_toItEEEENSG_9not_fun_tINSD_8identityEEEEENSD_19counting_iterator_tIlEES8_S8_S8_S8_S8_S8_S8_S8_EEEEPS9_S9_NSD_9__find_if7functorIS9_EEEE10hipError_tPvRmT1_T2_T3_mT4_P12ihipStream_tbEUlT_E1_NS1_11comp_targetILNS1_3genE10ELNS1_11target_archE1200ELNS1_3gpuE4ELNS1_3repE0EEENS1_30default_config_static_selectorELNS0_4arch9wavefront6targetE0EEEvS14_.private_seg_size, 0
	.set _ZN7rocprim17ROCPRIM_400000_NS6detail17trampoline_kernelINS0_14default_configENS1_22reduce_config_selectorIN6thrust23THRUST_200600_302600_NS5tupleIblNS6_9null_typeES8_S8_S8_S8_S8_S8_S8_EEEEZNS1_11reduce_implILb1ES3_NS6_12zip_iteratorINS7_INS6_11hip_rocprim26transform_input_iterator_tIbNSD_35transform_pair_of_input_iterators_tIbNS6_6detail15normal_iteratorINS6_10device_ptrIKtEEEESL_NS6_8equal_toItEEEENSG_9not_fun_tINSD_8identityEEEEENSD_19counting_iterator_tIlEES8_S8_S8_S8_S8_S8_S8_S8_EEEEPS9_S9_NSD_9__find_if7functorIS9_EEEE10hipError_tPvRmT1_T2_T3_mT4_P12ihipStream_tbEUlT_E1_NS1_11comp_targetILNS1_3genE10ELNS1_11target_archE1200ELNS1_3gpuE4ELNS1_3repE0EEENS1_30default_config_static_selectorELNS0_4arch9wavefront6targetE0EEEvS14_.uses_vcc, 0
	.set _ZN7rocprim17ROCPRIM_400000_NS6detail17trampoline_kernelINS0_14default_configENS1_22reduce_config_selectorIN6thrust23THRUST_200600_302600_NS5tupleIblNS6_9null_typeES8_S8_S8_S8_S8_S8_S8_EEEEZNS1_11reduce_implILb1ES3_NS6_12zip_iteratorINS7_INS6_11hip_rocprim26transform_input_iterator_tIbNSD_35transform_pair_of_input_iterators_tIbNS6_6detail15normal_iteratorINS6_10device_ptrIKtEEEESL_NS6_8equal_toItEEEENSG_9not_fun_tINSD_8identityEEEEENSD_19counting_iterator_tIlEES8_S8_S8_S8_S8_S8_S8_S8_EEEEPS9_S9_NSD_9__find_if7functorIS9_EEEE10hipError_tPvRmT1_T2_T3_mT4_P12ihipStream_tbEUlT_E1_NS1_11comp_targetILNS1_3genE10ELNS1_11target_archE1200ELNS1_3gpuE4ELNS1_3repE0EEENS1_30default_config_static_selectorELNS0_4arch9wavefront6targetE0EEEvS14_.uses_flat_scratch, 0
	.set _ZN7rocprim17ROCPRIM_400000_NS6detail17trampoline_kernelINS0_14default_configENS1_22reduce_config_selectorIN6thrust23THRUST_200600_302600_NS5tupleIblNS6_9null_typeES8_S8_S8_S8_S8_S8_S8_EEEEZNS1_11reduce_implILb1ES3_NS6_12zip_iteratorINS7_INS6_11hip_rocprim26transform_input_iterator_tIbNSD_35transform_pair_of_input_iterators_tIbNS6_6detail15normal_iteratorINS6_10device_ptrIKtEEEESL_NS6_8equal_toItEEEENSG_9not_fun_tINSD_8identityEEEEENSD_19counting_iterator_tIlEES8_S8_S8_S8_S8_S8_S8_S8_EEEEPS9_S9_NSD_9__find_if7functorIS9_EEEE10hipError_tPvRmT1_T2_T3_mT4_P12ihipStream_tbEUlT_E1_NS1_11comp_targetILNS1_3genE10ELNS1_11target_archE1200ELNS1_3gpuE4ELNS1_3repE0EEENS1_30default_config_static_selectorELNS0_4arch9wavefront6targetE0EEEvS14_.has_dyn_sized_stack, 0
	.set _ZN7rocprim17ROCPRIM_400000_NS6detail17trampoline_kernelINS0_14default_configENS1_22reduce_config_selectorIN6thrust23THRUST_200600_302600_NS5tupleIblNS6_9null_typeES8_S8_S8_S8_S8_S8_S8_EEEEZNS1_11reduce_implILb1ES3_NS6_12zip_iteratorINS7_INS6_11hip_rocprim26transform_input_iterator_tIbNSD_35transform_pair_of_input_iterators_tIbNS6_6detail15normal_iteratorINS6_10device_ptrIKtEEEESL_NS6_8equal_toItEEEENSG_9not_fun_tINSD_8identityEEEEENSD_19counting_iterator_tIlEES8_S8_S8_S8_S8_S8_S8_S8_EEEEPS9_S9_NSD_9__find_if7functorIS9_EEEE10hipError_tPvRmT1_T2_T3_mT4_P12ihipStream_tbEUlT_E1_NS1_11comp_targetILNS1_3genE10ELNS1_11target_archE1200ELNS1_3gpuE4ELNS1_3repE0EEENS1_30default_config_static_selectorELNS0_4arch9wavefront6targetE0EEEvS14_.has_recursion, 0
	.set _ZN7rocprim17ROCPRIM_400000_NS6detail17trampoline_kernelINS0_14default_configENS1_22reduce_config_selectorIN6thrust23THRUST_200600_302600_NS5tupleIblNS6_9null_typeES8_S8_S8_S8_S8_S8_S8_EEEEZNS1_11reduce_implILb1ES3_NS6_12zip_iteratorINS7_INS6_11hip_rocprim26transform_input_iterator_tIbNSD_35transform_pair_of_input_iterators_tIbNS6_6detail15normal_iteratorINS6_10device_ptrIKtEEEESL_NS6_8equal_toItEEEENSG_9not_fun_tINSD_8identityEEEEENSD_19counting_iterator_tIlEES8_S8_S8_S8_S8_S8_S8_S8_EEEEPS9_S9_NSD_9__find_if7functorIS9_EEEE10hipError_tPvRmT1_T2_T3_mT4_P12ihipStream_tbEUlT_E1_NS1_11comp_targetILNS1_3genE10ELNS1_11target_archE1200ELNS1_3gpuE4ELNS1_3repE0EEENS1_30default_config_static_selectorELNS0_4arch9wavefront6targetE0EEEvS14_.has_indirect_call, 0
	.section	.AMDGPU.csdata,"",@progbits
; Kernel info:
; codeLenInByte = 0
; TotalNumSgprs: 0
; NumVgprs: 0
; ScratchSize: 0
; MemoryBound: 0
; FloatMode: 240
; IeeeMode: 1
; LDSByteSize: 0 bytes/workgroup (compile time only)
; SGPRBlocks: 0
; VGPRBlocks: 0
; NumSGPRsForWavesPerEU: 1
; NumVGPRsForWavesPerEU: 1
; Occupancy: 16
; WaveLimiterHint : 0
; COMPUTE_PGM_RSRC2:SCRATCH_EN: 0
; COMPUTE_PGM_RSRC2:USER_SGPR: 6
; COMPUTE_PGM_RSRC2:TRAP_HANDLER: 0
; COMPUTE_PGM_RSRC2:TGID_X_EN: 1
; COMPUTE_PGM_RSRC2:TGID_Y_EN: 0
; COMPUTE_PGM_RSRC2:TGID_Z_EN: 0
; COMPUTE_PGM_RSRC2:TIDIG_COMP_CNT: 0
	.section	.text._ZN7rocprim17ROCPRIM_400000_NS6detail17trampoline_kernelINS0_14default_configENS1_22reduce_config_selectorIN6thrust23THRUST_200600_302600_NS5tupleIblNS6_9null_typeES8_S8_S8_S8_S8_S8_S8_EEEEZNS1_11reduce_implILb1ES3_NS6_12zip_iteratorINS7_INS6_11hip_rocprim26transform_input_iterator_tIbNSD_35transform_pair_of_input_iterators_tIbNS6_6detail15normal_iteratorINS6_10device_ptrIKtEEEESL_NS6_8equal_toItEEEENSG_9not_fun_tINSD_8identityEEEEENSD_19counting_iterator_tIlEES8_S8_S8_S8_S8_S8_S8_S8_EEEEPS9_S9_NSD_9__find_if7functorIS9_EEEE10hipError_tPvRmT1_T2_T3_mT4_P12ihipStream_tbEUlT_E1_NS1_11comp_targetILNS1_3genE9ELNS1_11target_archE1100ELNS1_3gpuE3ELNS1_3repE0EEENS1_30default_config_static_selectorELNS0_4arch9wavefront6targetE0EEEvS14_,"axG",@progbits,_ZN7rocprim17ROCPRIM_400000_NS6detail17trampoline_kernelINS0_14default_configENS1_22reduce_config_selectorIN6thrust23THRUST_200600_302600_NS5tupleIblNS6_9null_typeES8_S8_S8_S8_S8_S8_S8_EEEEZNS1_11reduce_implILb1ES3_NS6_12zip_iteratorINS7_INS6_11hip_rocprim26transform_input_iterator_tIbNSD_35transform_pair_of_input_iterators_tIbNS6_6detail15normal_iteratorINS6_10device_ptrIKtEEEESL_NS6_8equal_toItEEEENSG_9not_fun_tINSD_8identityEEEEENSD_19counting_iterator_tIlEES8_S8_S8_S8_S8_S8_S8_S8_EEEEPS9_S9_NSD_9__find_if7functorIS9_EEEE10hipError_tPvRmT1_T2_T3_mT4_P12ihipStream_tbEUlT_E1_NS1_11comp_targetILNS1_3genE9ELNS1_11target_archE1100ELNS1_3gpuE3ELNS1_3repE0EEENS1_30default_config_static_selectorELNS0_4arch9wavefront6targetE0EEEvS14_,comdat
	.protected	_ZN7rocprim17ROCPRIM_400000_NS6detail17trampoline_kernelINS0_14default_configENS1_22reduce_config_selectorIN6thrust23THRUST_200600_302600_NS5tupleIblNS6_9null_typeES8_S8_S8_S8_S8_S8_S8_EEEEZNS1_11reduce_implILb1ES3_NS6_12zip_iteratorINS7_INS6_11hip_rocprim26transform_input_iterator_tIbNSD_35transform_pair_of_input_iterators_tIbNS6_6detail15normal_iteratorINS6_10device_ptrIKtEEEESL_NS6_8equal_toItEEEENSG_9not_fun_tINSD_8identityEEEEENSD_19counting_iterator_tIlEES8_S8_S8_S8_S8_S8_S8_S8_EEEEPS9_S9_NSD_9__find_if7functorIS9_EEEE10hipError_tPvRmT1_T2_T3_mT4_P12ihipStream_tbEUlT_E1_NS1_11comp_targetILNS1_3genE9ELNS1_11target_archE1100ELNS1_3gpuE3ELNS1_3repE0EEENS1_30default_config_static_selectorELNS0_4arch9wavefront6targetE0EEEvS14_ ; -- Begin function _ZN7rocprim17ROCPRIM_400000_NS6detail17trampoline_kernelINS0_14default_configENS1_22reduce_config_selectorIN6thrust23THRUST_200600_302600_NS5tupleIblNS6_9null_typeES8_S8_S8_S8_S8_S8_S8_EEEEZNS1_11reduce_implILb1ES3_NS6_12zip_iteratorINS7_INS6_11hip_rocprim26transform_input_iterator_tIbNSD_35transform_pair_of_input_iterators_tIbNS6_6detail15normal_iteratorINS6_10device_ptrIKtEEEESL_NS6_8equal_toItEEEENSG_9not_fun_tINSD_8identityEEEEENSD_19counting_iterator_tIlEES8_S8_S8_S8_S8_S8_S8_S8_EEEEPS9_S9_NSD_9__find_if7functorIS9_EEEE10hipError_tPvRmT1_T2_T3_mT4_P12ihipStream_tbEUlT_E1_NS1_11comp_targetILNS1_3genE9ELNS1_11target_archE1100ELNS1_3gpuE3ELNS1_3repE0EEENS1_30default_config_static_selectorELNS0_4arch9wavefront6targetE0EEEvS14_
	.globl	_ZN7rocprim17ROCPRIM_400000_NS6detail17trampoline_kernelINS0_14default_configENS1_22reduce_config_selectorIN6thrust23THRUST_200600_302600_NS5tupleIblNS6_9null_typeES8_S8_S8_S8_S8_S8_S8_EEEEZNS1_11reduce_implILb1ES3_NS6_12zip_iteratorINS7_INS6_11hip_rocprim26transform_input_iterator_tIbNSD_35transform_pair_of_input_iterators_tIbNS6_6detail15normal_iteratorINS6_10device_ptrIKtEEEESL_NS6_8equal_toItEEEENSG_9not_fun_tINSD_8identityEEEEENSD_19counting_iterator_tIlEES8_S8_S8_S8_S8_S8_S8_S8_EEEEPS9_S9_NSD_9__find_if7functorIS9_EEEE10hipError_tPvRmT1_T2_T3_mT4_P12ihipStream_tbEUlT_E1_NS1_11comp_targetILNS1_3genE9ELNS1_11target_archE1100ELNS1_3gpuE3ELNS1_3repE0EEENS1_30default_config_static_selectorELNS0_4arch9wavefront6targetE0EEEvS14_
	.p2align	8
	.type	_ZN7rocprim17ROCPRIM_400000_NS6detail17trampoline_kernelINS0_14default_configENS1_22reduce_config_selectorIN6thrust23THRUST_200600_302600_NS5tupleIblNS6_9null_typeES8_S8_S8_S8_S8_S8_S8_EEEEZNS1_11reduce_implILb1ES3_NS6_12zip_iteratorINS7_INS6_11hip_rocprim26transform_input_iterator_tIbNSD_35transform_pair_of_input_iterators_tIbNS6_6detail15normal_iteratorINS6_10device_ptrIKtEEEESL_NS6_8equal_toItEEEENSG_9not_fun_tINSD_8identityEEEEENSD_19counting_iterator_tIlEES8_S8_S8_S8_S8_S8_S8_S8_EEEEPS9_S9_NSD_9__find_if7functorIS9_EEEE10hipError_tPvRmT1_T2_T3_mT4_P12ihipStream_tbEUlT_E1_NS1_11comp_targetILNS1_3genE9ELNS1_11target_archE1100ELNS1_3gpuE3ELNS1_3repE0EEENS1_30default_config_static_selectorELNS0_4arch9wavefront6targetE0EEEvS14_,@function
_ZN7rocprim17ROCPRIM_400000_NS6detail17trampoline_kernelINS0_14default_configENS1_22reduce_config_selectorIN6thrust23THRUST_200600_302600_NS5tupleIblNS6_9null_typeES8_S8_S8_S8_S8_S8_S8_EEEEZNS1_11reduce_implILb1ES3_NS6_12zip_iteratorINS7_INS6_11hip_rocprim26transform_input_iterator_tIbNSD_35transform_pair_of_input_iterators_tIbNS6_6detail15normal_iteratorINS6_10device_ptrIKtEEEESL_NS6_8equal_toItEEEENSG_9not_fun_tINSD_8identityEEEEENSD_19counting_iterator_tIlEES8_S8_S8_S8_S8_S8_S8_S8_EEEEPS9_S9_NSD_9__find_if7functorIS9_EEEE10hipError_tPvRmT1_T2_T3_mT4_P12ihipStream_tbEUlT_E1_NS1_11comp_targetILNS1_3genE9ELNS1_11target_archE1100ELNS1_3gpuE3ELNS1_3repE0EEENS1_30default_config_static_selectorELNS0_4arch9wavefront6targetE0EEEvS14_: ; @_ZN7rocprim17ROCPRIM_400000_NS6detail17trampoline_kernelINS0_14default_configENS1_22reduce_config_selectorIN6thrust23THRUST_200600_302600_NS5tupleIblNS6_9null_typeES8_S8_S8_S8_S8_S8_S8_EEEEZNS1_11reduce_implILb1ES3_NS6_12zip_iteratorINS7_INS6_11hip_rocprim26transform_input_iterator_tIbNSD_35transform_pair_of_input_iterators_tIbNS6_6detail15normal_iteratorINS6_10device_ptrIKtEEEESL_NS6_8equal_toItEEEENSG_9not_fun_tINSD_8identityEEEEENSD_19counting_iterator_tIlEES8_S8_S8_S8_S8_S8_S8_S8_EEEEPS9_S9_NSD_9__find_if7functorIS9_EEEE10hipError_tPvRmT1_T2_T3_mT4_P12ihipStream_tbEUlT_E1_NS1_11comp_targetILNS1_3genE9ELNS1_11target_archE1100ELNS1_3gpuE3ELNS1_3repE0EEENS1_30default_config_static_selectorELNS0_4arch9wavefront6targetE0EEEvS14_
; %bb.0:
	.section	.rodata,"a",@progbits
	.p2align	6, 0x0
	.amdhsa_kernel _ZN7rocprim17ROCPRIM_400000_NS6detail17trampoline_kernelINS0_14default_configENS1_22reduce_config_selectorIN6thrust23THRUST_200600_302600_NS5tupleIblNS6_9null_typeES8_S8_S8_S8_S8_S8_S8_EEEEZNS1_11reduce_implILb1ES3_NS6_12zip_iteratorINS7_INS6_11hip_rocprim26transform_input_iterator_tIbNSD_35transform_pair_of_input_iterators_tIbNS6_6detail15normal_iteratorINS6_10device_ptrIKtEEEESL_NS6_8equal_toItEEEENSG_9not_fun_tINSD_8identityEEEEENSD_19counting_iterator_tIlEES8_S8_S8_S8_S8_S8_S8_S8_EEEEPS9_S9_NSD_9__find_if7functorIS9_EEEE10hipError_tPvRmT1_T2_T3_mT4_P12ihipStream_tbEUlT_E1_NS1_11comp_targetILNS1_3genE9ELNS1_11target_archE1100ELNS1_3gpuE3ELNS1_3repE0EEENS1_30default_config_static_selectorELNS0_4arch9wavefront6targetE0EEEvS14_
		.amdhsa_group_segment_fixed_size 0
		.amdhsa_private_segment_fixed_size 0
		.amdhsa_kernarg_size 88
		.amdhsa_user_sgpr_count 6
		.amdhsa_user_sgpr_private_segment_buffer 1
		.amdhsa_user_sgpr_dispatch_ptr 0
		.amdhsa_user_sgpr_queue_ptr 0
		.amdhsa_user_sgpr_kernarg_segment_ptr 1
		.amdhsa_user_sgpr_dispatch_id 0
		.amdhsa_user_sgpr_flat_scratch_init 0
		.amdhsa_user_sgpr_private_segment_size 0
		.amdhsa_wavefront_size32 1
		.amdhsa_uses_dynamic_stack 0
		.amdhsa_system_sgpr_private_segment_wavefront_offset 0
		.amdhsa_system_sgpr_workgroup_id_x 1
		.amdhsa_system_sgpr_workgroup_id_y 0
		.amdhsa_system_sgpr_workgroup_id_z 0
		.amdhsa_system_sgpr_workgroup_info 0
		.amdhsa_system_vgpr_workitem_id 0
		.amdhsa_next_free_vgpr 1
		.amdhsa_next_free_sgpr 1
		.amdhsa_reserve_vcc 0
		.amdhsa_reserve_flat_scratch 0
		.amdhsa_float_round_mode_32 0
		.amdhsa_float_round_mode_16_64 0
		.amdhsa_float_denorm_mode_32 3
		.amdhsa_float_denorm_mode_16_64 3
		.amdhsa_dx10_clamp 1
		.amdhsa_ieee_mode 1
		.amdhsa_fp16_overflow 0
		.amdhsa_workgroup_processor_mode 1
		.amdhsa_memory_ordered 1
		.amdhsa_forward_progress 1
		.amdhsa_shared_vgpr_count 0
		.amdhsa_exception_fp_ieee_invalid_op 0
		.amdhsa_exception_fp_denorm_src 0
		.amdhsa_exception_fp_ieee_div_zero 0
		.amdhsa_exception_fp_ieee_overflow 0
		.amdhsa_exception_fp_ieee_underflow 0
		.amdhsa_exception_fp_ieee_inexact 0
		.amdhsa_exception_int_div_zero 0
	.end_amdhsa_kernel
	.section	.text._ZN7rocprim17ROCPRIM_400000_NS6detail17trampoline_kernelINS0_14default_configENS1_22reduce_config_selectorIN6thrust23THRUST_200600_302600_NS5tupleIblNS6_9null_typeES8_S8_S8_S8_S8_S8_S8_EEEEZNS1_11reduce_implILb1ES3_NS6_12zip_iteratorINS7_INS6_11hip_rocprim26transform_input_iterator_tIbNSD_35transform_pair_of_input_iterators_tIbNS6_6detail15normal_iteratorINS6_10device_ptrIKtEEEESL_NS6_8equal_toItEEEENSG_9not_fun_tINSD_8identityEEEEENSD_19counting_iterator_tIlEES8_S8_S8_S8_S8_S8_S8_S8_EEEEPS9_S9_NSD_9__find_if7functorIS9_EEEE10hipError_tPvRmT1_T2_T3_mT4_P12ihipStream_tbEUlT_E1_NS1_11comp_targetILNS1_3genE9ELNS1_11target_archE1100ELNS1_3gpuE3ELNS1_3repE0EEENS1_30default_config_static_selectorELNS0_4arch9wavefront6targetE0EEEvS14_,"axG",@progbits,_ZN7rocprim17ROCPRIM_400000_NS6detail17trampoline_kernelINS0_14default_configENS1_22reduce_config_selectorIN6thrust23THRUST_200600_302600_NS5tupleIblNS6_9null_typeES8_S8_S8_S8_S8_S8_S8_EEEEZNS1_11reduce_implILb1ES3_NS6_12zip_iteratorINS7_INS6_11hip_rocprim26transform_input_iterator_tIbNSD_35transform_pair_of_input_iterators_tIbNS6_6detail15normal_iteratorINS6_10device_ptrIKtEEEESL_NS6_8equal_toItEEEENSG_9not_fun_tINSD_8identityEEEEENSD_19counting_iterator_tIlEES8_S8_S8_S8_S8_S8_S8_S8_EEEEPS9_S9_NSD_9__find_if7functorIS9_EEEE10hipError_tPvRmT1_T2_T3_mT4_P12ihipStream_tbEUlT_E1_NS1_11comp_targetILNS1_3genE9ELNS1_11target_archE1100ELNS1_3gpuE3ELNS1_3repE0EEENS1_30default_config_static_selectorELNS0_4arch9wavefront6targetE0EEEvS14_,comdat
.Lfunc_end204:
	.size	_ZN7rocprim17ROCPRIM_400000_NS6detail17trampoline_kernelINS0_14default_configENS1_22reduce_config_selectorIN6thrust23THRUST_200600_302600_NS5tupleIblNS6_9null_typeES8_S8_S8_S8_S8_S8_S8_EEEEZNS1_11reduce_implILb1ES3_NS6_12zip_iteratorINS7_INS6_11hip_rocprim26transform_input_iterator_tIbNSD_35transform_pair_of_input_iterators_tIbNS6_6detail15normal_iteratorINS6_10device_ptrIKtEEEESL_NS6_8equal_toItEEEENSG_9not_fun_tINSD_8identityEEEEENSD_19counting_iterator_tIlEES8_S8_S8_S8_S8_S8_S8_S8_EEEEPS9_S9_NSD_9__find_if7functorIS9_EEEE10hipError_tPvRmT1_T2_T3_mT4_P12ihipStream_tbEUlT_E1_NS1_11comp_targetILNS1_3genE9ELNS1_11target_archE1100ELNS1_3gpuE3ELNS1_3repE0EEENS1_30default_config_static_selectorELNS0_4arch9wavefront6targetE0EEEvS14_, .Lfunc_end204-_ZN7rocprim17ROCPRIM_400000_NS6detail17trampoline_kernelINS0_14default_configENS1_22reduce_config_selectorIN6thrust23THRUST_200600_302600_NS5tupleIblNS6_9null_typeES8_S8_S8_S8_S8_S8_S8_EEEEZNS1_11reduce_implILb1ES3_NS6_12zip_iteratorINS7_INS6_11hip_rocprim26transform_input_iterator_tIbNSD_35transform_pair_of_input_iterators_tIbNS6_6detail15normal_iteratorINS6_10device_ptrIKtEEEESL_NS6_8equal_toItEEEENSG_9not_fun_tINSD_8identityEEEEENSD_19counting_iterator_tIlEES8_S8_S8_S8_S8_S8_S8_S8_EEEEPS9_S9_NSD_9__find_if7functorIS9_EEEE10hipError_tPvRmT1_T2_T3_mT4_P12ihipStream_tbEUlT_E1_NS1_11comp_targetILNS1_3genE9ELNS1_11target_archE1100ELNS1_3gpuE3ELNS1_3repE0EEENS1_30default_config_static_selectorELNS0_4arch9wavefront6targetE0EEEvS14_
                                        ; -- End function
	.set _ZN7rocprim17ROCPRIM_400000_NS6detail17trampoline_kernelINS0_14default_configENS1_22reduce_config_selectorIN6thrust23THRUST_200600_302600_NS5tupleIblNS6_9null_typeES8_S8_S8_S8_S8_S8_S8_EEEEZNS1_11reduce_implILb1ES3_NS6_12zip_iteratorINS7_INS6_11hip_rocprim26transform_input_iterator_tIbNSD_35transform_pair_of_input_iterators_tIbNS6_6detail15normal_iteratorINS6_10device_ptrIKtEEEESL_NS6_8equal_toItEEEENSG_9not_fun_tINSD_8identityEEEEENSD_19counting_iterator_tIlEES8_S8_S8_S8_S8_S8_S8_S8_EEEEPS9_S9_NSD_9__find_if7functorIS9_EEEE10hipError_tPvRmT1_T2_T3_mT4_P12ihipStream_tbEUlT_E1_NS1_11comp_targetILNS1_3genE9ELNS1_11target_archE1100ELNS1_3gpuE3ELNS1_3repE0EEENS1_30default_config_static_selectorELNS0_4arch9wavefront6targetE0EEEvS14_.num_vgpr, 0
	.set _ZN7rocprim17ROCPRIM_400000_NS6detail17trampoline_kernelINS0_14default_configENS1_22reduce_config_selectorIN6thrust23THRUST_200600_302600_NS5tupleIblNS6_9null_typeES8_S8_S8_S8_S8_S8_S8_EEEEZNS1_11reduce_implILb1ES3_NS6_12zip_iteratorINS7_INS6_11hip_rocprim26transform_input_iterator_tIbNSD_35transform_pair_of_input_iterators_tIbNS6_6detail15normal_iteratorINS6_10device_ptrIKtEEEESL_NS6_8equal_toItEEEENSG_9not_fun_tINSD_8identityEEEEENSD_19counting_iterator_tIlEES8_S8_S8_S8_S8_S8_S8_S8_EEEEPS9_S9_NSD_9__find_if7functorIS9_EEEE10hipError_tPvRmT1_T2_T3_mT4_P12ihipStream_tbEUlT_E1_NS1_11comp_targetILNS1_3genE9ELNS1_11target_archE1100ELNS1_3gpuE3ELNS1_3repE0EEENS1_30default_config_static_selectorELNS0_4arch9wavefront6targetE0EEEvS14_.num_agpr, 0
	.set _ZN7rocprim17ROCPRIM_400000_NS6detail17trampoline_kernelINS0_14default_configENS1_22reduce_config_selectorIN6thrust23THRUST_200600_302600_NS5tupleIblNS6_9null_typeES8_S8_S8_S8_S8_S8_S8_EEEEZNS1_11reduce_implILb1ES3_NS6_12zip_iteratorINS7_INS6_11hip_rocprim26transform_input_iterator_tIbNSD_35transform_pair_of_input_iterators_tIbNS6_6detail15normal_iteratorINS6_10device_ptrIKtEEEESL_NS6_8equal_toItEEEENSG_9not_fun_tINSD_8identityEEEEENSD_19counting_iterator_tIlEES8_S8_S8_S8_S8_S8_S8_S8_EEEEPS9_S9_NSD_9__find_if7functorIS9_EEEE10hipError_tPvRmT1_T2_T3_mT4_P12ihipStream_tbEUlT_E1_NS1_11comp_targetILNS1_3genE9ELNS1_11target_archE1100ELNS1_3gpuE3ELNS1_3repE0EEENS1_30default_config_static_selectorELNS0_4arch9wavefront6targetE0EEEvS14_.numbered_sgpr, 0
	.set _ZN7rocprim17ROCPRIM_400000_NS6detail17trampoline_kernelINS0_14default_configENS1_22reduce_config_selectorIN6thrust23THRUST_200600_302600_NS5tupleIblNS6_9null_typeES8_S8_S8_S8_S8_S8_S8_EEEEZNS1_11reduce_implILb1ES3_NS6_12zip_iteratorINS7_INS6_11hip_rocprim26transform_input_iterator_tIbNSD_35transform_pair_of_input_iterators_tIbNS6_6detail15normal_iteratorINS6_10device_ptrIKtEEEESL_NS6_8equal_toItEEEENSG_9not_fun_tINSD_8identityEEEEENSD_19counting_iterator_tIlEES8_S8_S8_S8_S8_S8_S8_S8_EEEEPS9_S9_NSD_9__find_if7functorIS9_EEEE10hipError_tPvRmT1_T2_T3_mT4_P12ihipStream_tbEUlT_E1_NS1_11comp_targetILNS1_3genE9ELNS1_11target_archE1100ELNS1_3gpuE3ELNS1_3repE0EEENS1_30default_config_static_selectorELNS0_4arch9wavefront6targetE0EEEvS14_.num_named_barrier, 0
	.set _ZN7rocprim17ROCPRIM_400000_NS6detail17trampoline_kernelINS0_14default_configENS1_22reduce_config_selectorIN6thrust23THRUST_200600_302600_NS5tupleIblNS6_9null_typeES8_S8_S8_S8_S8_S8_S8_EEEEZNS1_11reduce_implILb1ES3_NS6_12zip_iteratorINS7_INS6_11hip_rocprim26transform_input_iterator_tIbNSD_35transform_pair_of_input_iterators_tIbNS6_6detail15normal_iteratorINS6_10device_ptrIKtEEEESL_NS6_8equal_toItEEEENSG_9not_fun_tINSD_8identityEEEEENSD_19counting_iterator_tIlEES8_S8_S8_S8_S8_S8_S8_S8_EEEEPS9_S9_NSD_9__find_if7functorIS9_EEEE10hipError_tPvRmT1_T2_T3_mT4_P12ihipStream_tbEUlT_E1_NS1_11comp_targetILNS1_3genE9ELNS1_11target_archE1100ELNS1_3gpuE3ELNS1_3repE0EEENS1_30default_config_static_selectorELNS0_4arch9wavefront6targetE0EEEvS14_.private_seg_size, 0
	.set _ZN7rocprim17ROCPRIM_400000_NS6detail17trampoline_kernelINS0_14default_configENS1_22reduce_config_selectorIN6thrust23THRUST_200600_302600_NS5tupleIblNS6_9null_typeES8_S8_S8_S8_S8_S8_S8_EEEEZNS1_11reduce_implILb1ES3_NS6_12zip_iteratorINS7_INS6_11hip_rocprim26transform_input_iterator_tIbNSD_35transform_pair_of_input_iterators_tIbNS6_6detail15normal_iteratorINS6_10device_ptrIKtEEEESL_NS6_8equal_toItEEEENSG_9not_fun_tINSD_8identityEEEEENSD_19counting_iterator_tIlEES8_S8_S8_S8_S8_S8_S8_S8_EEEEPS9_S9_NSD_9__find_if7functorIS9_EEEE10hipError_tPvRmT1_T2_T3_mT4_P12ihipStream_tbEUlT_E1_NS1_11comp_targetILNS1_3genE9ELNS1_11target_archE1100ELNS1_3gpuE3ELNS1_3repE0EEENS1_30default_config_static_selectorELNS0_4arch9wavefront6targetE0EEEvS14_.uses_vcc, 0
	.set _ZN7rocprim17ROCPRIM_400000_NS6detail17trampoline_kernelINS0_14default_configENS1_22reduce_config_selectorIN6thrust23THRUST_200600_302600_NS5tupleIblNS6_9null_typeES8_S8_S8_S8_S8_S8_S8_EEEEZNS1_11reduce_implILb1ES3_NS6_12zip_iteratorINS7_INS6_11hip_rocprim26transform_input_iterator_tIbNSD_35transform_pair_of_input_iterators_tIbNS6_6detail15normal_iteratorINS6_10device_ptrIKtEEEESL_NS6_8equal_toItEEEENSG_9not_fun_tINSD_8identityEEEEENSD_19counting_iterator_tIlEES8_S8_S8_S8_S8_S8_S8_S8_EEEEPS9_S9_NSD_9__find_if7functorIS9_EEEE10hipError_tPvRmT1_T2_T3_mT4_P12ihipStream_tbEUlT_E1_NS1_11comp_targetILNS1_3genE9ELNS1_11target_archE1100ELNS1_3gpuE3ELNS1_3repE0EEENS1_30default_config_static_selectorELNS0_4arch9wavefront6targetE0EEEvS14_.uses_flat_scratch, 0
	.set _ZN7rocprim17ROCPRIM_400000_NS6detail17trampoline_kernelINS0_14default_configENS1_22reduce_config_selectorIN6thrust23THRUST_200600_302600_NS5tupleIblNS6_9null_typeES8_S8_S8_S8_S8_S8_S8_EEEEZNS1_11reduce_implILb1ES3_NS6_12zip_iteratorINS7_INS6_11hip_rocprim26transform_input_iterator_tIbNSD_35transform_pair_of_input_iterators_tIbNS6_6detail15normal_iteratorINS6_10device_ptrIKtEEEESL_NS6_8equal_toItEEEENSG_9not_fun_tINSD_8identityEEEEENSD_19counting_iterator_tIlEES8_S8_S8_S8_S8_S8_S8_S8_EEEEPS9_S9_NSD_9__find_if7functorIS9_EEEE10hipError_tPvRmT1_T2_T3_mT4_P12ihipStream_tbEUlT_E1_NS1_11comp_targetILNS1_3genE9ELNS1_11target_archE1100ELNS1_3gpuE3ELNS1_3repE0EEENS1_30default_config_static_selectorELNS0_4arch9wavefront6targetE0EEEvS14_.has_dyn_sized_stack, 0
	.set _ZN7rocprim17ROCPRIM_400000_NS6detail17trampoline_kernelINS0_14default_configENS1_22reduce_config_selectorIN6thrust23THRUST_200600_302600_NS5tupleIblNS6_9null_typeES8_S8_S8_S8_S8_S8_S8_EEEEZNS1_11reduce_implILb1ES3_NS6_12zip_iteratorINS7_INS6_11hip_rocprim26transform_input_iterator_tIbNSD_35transform_pair_of_input_iterators_tIbNS6_6detail15normal_iteratorINS6_10device_ptrIKtEEEESL_NS6_8equal_toItEEEENSG_9not_fun_tINSD_8identityEEEEENSD_19counting_iterator_tIlEES8_S8_S8_S8_S8_S8_S8_S8_EEEEPS9_S9_NSD_9__find_if7functorIS9_EEEE10hipError_tPvRmT1_T2_T3_mT4_P12ihipStream_tbEUlT_E1_NS1_11comp_targetILNS1_3genE9ELNS1_11target_archE1100ELNS1_3gpuE3ELNS1_3repE0EEENS1_30default_config_static_selectorELNS0_4arch9wavefront6targetE0EEEvS14_.has_recursion, 0
	.set _ZN7rocprim17ROCPRIM_400000_NS6detail17trampoline_kernelINS0_14default_configENS1_22reduce_config_selectorIN6thrust23THRUST_200600_302600_NS5tupleIblNS6_9null_typeES8_S8_S8_S8_S8_S8_S8_EEEEZNS1_11reduce_implILb1ES3_NS6_12zip_iteratorINS7_INS6_11hip_rocprim26transform_input_iterator_tIbNSD_35transform_pair_of_input_iterators_tIbNS6_6detail15normal_iteratorINS6_10device_ptrIKtEEEESL_NS6_8equal_toItEEEENSG_9not_fun_tINSD_8identityEEEEENSD_19counting_iterator_tIlEES8_S8_S8_S8_S8_S8_S8_S8_EEEEPS9_S9_NSD_9__find_if7functorIS9_EEEE10hipError_tPvRmT1_T2_T3_mT4_P12ihipStream_tbEUlT_E1_NS1_11comp_targetILNS1_3genE9ELNS1_11target_archE1100ELNS1_3gpuE3ELNS1_3repE0EEENS1_30default_config_static_selectorELNS0_4arch9wavefront6targetE0EEEvS14_.has_indirect_call, 0
	.section	.AMDGPU.csdata,"",@progbits
; Kernel info:
; codeLenInByte = 0
; TotalNumSgprs: 0
; NumVgprs: 0
; ScratchSize: 0
; MemoryBound: 0
; FloatMode: 240
; IeeeMode: 1
; LDSByteSize: 0 bytes/workgroup (compile time only)
; SGPRBlocks: 0
; VGPRBlocks: 0
; NumSGPRsForWavesPerEU: 1
; NumVGPRsForWavesPerEU: 1
; Occupancy: 16
; WaveLimiterHint : 0
; COMPUTE_PGM_RSRC2:SCRATCH_EN: 0
; COMPUTE_PGM_RSRC2:USER_SGPR: 6
; COMPUTE_PGM_RSRC2:TRAP_HANDLER: 0
; COMPUTE_PGM_RSRC2:TGID_X_EN: 1
; COMPUTE_PGM_RSRC2:TGID_Y_EN: 0
; COMPUTE_PGM_RSRC2:TGID_Z_EN: 0
; COMPUTE_PGM_RSRC2:TIDIG_COMP_CNT: 0
	.section	.text._ZN7rocprim17ROCPRIM_400000_NS6detail17trampoline_kernelINS0_14default_configENS1_22reduce_config_selectorIN6thrust23THRUST_200600_302600_NS5tupleIblNS6_9null_typeES8_S8_S8_S8_S8_S8_S8_EEEEZNS1_11reduce_implILb1ES3_NS6_12zip_iteratorINS7_INS6_11hip_rocprim26transform_input_iterator_tIbNSD_35transform_pair_of_input_iterators_tIbNS6_6detail15normal_iteratorINS6_10device_ptrIKtEEEESL_NS6_8equal_toItEEEENSG_9not_fun_tINSD_8identityEEEEENSD_19counting_iterator_tIlEES8_S8_S8_S8_S8_S8_S8_S8_EEEEPS9_S9_NSD_9__find_if7functorIS9_EEEE10hipError_tPvRmT1_T2_T3_mT4_P12ihipStream_tbEUlT_E1_NS1_11comp_targetILNS1_3genE8ELNS1_11target_archE1030ELNS1_3gpuE2ELNS1_3repE0EEENS1_30default_config_static_selectorELNS0_4arch9wavefront6targetE0EEEvS14_,"axG",@progbits,_ZN7rocprim17ROCPRIM_400000_NS6detail17trampoline_kernelINS0_14default_configENS1_22reduce_config_selectorIN6thrust23THRUST_200600_302600_NS5tupleIblNS6_9null_typeES8_S8_S8_S8_S8_S8_S8_EEEEZNS1_11reduce_implILb1ES3_NS6_12zip_iteratorINS7_INS6_11hip_rocprim26transform_input_iterator_tIbNSD_35transform_pair_of_input_iterators_tIbNS6_6detail15normal_iteratorINS6_10device_ptrIKtEEEESL_NS6_8equal_toItEEEENSG_9not_fun_tINSD_8identityEEEEENSD_19counting_iterator_tIlEES8_S8_S8_S8_S8_S8_S8_S8_EEEEPS9_S9_NSD_9__find_if7functorIS9_EEEE10hipError_tPvRmT1_T2_T3_mT4_P12ihipStream_tbEUlT_E1_NS1_11comp_targetILNS1_3genE8ELNS1_11target_archE1030ELNS1_3gpuE2ELNS1_3repE0EEENS1_30default_config_static_selectorELNS0_4arch9wavefront6targetE0EEEvS14_,comdat
	.protected	_ZN7rocprim17ROCPRIM_400000_NS6detail17trampoline_kernelINS0_14default_configENS1_22reduce_config_selectorIN6thrust23THRUST_200600_302600_NS5tupleIblNS6_9null_typeES8_S8_S8_S8_S8_S8_S8_EEEEZNS1_11reduce_implILb1ES3_NS6_12zip_iteratorINS7_INS6_11hip_rocprim26transform_input_iterator_tIbNSD_35transform_pair_of_input_iterators_tIbNS6_6detail15normal_iteratorINS6_10device_ptrIKtEEEESL_NS6_8equal_toItEEEENSG_9not_fun_tINSD_8identityEEEEENSD_19counting_iterator_tIlEES8_S8_S8_S8_S8_S8_S8_S8_EEEEPS9_S9_NSD_9__find_if7functorIS9_EEEE10hipError_tPvRmT1_T2_T3_mT4_P12ihipStream_tbEUlT_E1_NS1_11comp_targetILNS1_3genE8ELNS1_11target_archE1030ELNS1_3gpuE2ELNS1_3repE0EEENS1_30default_config_static_selectorELNS0_4arch9wavefront6targetE0EEEvS14_ ; -- Begin function _ZN7rocprim17ROCPRIM_400000_NS6detail17trampoline_kernelINS0_14default_configENS1_22reduce_config_selectorIN6thrust23THRUST_200600_302600_NS5tupleIblNS6_9null_typeES8_S8_S8_S8_S8_S8_S8_EEEEZNS1_11reduce_implILb1ES3_NS6_12zip_iteratorINS7_INS6_11hip_rocprim26transform_input_iterator_tIbNSD_35transform_pair_of_input_iterators_tIbNS6_6detail15normal_iteratorINS6_10device_ptrIKtEEEESL_NS6_8equal_toItEEEENSG_9not_fun_tINSD_8identityEEEEENSD_19counting_iterator_tIlEES8_S8_S8_S8_S8_S8_S8_S8_EEEEPS9_S9_NSD_9__find_if7functorIS9_EEEE10hipError_tPvRmT1_T2_T3_mT4_P12ihipStream_tbEUlT_E1_NS1_11comp_targetILNS1_3genE8ELNS1_11target_archE1030ELNS1_3gpuE2ELNS1_3repE0EEENS1_30default_config_static_selectorELNS0_4arch9wavefront6targetE0EEEvS14_
	.globl	_ZN7rocprim17ROCPRIM_400000_NS6detail17trampoline_kernelINS0_14default_configENS1_22reduce_config_selectorIN6thrust23THRUST_200600_302600_NS5tupleIblNS6_9null_typeES8_S8_S8_S8_S8_S8_S8_EEEEZNS1_11reduce_implILb1ES3_NS6_12zip_iteratorINS7_INS6_11hip_rocprim26transform_input_iterator_tIbNSD_35transform_pair_of_input_iterators_tIbNS6_6detail15normal_iteratorINS6_10device_ptrIKtEEEESL_NS6_8equal_toItEEEENSG_9not_fun_tINSD_8identityEEEEENSD_19counting_iterator_tIlEES8_S8_S8_S8_S8_S8_S8_S8_EEEEPS9_S9_NSD_9__find_if7functorIS9_EEEE10hipError_tPvRmT1_T2_T3_mT4_P12ihipStream_tbEUlT_E1_NS1_11comp_targetILNS1_3genE8ELNS1_11target_archE1030ELNS1_3gpuE2ELNS1_3repE0EEENS1_30default_config_static_selectorELNS0_4arch9wavefront6targetE0EEEvS14_
	.p2align	8
	.type	_ZN7rocprim17ROCPRIM_400000_NS6detail17trampoline_kernelINS0_14default_configENS1_22reduce_config_selectorIN6thrust23THRUST_200600_302600_NS5tupleIblNS6_9null_typeES8_S8_S8_S8_S8_S8_S8_EEEEZNS1_11reduce_implILb1ES3_NS6_12zip_iteratorINS7_INS6_11hip_rocprim26transform_input_iterator_tIbNSD_35transform_pair_of_input_iterators_tIbNS6_6detail15normal_iteratorINS6_10device_ptrIKtEEEESL_NS6_8equal_toItEEEENSG_9not_fun_tINSD_8identityEEEEENSD_19counting_iterator_tIlEES8_S8_S8_S8_S8_S8_S8_S8_EEEEPS9_S9_NSD_9__find_if7functorIS9_EEEE10hipError_tPvRmT1_T2_T3_mT4_P12ihipStream_tbEUlT_E1_NS1_11comp_targetILNS1_3genE8ELNS1_11target_archE1030ELNS1_3gpuE2ELNS1_3repE0EEENS1_30default_config_static_selectorELNS0_4arch9wavefront6targetE0EEEvS14_,@function
_ZN7rocprim17ROCPRIM_400000_NS6detail17trampoline_kernelINS0_14default_configENS1_22reduce_config_selectorIN6thrust23THRUST_200600_302600_NS5tupleIblNS6_9null_typeES8_S8_S8_S8_S8_S8_S8_EEEEZNS1_11reduce_implILb1ES3_NS6_12zip_iteratorINS7_INS6_11hip_rocprim26transform_input_iterator_tIbNSD_35transform_pair_of_input_iterators_tIbNS6_6detail15normal_iteratorINS6_10device_ptrIKtEEEESL_NS6_8equal_toItEEEENSG_9not_fun_tINSD_8identityEEEEENSD_19counting_iterator_tIlEES8_S8_S8_S8_S8_S8_S8_S8_EEEEPS9_S9_NSD_9__find_if7functorIS9_EEEE10hipError_tPvRmT1_T2_T3_mT4_P12ihipStream_tbEUlT_E1_NS1_11comp_targetILNS1_3genE8ELNS1_11target_archE1030ELNS1_3gpuE2ELNS1_3repE0EEENS1_30default_config_static_selectorELNS0_4arch9wavefront6targetE0EEEvS14_: ; @_ZN7rocprim17ROCPRIM_400000_NS6detail17trampoline_kernelINS0_14default_configENS1_22reduce_config_selectorIN6thrust23THRUST_200600_302600_NS5tupleIblNS6_9null_typeES8_S8_S8_S8_S8_S8_S8_EEEEZNS1_11reduce_implILb1ES3_NS6_12zip_iteratorINS7_INS6_11hip_rocprim26transform_input_iterator_tIbNSD_35transform_pair_of_input_iterators_tIbNS6_6detail15normal_iteratorINS6_10device_ptrIKtEEEESL_NS6_8equal_toItEEEENSG_9not_fun_tINSD_8identityEEEEENSD_19counting_iterator_tIlEES8_S8_S8_S8_S8_S8_S8_S8_EEEEPS9_S9_NSD_9__find_if7functorIS9_EEEE10hipError_tPvRmT1_T2_T3_mT4_P12ihipStream_tbEUlT_E1_NS1_11comp_targetILNS1_3genE8ELNS1_11target_archE1030ELNS1_3gpuE2ELNS1_3repE0EEENS1_30default_config_static_selectorELNS0_4arch9wavefront6targetE0EEEvS14_
; %bb.0:
	s_clause 0x4
	s_load_dword s25, s[4:5], 0x4
	s_load_dwordx4 s[16:19], s[4:5], 0x8
	s_load_dwordx4 s[12:15], s[4:5], 0x28
	s_load_dword s24, s[4:5], 0x40
	s_load_dwordx2 s[20:21], s[4:5], 0x48
	s_waitcnt lgkmcnt(0)
	s_cmp_lt_i32 s25, 4
	s_cbranch_scc1 .LBB205_21
; %bb.1:
	s_cmp_gt_i32 s25, 7
	s_cbranch_scc0 .LBB205_22
; %bb.2:
	s_cmp_eq_u32 s25, 8
	s_mov_b32 s26, 0
	s_cbranch_scc0 .LBB205_23
; %bb.3:
	s_mov_b32 s7, 0
	s_lshl_b32 s8, s6, 11
	s_mov_b32 s9, s7
	s_lshr_b64 s[2:3], s[14:15], 11
	s_lshl_b64 s[0:1], s[8:9], 1
	s_add_u32 s10, s16, s0
	s_addc_u32 s11, s17, s1
	s_add_u32 s22, s18, s0
	s_addc_u32 s23, s19, s1
	;; [unrolled: 2-line block ×3, first 2 shown]
	s_cmp_lg_u64 s[2:3], s[6:7]
	s_cbranch_scc0 .LBB205_44
; %bb.4:
	v_lshlrev_b32_e32 v1, 1, v0
	s_clause 0x7
	global_load_ushort v6, v1, s[10:11]
	global_load_ushort v7, v1, s[22:23]
	global_load_ushort v8, v1, s[10:11] offset:512
	global_load_ushort v9, v1, s[22:23] offset:512
	;; [unrolled: 1-line block ×6, first 2 shown]
	v_add_co_u32 v3, s0, s10, v1
	v_add_co_ci_u32_e64 v4, null, s11, 0, s0
	v_add_co_u32 v2, s0, s22, v1
	v_add_co_ci_u32_e64 v5, null, s23, 0, s0
	v_add_co_u32 v1, vcc_lo, 0x800, v2
	v_add_co_ci_u32_e64 v2, null, 0, v5, vcc_lo
	v_add_co_u32 v3, vcc_lo, 0x800, v3
	v_add_co_ci_u32_e64 v4, null, 0, v4, vcc_lo
	global_load_ushort v5, v[1:2], off
	s_clause 0x1
	global_load_ushort v14, v[3:4], off
	global_load_ushort v15, v[3:4], off offset:512
	s_clause 0x1
	global_load_ushort v16, v[1:2], off offset:512
	global_load_ushort v17, v[1:2], off offset:1024
	s_clause 0x1
	global_load_ushort v18, v[3:4], off offset:1024
	global_load_ushort v3, v[3:4], off offset:1536
	;; [unrolled: 1-line block ×3, first 2 shown]
	v_mov_b32_e32 v2, 0x100
	v_mov_b32_e32 v4, 0x300
	s_waitcnt vmcnt(14)
	v_cmp_ne_u16_e64 s0, v6, v7
	v_mov_b32_e32 v6, 0x500
	s_waitcnt vmcnt(12)
	v_cmp_ne_u16_e32 vcc_lo, v8, v9
	s_waitcnt vmcnt(10)
	v_cmp_ne_u16_e64 s1, v10, v11
	s_waitcnt vmcnt(8)
	v_cmp_ne_u16_e64 s2, v13, v12
	v_cndmask_b32_e32 v2, 0x200, v2, vcc_lo
	v_cndmask_b32_e64 v4, 0x400, v4, s2
	v_cndmask_b32_e64 v2, v2, 0, s0
	s_or_b32 s0, s0, vcc_lo
	s_or_b32 s0, s0, s1
	s_or_b32 s2, s0, s2
	v_cndmask_b32_e64 v2, v4, v2, s0
	s_waitcnt vmcnt(6)
	v_cmp_ne_u16_e32 vcc_lo, v14, v5
	s_waitcnt vmcnt(4)
	v_cmp_ne_u16_e64 s1, v15, v16
	s_waitcnt vmcnt(2)
	v_cmp_ne_u16_e64 s0, v18, v17
	s_or_b32 vcc_lo, s2, vcc_lo
	v_cndmask_b32_e64 v4, 0x600, v6, s1
	s_or_b32 s1, vcc_lo, s1
	v_cndmask_b32_e32 v2, v4, v2, vcc_lo
	s_or_b32 vcc_lo, s1, s0
	v_add_co_u32 v4, s0, s28, v0
	v_add_co_ci_u32_e64 v5, null, s29, 0, s0
	v_cndmask_b32_e32 v2, 0x700, v2, vcc_lo
	s_waitcnt vmcnt(0)
	v_cmp_ne_u16_e64 s0, v3, v1
	v_add_co_u32 v1, s1, v4, v2
	v_add_co_ci_u32_e64 v2, null, 0, v5, s1
	s_or_b32 s0, vcc_lo, s0
	v_mov_b32_dpp v3, v1 quad_perm:[1,0,3,2] row_mask:0xf bank_mask:0xf
	v_cndmask_b32_e64 v5, 0, 1, s0
	v_mov_b32_dpp v4, v2 quad_perm:[1,0,3,2] row_mask:0xf bank_mask:0xf
	v_mov_b32_dpp v6, v5 quad_perm:[1,0,3,2] row_mask:0xf bank_mask:0xf
	v_cmp_lt_i64_e32 vcc_lo, v[1:2], v[3:4]
	v_and_b32_e32 v6, 1, v6
	s_and_b32 vcc_lo, s0, vcc_lo
	v_cndmask_b32_e32 v3, v3, v1, vcc_lo
	v_cndmask_b32_e32 v4, v4, v2, vcc_lo
	v_cmp_eq_u32_e32 vcc_lo, 1, v6
	v_cndmask_b32_e32 v2, v2, v4, vcc_lo
	v_cndmask_b32_e32 v1, v1, v3, vcc_lo
	v_cndmask_b32_e64 v5, v5, 1, vcc_lo
	v_mov_b32_dpp v4, v2 quad_perm:[2,3,0,1] row_mask:0xf bank_mask:0xf
	v_mov_b32_dpp v3, v1 quad_perm:[2,3,0,1] row_mask:0xf bank_mask:0xf
	v_and_b32_e32 v7, 1, v5
	v_mov_b32_dpp v6, v5 quad_perm:[2,3,0,1] row_mask:0xf bank_mask:0xf
	v_cmp_lt_i64_e32 vcc_lo, v[1:2], v[3:4]
	v_cmp_eq_u32_e64 s0, 1, v7
	v_and_b32_e32 v6, 1, v6
	s_and_b32 vcc_lo, s0, vcc_lo
	v_cmp_eq_u32_e64 s1, 1, v6
	v_cndmask_b32_e32 v3, v3, v1, vcc_lo
	v_cndmask_b32_e32 v4, v4, v2, vcc_lo
	v_cndmask_b32_e64 v5, v5, 1, s1
	v_cndmask_b32_e64 v1, v1, v3, s1
	;; [unrolled: 1-line block ×3, first 2 shown]
	v_and_b32_e32 v7, 1, v5
	v_mov_b32_dpp v3, v1 row_ror:4 row_mask:0xf bank_mask:0xf
	v_mov_b32_dpp v4, v2 row_ror:4 row_mask:0xf bank_mask:0xf
	;; [unrolled: 1-line block ×3, first 2 shown]
	v_cmp_eq_u32_e64 s0, 1, v7
	v_cmp_lt_i64_e32 vcc_lo, v[1:2], v[3:4]
	v_and_b32_e32 v6, 1, v6
	s_and_b32 vcc_lo, s0, vcc_lo
	v_cmp_eq_u32_e64 s1, 1, v6
	v_cndmask_b32_e32 v3, v3, v1, vcc_lo
	v_cndmask_b32_e32 v4, v4, v2, vcc_lo
	v_cndmask_b32_e64 v5, v5, 1, s1
	v_cndmask_b32_e64 v1, v1, v3, s1
	;; [unrolled: 1-line block ×3, first 2 shown]
	v_and_b32_e32 v7, 1, v5
	v_mov_b32_dpp v3, v1 row_ror:8 row_mask:0xf bank_mask:0xf
	v_mov_b32_dpp v4, v2 row_ror:8 row_mask:0xf bank_mask:0xf
	;; [unrolled: 1-line block ×3, first 2 shown]
	v_cmp_eq_u32_e64 s0, 1, v7
	v_cmp_lt_i64_e32 vcc_lo, v[1:2], v[3:4]
	v_and_b32_e32 v6, 1, v6
	s_and_b32 vcc_lo, s0, vcc_lo
	v_cmp_eq_u32_e64 s1, 1, v6
	v_cndmask_b32_e32 v3, v3, v1, vcc_lo
	v_cndmask_b32_e32 v4, v4, v2, vcc_lo
	v_cndmask_b32_e64 v5, v5, 1, s1
	v_cndmask_b32_e64 v1, v1, v3, s1
	;; [unrolled: 1-line block ×3, first 2 shown]
	ds_swizzle_b32 v6, v5 offset:swizzle(BROADCAST,32,15)
	ds_swizzle_b32 v3, v1 offset:swizzle(BROADCAST,32,15)
	;; [unrolled: 1-line block ×3, first 2 shown]
	v_and_b32_e32 v7, 1, v5
	v_cmp_eq_u32_e64 s0, 1, v7
	v_mbcnt_lo_u32_b32 v7, -1, 0
	s_waitcnt lgkmcnt(2)
	v_and_b32_e32 v6, 1, v6
	s_waitcnt lgkmcnt(0)
	v_cmp_lt_i64_e32 vcc_lo, v[1:2], v[3:4]
	v_cmp_eq_u32_e64 s1, 1, v6
	v_mov_b32_e32 v6, 0
	s_and_b32 vcc_lo, s0, vcc_lo
	s_mov_b32 s0, exec_lo
	v_cndmask_b32_e32 v3, v3, v1, vcc_lo
	v_cndmask_b32_e32 v4, v4, v2, vcc_lo
	v_cndmask_b32_e64 v5, v5, 1, s1
	v_cndmask_b32_e64 v1, v1, v3, s1
	;; [unrolled: 1-line block ×3, first 2 shown]
	ds_bpermute_b32 v17, v6, v5 offset:124
	ds_bpermute_b32 v1, v6, v1 offset:124
	;; [unrolled: 1-line block ×3, first 2 shown]
	v_cmpx_eq_u32_e32 0, v7
	s_cbranch_execz .LBB205_6
; %bb.5:
	v_lshrrev_b32_e32 v3, 1, v0
	v_and_b32_e32 v3, 0x70, v3
	s_waitcnt lgkmcnt(2)
	ds_write_b8 v3, v17 offset:384
	s_waitcnt lgkmcnt(1)
	ds_write_b64 v3, v[1:2] offset:392
.LBB205_6:
	s_or_b32 exec_lo, exec_lo, s0
	s_mov_b32 s0, exec_lo
	s_waitcnt lgkmcnt(0)
	s_barrier
	buffer_gl0_inv
	v_cmpx_gt_u32_e32 32, v0
	s_cbranch_execz .LBB205_20
; %bb.7:
	v_and_b32_e32 v8, 7, v7
	v_lshlrev_b32_e32 v1, 4, v8
	v_cmp_ne_u32_e32 vcc_lo, 7, v8
	ds_read_u8 v10, v1 offset:384
	ds_read_b64 v[3:4], v1 offset:392
	v_add_co_ci_u32_e64 v2, null, 0, v7, vcc_lo
	v_lshlrev_b32_e32 v2, 2, v2
	s_waitcnt lgkmcnt(1)
	v_and_b32_e32 v1, 0xff, v10
	s_waitcnt lgkmcnt(0)
	ds_bpermute_b32 v5, v2, v3
	ds_bpermute_b32 v6, v2, v4
	ds_bpermute_b32 v11, v2, v1
	s_waitcnt lgkmcnt(0)
	v_and_b32_e32 v1, v10, v11
	v_and_b32_e32 v1, 1, v1
	v_cmp_eq_u32_e32 vcc_lo, 1, v1
                                        ; implicit-def: $vgpr1_vgpr2
	s_and_saveexec_b32 s1, vcc_lo
	s_xor_b32 s1, exec_lo, s1
; %bb.8:
	v_cmp_lt_i64_e32 vcc_lo, v[5:6], v[3:4]
                                        ; implicit-def: $vgpr10
                                        ; implicit-def: $vgpr11
	v_cndmask_b32_e32 v2, v4, v6, vcc_lo
	v_cndmask_b32_e32 v1, v3, v5, vcc_lo
                                        ; implicit-def: $vgpr5_vgpr6
                                        ; implicit-def: $vgpr3_vgpr4
; %bb.9:
	s_or_saveexec_b32 s1, s1
	v_mov_b32_e32 v9, 1
	s_xor_b32 exec_lo, exec_lo, s1
; %bb.10:
	v_and_b32_e32 v1, 1, v10
	v_and_b32_e32 v9, 0xff, v11
	v_cmp_eq_u32_e32 vcc_lo, 1, v1
	v_cndmask_b32_e32 v2, v6, v4, vcc_lo
	v_cndmask_b32_e32 v1, v5, v3, vcc_lo
	v_cndmask_b32_e64 v9, v9, 1, vcc_lo
; %bb.11:
	s_or_b32 exec_lo, exec_lo, s1
	v_cmp_gt_u32_e32 vcc_lo, 6, v8
	v_cndmask_b32_e64 v3, 0, 2, vcc_lo
	v_add_lshl_u32 v3, v3, v7, 2
	ds_bpermute_b32 v8, v3, v9
	ds_bpermute_b32 v5, v3, v1
	;; [unrolled: 1-line block ×3, first 2 shown]
	s_waitcnt lgkmcnt(2)
	v_and_b32_e32 v3, v9, v8
	v_and_b32_e32 v3, 1, v3
	v_cmp_eq_u32_e32 vcc_lo, 1, v3
                                        ; implicit-def: $vgpr3_vgpr4
	s_and_saveexec_b32 s1, vcc_lo
	s_xor_b32 s1, exec_lo, s1
	s_cbranch_execz .LBB205_13
; %bb.12:
	s_waitcnt lgkmcnt(0)
	v_cmp_lt_i64_e32 vcc_lo, v[5:6], v[1:2]
                                        ; implicit-def: $vgpr9
                                        ; implicit-def: $vgpr8
	v_cndmask_b32_e32 v4, v2, v6, vcc_lo
	v_cndmask_b32_e32 v3, v1, v5, vcc_lo
                                        ; implicit-def: $vgpr5_vgpr6
                                        ; implicit-def: $vgpr1_vgpr2
.LBB205_13:
	s_or_saveexec_b32 s1, s1
	v_lshlrev_b32_e32 v10, 2, v7
	v_mov_b32_e32 v7, 1
	s_xor_b32 exec_lo, exec_lo, s1
	s_cbranch_execz .LBB205_15
; %bb.14:
	v_and_b32_e32 v3, 1, v9
	v_and_b32_e32 v7, 0xff, v8
	v_cmp_eq_u32_e32 vcc_lo, 1, v3
	s_waitcnt lgkmcnt(0)
	v_cndmask_b32_e32 v4, v6, v2, vcc_lo
	v_cndmask_b32_e32 v3, v5, v1, vcc_lo
	v_cndmask_b32_e64 v7, v7, 1, vcc_lo
.LBB205_15:
	s_or_b32 exec_lo, exec_lo, s1
	v_or_b32_e32 v1, 16, v10
	ds_bpermute_b32 v8, v1, v7
	s_waitcnt lgkmcnt(2)
	ds_bpermute_b32 v5, v1, v3
	s_waitcnt lgkmcnt(2)
	;; [unrolled: 2-line block ×3, first 2 shown]
	v_and_b32_e32 v1, v7, v8
	v_and_b32_e32 v1, 1, v1
	v_cmp_eq_u32_e32 vcc_lo, 1, v1
                                        ; implicit-def: $vgpr1_vgpr2
	s_and_saveexec_b32 s1, vcc_lo
	s_xor_b32 s1, exec_lo, s1
	s_cbranch_execz .LBB205_17
; %bb.16:
	s_waitcnt lgkmcnt(0)
	v_cmp_lt_i64_e32 vcc_lo, v[5:6], v[3:4]
                                        ; implicit-def: $vgpr7
                                        ; implicit-def: $vgpr8
	v_cndmask_b32_e32 v2, v4, v6, vcc_lo
	v_cndmask_b32_e32 v1, v3, v5, vcc_lo
                                        ; implicit-def: $vgpr5_vgpr6
                                        ; implicit-def: $vgpr3_vgpr4
.LBB205_17:
	s_or_saveexec_b32 s1, s1
	v_mov_b32_e32 v17, 1
	s_xor_b32 exec_lo, exec_lo, s1
	s_cbranch_execz .LBB205_19
; %bb.18:
	v_and_b32_e32 v1, 1, v7
	v_cmp_eq_u32_e32 vcc_lo, 1, v1
	s_waitcnt lgkmcnt(0)
	v_cndmask_b32_e32 v2, v6, v4, vcc_lo
	v_cndmask_b32_e32 v1, v5, v3, vcc_lo
	v_cndmask_b32_e64 v17, v8, 1, vcc_lo
.LBB205_19:
	s_or_b32 exec_lo, exec_lo, s1
.LBB205_20:
	s_or_b32 exec_lo, exec_lo, s0
	s_branch .LBB205_167
.LBB205_21:
	s_mov_b32 s22, 0
                                        ; implicit-def: $vgpr3_vgpr4
                                        ; implicit-def: $vgpr5
                                        ; implicit-def: $vgpr1_vgpr2
	s_cbranch_execnz .LBB205_247
	s_branch .LBB205_356
.LBB205_22:
	s_mov_b32 s26, -1
.LBB205_23:
	s_mov_b32 s22, 0
                                        ; implicit-def: $vgpr3_vgpr4
                                        ; implicit-def: $vgpr5
                                        ; implicit-def: $vgpr1_vgpr2
	s_and_b32 vcc_lo, exec_lo, s26
	s_cbranch_vccz .LBB205_172
.LBB205_24:
	s_cmp_eq_u32 s25, 4
	s_cbranch_scc0 .LBB205_43
; %bb.25:
	s_mov_b32 s7, 0
	s_lshl_b32 s10, s6, 10
	s_mov_b32 s11, s7
	s_lshr_b64 s[26:27], s[14:15], 10
	s_lshl_b64 s[0:1], s[10:11], 1
	s_add_u32 s2, s16, s0
	s_addc_u32 s3, s17, s1
	s_add_u32 s8, s18, s0
	s_addc_u32 s9, s19, s1
	;; [unrolled: 2-line block ×3, first 2 shown]
	s_cmp_lg_u64 s[26:27], s[6:7]
	s_cbranch_scc0 .LBB205_67
; %bb.26:
	v_lshlrev_b32_e32 v1, 1, v0
	v_mov_b32_e32 v9, 0x100
	global_load_ushort v2, v1, s[2:3] offset:512
	s_waitcnt lgkmcnt(1)
	global_load_ushort v3, v1, s[8:9] offset:512
	s_waitcnt lgkmcnt(0)
	s_clause 0x5
	global_load_ushort v4, v1, s[2:3]
	global_load_ushort v5, v1, s[8:9]
	global_load_ushort v6, v1, s[2:3] offset:1024
	global_load_ushort v7, v1, s[8:9] offset:1024
	;; [unrolled: 1-line block ×4, first 2 shown]
	s_waitcnt vmcnt(6)
	v_cmp_ne_u16_e32 vcc_lo, v2, v3
	s_waitcnt vmcnt(4)
	v_cmp_ne_u16_e64 s0, v4, v5
	s_waitcnt vmcnt(2)
	v_cmp_ne_u16_e64 s1, v6, v7
	v_cndmask_b32_e32 v2, 0x200, v9, vcc_lo
	v_cndmask_b32_e64 v2, v2, 0, s0
	s_or_b32 s0, s0, vcc_lo
	s_or_b32 vcc_lo, s0, s1
	v_add_co_u32 v3, s0, s11, v0
	v_cndmask_b32_e32 v2, 0x300, v2, vcc_lo
	v_add_co_ci_u32_e64 v4, null, s23, 0, s0
	s_waitcnt vmcnt(0)
	v_cmp_ne_u16_e64 s0, v1, v8
	v_add_co_u32 v1, s1, v3, v2
	v_add_co_ci_u32_e64 v2, null, 0, v4, s1
	s_or_b32 s0, vcc_lo, s0
	v_mov_b32_dpp v3, v1 quad_perm:[1,0,3,2] row_mask:0xf bank_mask:0xf
	v_cndmask_b32_e64 v5, 0, 1, s0
	v_mov_b32_dpp v4, v2 quad_perm:[1,0,3,2] row_mask:0xf bank_mask:0xf
	v_mov_b32_dpp v6, v5 quad_perm:[1,0,3,2] row_mask:0xf bank_mask:0xf
	v_cmp_lt_i64_e32 vcc_lo, v[1:2], v[3:4]
	v_and_b32_e32 v6, 1, v6
	s_and_b32 vcc_lo, s0, vcc_lo
	v_cndmask_b32_e32 v3, v3, v1, vcc_lo
	v_cndmask_b32_e32 v4, v4, v2, vcc_lo
	v_cmp_eq_u32_e32 vcc_lo, 1, v6
	v_cndmask_b32_e32 v2, v2, v4, vcc_lo
	v_cndmask_b32_e32 v1, v1, v3, vcc_lo
	v_cndmask_b32_e64 v5, v5, 1, vcc_lo
	v_mov_b32_dpp v4, v2 quad_perm:[2,3,0,1] row_mask:0xf bank_mask:0xf
	v_mov_b32_dpp v3, v1 quad_perm:[2,3,0,1] row_mask:0xf bank_mask:0xf
	v_and_b32_e32 v7, 1, v5
	v_mov_b32_dpp v6, v5 quad_perm:[2,3,0,1] row_mask:0xf bank_mask:0xf
	v_cmp_lt_i64_e32 vcc_lo, v[1:2], v[3:4]
	v_cmp_eq_u32_e64 s0, 1, v7
	v_and_b32_e32 v6, 1, v6
	s_and_b32 vcc_lo, s0, vcc_lo
	v_cmp_eq_u32_e64 s1, 1, v6
	v_cndmask_b32_e32 v3, v3, v1, vcc_lo
	v_cndmask_b32_e32 v4, v4, v2, vcc_lo
	v_cndmask_b32_e64 v5, v5, 1, s1
	v_cndmask_b32_e64 v1, v1, v3, s1
	;; [unrolled: 1-line block ×3, first 2 shown]
	v_and_b32_e32 v7, 1, v5
	v_mov_b32_dpp v3, v1 row_ror:4 row_mask:0xf bank_mask:0xf
	v_mov_b32_dpp v4, v2 row_ror:4 row_mask:0xf bank_mask:0xf
	;; [unrolled: 1-line block ×3, first 2 shown]
	v_cmp_eq_u32_e64 s0, 1, v7
	v_cmp_lt_i64_e32 vcc_lo, v[1:2], v[3:4]
	v_and_b32_e32 v6, 1, v6
	s_and_b32 vcc_lo, s0, vcc_lo
	v_cmp_eq_u32_e64 s1, 1, v6
	v_cndmask_b32_e32 v3, v3, v1, vcc_lo
	v_cndmask_b32_e32 v4, v4, v2, vcc_lo
	v_cndmask_b32_e64 v5, v5, 1, s1
	v_cndmask_b32_e64 v1, v1, v3, s1
	;; [unrolled: 1-line block ×3, first 2 shown]
	v_and_b32_e32 v7, 1, v5
	v_mov_b32_dpp v3, v1 row_ror:8 row_mask:0xf bank_mask:0xf
	v_mov_b32_dpp v4, v2 row_ror:8 row_mask:0xf bank_mask:0xf
	;; [unrolled: 1-line block ×3, first 2 shown]
	v_cmp_eq_u32_e64 s0, 1, v7
	v_cmp_lt_i64_e32 vcc_lo, v[1:2], v[3:4]
	v_and_b32_e32 v6, 1, v6
	s_and_b32 vcc_lo, s0, vcc_lo
	v_cmp_eq_u32_e64 s1, 1, v6
	v_cndmask_b32_e32 v3, v3, v1, vcc_lo
	v_cndmask_b32_e32 v4, v4, v2, vcc_lo
	v_cndmask_b32_e64 v5, v5, 1, s1
	v_cndmask_b32_e64 v1, v1, v3, s1
	v_cndmask_b32_e64 v2, v2, v4, s1
	ds_swizzle_b32 v6, v5 offset:swizzle(BROADCAST,32,15)
	ds_swizzle_b32 v3, v1 offset:swizzle(BROADCAST,32,15)
	;; [unrolled: 1-line block ×3, first 2 shown]
	v_and_b32_e32 v7, 1, v5
	v_cmp_eq_u32_e64 s0, 1, v7
	v_mbcnt_lo_u32_b32 v7, -1, 0
	s_waitcnt lgkmcnt(2)
	v_and_b32_e32 v6, 1, v6
	s_waitcnt lgkmcnt(0)
	v_cmp_lt_i64_e32 vcc_lo, v[1:2], v[3:4]
	v_cmp_eq_u32_e64 s1, 1, v6
	v_mov_b32_e32 v6, 0
	s_and_b32 vcc_lo, s0, vcc_lo
	s_mov_b32 s0, exec_lo
	v_cndmask_b32_e32 v3, v3, v1, vcc_lo
	v_cndmask_b32_e32 v4, v4, v2, vcc_lo
	v_cndmask_b32_e64 v5, v5, 1, s1
	v_cndmask_b32_e64 v1, v1, v3, s1
	;; [unrolled: 1-line block ×3, first 2 shown]
	ds_bpermute_b32 v9, v6, v5 offset:124
	ds_bpermute_b32 v1, v6, v1 offset:124
	ds_bpermute_b32 v2, v6, v2 offset:124
	v_cmpx_eq_u32_e32 0, v7
	s_cbranch_execz .LBB205_28
; %bb.27:
	v_lshrrev_b32_e32 v3, 1, v0
	v_and_b32_e32 v3, 0x70, v3
	s_waitcnt lgkmcnt(2)
	ds_write_b8 v3, v9 offset:256
	s_waitcnt lgkmcnt(1)
	ds_write_b64 v3, v[1:2] offset:264
.LBB205_28:
	s_or_b32 exec_lo, exec_lo, s0
	s_mov_b32 s0, exec_lo
	s_waitcnt lgkmcnt(0)
	s_barrier
	buffer_gl0_inv
	v_cmpx_gt_u32_e32 32, v0
	s_cbranch_execz .LBB205_42
; %bb.29:
	v_and_b32_e32 v8, 7, v7
	v_lshlrev_b32_e32 v1, 4, v8
	v_cmp_ne_u32_e32 vcc_lo, 7, v8
	ds_read_u8 v10, v1 offset:256
	ds_read_b64 v[3:4], v1 offset:264
	v_add_co_ci_u32_e64 v2, null, 0, v7, vcc_lo
	v_lshlrev_b32_e32 v2, 2, v2
	s_waitcnt lgkmcnt(1)
	v_and_b32_e32 v1, 0xff, v10
	s_waitcnt lgkmcnt(0)
	ds_bpermute_b32 v5, v2, v3
	ds_bpermute_b32 v6, v2, v4
	;; [unrolled: 1-line block ×3, first 2 shown]
	s_waitcnt lgkmcnt(0)
	v_and_b32_e32 v1, v10, v11
	v_and_b32_e32 v1, 1, v1
	v_cmp_eq_u32_e32 vcc_lo, 1, v1
                                        ; implicit-def: $vgpr1_vgpr2
	s_and_saveexec_b32 s1, vcc_lo
	s_xor_b32 s1, exec_lo, s1
; %bb.30:
	v_cmp_lt_i64_e32 vcc_lo, v[5:6], v[3:4]
                                        ; implicit-def: $vgpr10
                                        ; implicit-def: $vgpr11
	v_cndmask_b32_e32 v2, v4, v6, vcc_lo
	v_cndmask_b32_e32 v1, v3, v5, vcc_lo
                                        ; implicit-def: $vgpr5_vgpr6
                                        ; implicit-def: $vgpr3_vgpr4
; %bb.31:
	s_or_saveexec_b32 s1, s1
	v_mov_b32_e32 v9, 1
	s_xor_b32 exec_lo, exec_lo, s1
; %bb.32:
	v_and_b32_e32 v1, 1, v10
	v_and_b32_e32 v9, 0xff, v11
	v_cmp_eq_u32_e32 vcc_lo, 1, v1
	v_cndmask_b32_e32 v2, v6, v4, vcc_lo
	v_cndmask_b32_e32 v1, v5, v3, vcc_lo
	v_cndmask_b32_e64 v9, v9, 1, vcc_lo
; %bb.33:
	s_or_b32 exec_lo, exec_lo, s1
	v_cmp_gt_u32_e32 vcc_lo, 6, v8
	v_cndmask_b32_e64 v3, 0, 2, vcc_lo
	v_add_lshl_u32 v3, v3, v7, 2
	ds_bpermute_b32 v8, v3, v9
	ds_bpermute_b32 v5, v3, v1
	;; [unrolled: 1-line block ×3, first 2 shown]
	s_waitcnt lgkmcnt(2)
	v_and_b32_e32 v3, v9, v8
	v_and_b32_e32 v3, 1, v3
	v_cmp_eq_u32_e32 vcc_lo, 1, v3
                                        ; implicit-def: $vgpr3_vgpr4
	s_and_saveexec_b32 s1, vcc_lo
	s_xor_b32 s1, exec_lo, s1
	s_cbranch_execz .LBB205_35
; %bb.34:
	s_waitcnt lgkmcnt(0)
	v_cmp_lt_i64_e32 vcc_lo, v[5:6], v[1:2]
                                        ; implicit-def: $vgpr9
                                        ; implicit-def: $vgpr8
	v_cndmask_b32_e32 v4, v2, v6, vcc_lo
	v_cndmask_b32_e32 v3, v1, v5, vcc_lo
                                        ; implicit-def: $vgpr5_vgpr6
                                        ; implicit-def: $vgpr1_vgpr2
.LBB205_35:
	s_or_saveexec_b32 s1, s1
	v_lshlrev_b32_e32 v10, 2, v7
	v_mov_b32_e32 v7, 1
	s_xor_b32 exec_lo, exec_lo, s1
	s_cbranch_execz .LBB205_37
; %bb.36:
	v_and_b32_e32 v3, 1, v9
	v_and_b32_e32 v7, 0xff, v8
	v_cmp_eq_u32_e32 vcc_lo, 1, v3
	s_waitcnt lgkmcnt(0)
	v_cndmask_b32_e32 v4, v6, v2, vcc_lo
	v_cndmask_b32_e32 v3, v5, v1, vcc_lo
	v_cndmask_b32_e64 v7, v7, 1, vcc_lo
.LBB205_37:
	s_or_b32 exec_lo, exec_lo, s1
	v_or_b32_e32 v1, 16, v10
	ds_bpermute_b32 v8, v1, v7
	s_waitcnt lgkmcnt(2)
	ds_bpermute_b32 v5, v1, v3
	s_waitcnt lgkmcnt(2)
	;; [unrolled: 2-line block ×3, first 2 shown]
	v_and_b32_e32 v1, v7, v8
	v_and_b32_e32 v1, 1, v1
	v_cmp_eq_u32_e32 vcc_lo, 1, v1
                                        ; implicit-def: $vgpr1_vgpr2
	s_and_saveexec_b32 s1, vcc_lo
	s_xor_b32 s1, exec_lo, s1
	s_cbranch_execz .LBB205_39
; %bb.38:
	s_waitcnt lgkmcnt(0)
	v_cmp_lt_i64_e32 vcc_lo, v[5:6], v[3:4]
                                        ; implicit-def: $vgpr7
                                        ; implicit-def: $vgpr8
	v_cndmask_b32_e32 v2, v4, v6, vcc_lo
	v_cndmask_b32_e32 v1, v3, v5, vcc_lo
                                        ; implicit-def: $vgpr5_vgpr6
                                        ; implicit-def: $vgpr3_vgpr4
.LBB205_39:
	s_or_saveexec_b32 s1, s1
	v_mov_b32_e32 v9, 1
	s_xor_b32 exec_lo, exec_lo, s1
	s_cbranch_execz .LBB205_41
; %bb.40:
	v_and_b32_e32 v1, 1, v7
	v_cmp_eq_u32_e32 vcc_lo, 1, v1
	s_waitcnt lgkmcnt(0)
	v_cndmask_b32_e32 v2, v6, v4, vcc_lo
	v_cndmask_b32_e32 v1, v5, v3, vcc_lo
	v_cndmask_b32_e64 v9, v8, 1, vcc_lo
.LBB205_41:
	s_or_b32 exec_lo, exec_lo, s1
.LBB205_42:
	s_or_b32 exec_lo, exec_lo, s0
	s_branch .LBB205_242
.LBB205_43:
                                        ; implicit-def: $vgpr3_vgpr4
                                        ; implicit-def: $vgpr5
                                        ; implicit-def: $vgpr1_vgpr2
	s_branch .LBB205_356
.LBB205_44:
                                        ; implicit-def: $vgpr1_vgpr2
                                        ; implicit-def: $vgpr17
	s_cbranch_execz .LBB205_167
; %bb.45:
	v_mov_b32_e32 v15, 0
	v_mov_b32_e32 v1, 0
	;; [unrolled: 1-line block ×6, first 2 shown]
	s_sub_i32 s27, s14, s8
	s_mov_b32 s0, exec_lo
	v_cmpx_gt_u32_e64 s27, v0
	s_cbranch_execz .LBB205_47
; %bb.46:
	v_lshlrev_b32_e32 v1, 1, v0
	s_clause 0x1
	global_load_ushort v3, v1, s[10:11]
	global_load_ushort v4, v1, s[22:23]
	v_add_co_u32 v1, s1, s28, v0
	v_add_co_ci_u32_e64 v2, null, s29, 0, s1
	s_waitcnt vmcnt(0)
	v_cmp_ne_u16_e32 vcc_lo, v3, v4
	v_cndmask_b32_e64 v17, 0, 1, vcc_lo
.LBB205_47:
	s_or_b32 exec_lo, exec_lo, s0
	v_or_b32_e32 v3, 0x100, v0
	v_cmp_gt_u32_e64 s9, s27, v3
	s_and_saveexec_b32 s0, s9
	s_cbranch_execz .LBB205_49
; %bb.48:
	v_lshlrev_b32_e32 v4, 1, v0
	v_add_co_u32 v15, s1, s28, v3
	v_add_co_ci_u32_e64 v16, null, s29, 0, s1
	s_waitcnt lgkmcnt(1)
	s_clause 0x1
	global_load_ushort v5, v4, s[10:11] offset:512
	global_load_ushort v4, v4, s[22:23] offset:512
	s_waitcnt vmcnt(0)
	v_cmp_ne_u16_e32 vcc_lo, v5, v4
	v_cndmask_b32_e64 v24, 0, 1, vcc_lo
.LBB205_49:
	s_or_b32 exec_lo, exec_lo, s0
	v_or_b32_e32 v3, 0x200, v0
	v_mov_b32_e32 v11, 0
	v_mov_b32_e32 v13, 0
	;; [unrolled: 1-line block ×5, first 2 shown]
	v_cmp_gt_u32_e64 s8, s27, v3
	v_mov_b32_e32 v23, 0
	s_and_saveexec_b32 s0, s8
	s_cbranch_execz .LBB205_51
; %bb.50:
	v_lshlrev_b32_e32 v4, 1, v0
	v_add_co_u32 v13, s1, s28, v3
	v_add_co_ci_u32_e64 v14, null, s29, 0, s1
	s_waitcnt lgkmcnt(1)
	s_clause 0x1
	global_load_ushort v5, v4, s[10:11] offset:1024
	global_load_ushort v4, v4, s[22:23] offset:1024
	s_waitcnt vmcnt(0)
	v_cmp_ne_u16_e32 vcc_lo, v5, v4
	v_cndmask_b32_e64 v23, 0, 1, vcc_lo
.LBB205_51:
	s_or_b32 exec_lo, exec_lo, s0
	v_or_b32_e32 v3, 0x300, v0
	v_cmp_gt_u32_e64 s3, s27, v3
	s_and_saveexec_b32 s0, s3
	s_cbranch_execz .LBB205_53
; %bb.52:
	v_lshlrev_b32_e32 v4, 1, v0
	v_add_co_u32 v11, s1, s28, v3
	v_add_co_ci_u32_e64 v12, null, s29, 0, s1
	s_waitcnt lgkmcnt(1)
	s_clause 0x1
	global_load_ushort v5, v4, s[10:11] offset:1536
	global_load_ushort v4, v4, s[22:23] offset:1536
	s_waitcnt vmcnt(0)
	v_cmp_ne_u16_e32 vcc_lo, v5, v4
	v_cndmask_b32_e64 v22, 0, 1, vcc_lo
.LBB205_53:
	s_or_b32 exec_lo, exec_lo, s0
	v_or_b32_e32 v3, 0x400, v0
	v_mov_b32_e32 v7, 0
	v_mov_b32_e32 v9, 0
	;; [unrolled: 1-line block ×5, first 2 shown]
	v_cmp_gt_u32_e64 s2, s27, v3
	v_mov_b32_e32 v21, 0
	s_and_saveexec_b32 s0, s2
	s_cbranch_execz .LBB205_55
; %bb.54:
	v_lshlrev_b32_e32 v4, 1, v3
	v_add_co_u32 v9, s1, s28, v3
	v_add_co_ci_u32_e64 v10, null, s29, 0, s1
	s_waitcnt lgkmcnt(1)
	s_clause 0x1
	global_load_ushort v5, v4, s[10:11]
	global_load_ushort v4, v4, s[22:23]
	s_waitcnt vmcnt(0)
	v_cmp_ne_u16_e32 vcc_lo, v5, v4
	v_cndmask_b32_e64 v21, 0, 1, vcc_lo
.LBB205_55:
	s_or_b32 exec_lo, exec_lo, s0
	v_or_b32_e32 v3, 0x500, v0
	v_cmp_gt_u32_e64 s1, s27, v3
	s_and_saveexec_b32 s0, s1
	s_cbranch_execz .LBB205_57
; %bb.56:
	v_lshlrev_b32_e32 v4, 1, v3
	v_add_co_u32 v7, s30, s28, v3
	v_add_co_ci_u32_e64 v8, null, s29, 0, s30
	s_waitcnt lgkmcnt(1)
	s_clause 0x1
	global_load_ushort v5, v4, s[10:11]
	global_load_ushort v4, v4, s[22:23]
	s_waitcnt vmcnt(0)
	v_cmp_ne_u16_e32 vcc_lo, v5, v4
	v_cndmask_b32_e64 v20, 0, 1, vcc_lo
.LBB205_57:
	s_or_b32 exec_lo, exec_lo, s0
	v_or_b32_e32 v25, 0x600, v0
	v_mov_b32_e32 v3, 0
	s_waitcnt lgkmcnt(0)
	v_mov_b32_e32 v5, 0
	v_mov_b32_e32 v4, 0
	;; [unrolled: 1-line block ×4, first 2 shown]
	v_cmp_gt_u32_e64 s0, s27, v25
	v_mov_b32_e32 v19, 0
	s_and_saveexec_b32 s30, s0
	s_cbranch_execz .LBB205_59
; %bb.58:
	v_lshlrev_b32_e32 v5, 1, v25
	s_clause 0x1
	global_load_ushort v19, v5, s[10:11]
	global_load_ushort v26, v5, s[22:23]
	v_add_co_u32 v5, s31, s28, v25
	v_add_co_ci_u32_e64 v6, null, s29, 0, s31
	s_waitcnt vmcnt(0)
	v_cmp_ne_u16_e32 vcc_lo, v19, v26
	v_cndmask_b32_e64 v19, 0, 1, vcc_lo
.LBB205_59:
	s_or_b32 exec_lo, exec_lo, s30
	v_or_b32_e32 v25, 0x700, v0
	v_cmp_gt_u32_e32 vcc_lo, s27, v25
	s_and_saveexec_b32 s30, vcc_lo
	s_cbranch_execnz .LBB205_78
; %bb.60:
	s_or_b32 exec_lo, exec_lo, s30
	s_and_saveexec_b32 s11, s9
	s_cbranch_execnz .LBB205_79
.LBB205_61:
	s_or_b32 exec_lo, exec_lo, s11
	s_and_saveexec_b32 s10, s8
	s_cbranch_execnz .LBB205_84
.LBB205_62:
	s_or_b32 exec_lo, exec_lo, s10
	s_and_saveexec_b32 s9, s3
	s_cbranch_execnz .LBB205_89
.LBB205_63:
	s_or_b32 exec_lo, exec_lo, s9
	s_and_saveexec_b32 s8, s2
	s_cbranch_execnz .LBB205_94
.LBB205_64:
	s_or_b32 exec_lo, exec_lo, s8
	s_and_saveexec_b32 s3, s1
	s_cbranch_execnz .LBB205_99
.LBB205_65:
	s_or_b32 exec_lo, exec_lo, s3
	s_and_saveexec_b32 s2, s0
	s_cbranch_execnz .LBB205_104
.LBB205_66:
	s_or_b32 exec_lo, exec_lo, s2
	s_and_saveexec_b32 s1, vcc_lo
	s_cbranch_execnz .LBB205_109
	s_branch .LBB205_114
.LBB205_67:
                                        ; implicit-def: $vgpr1_vgpr2
                                        ; implicit-def: $vgpr9
	s_cbranch_execz .LBB205_242
; %bb.68:
	v_mov_b32_e32 v7, 0
	v_mov_b32_e32 v1, 0
	;; [unrolled: 1-line block ×6, first 2 shown]
	s_sub_i32 s10, s14, s10
	s_mov_b32 s0, exec_lo
	v_cmpx_gt_u32_e64 s10, v0
	s_cbranch_execz .LBB205_70
; %bb.69:
	v_lshlrev_b32_e32 v1, 1, v0
	s_waitcnt lgkmcnt(1)
	global_load_ushort v3, v1, s[2:3]
	s_waitcnt lgkmcnt(0)
	global_load_ushort v4, v1, s[8:9]
	v_add_co_u32 v1, s1, s11, v0
	v_add_co_ci_u32_e64 v2, null, s23, 0, s1
	s_waitcnt vmcnt(0)
	v_cmp_ne_u16_e32 vcc_lo, v3, v4
	v_cndmask_b32_e64 v9, 0, 1, vcc_lo
.LBB205_70:
	s_or_b32 exec_lo, exec_lo, s0
	s_waitcnt lgkmcnt(1)
	v_or_b32_e32 v3, 0x100, v0
	v_cmp_gt_u32_e64 s1, s10, v3
	s_and_saveexec_b32 s0, s1
	s_cbranch_execz .LBB205_72
; %bb.71:
	s_waitcnt lgkmcnt(0)
	v_lshlrev_b32_e32 v4, 1, v0
	v_add_co_u32 v7, s26, s11, v3
	v_add_co_ci_u32_e64 v8, null, s23, 0, s26
	s_clause 0x1
	global_load_ushort v5, v4, s[2:3] offset:512
	global_load_ushort v4, v4, s[8:9] offset:512
	s_waitcnt vmcnt(0)
	v_cmp_ne_u16_e32 vcc_lo, v5, v4
	v_cndmask_b32_e64 v12, 0, 1, vcc_lo
.LBB205_72:
	s_or_b32 exec_lo, exec_lo, s0
	v_or_b32_e32 v13, 0x200, v0
	s_waitcnt lgkmcnt(0)
	v_mov_b32_e32 v3, 0
	v_mov_b32_e32 v5, 0
	;; [unrolled: 1-line block ×5, first 2 shown]
	v_cmp_gt_u32_e64 s0, s10, v13
	v_mov_b32_e32 v11, 0
	s_and_saveexec_b32 s26, s0
	s_cbranch_execz .LBB205_74
; %bb.73:
	v_lshlrev_b32_e32 v5, 1, v0
	s_clause 0x1
	global_load_ushort v11, v5, s[2:3] offset:1024
	global_load_ushort v14, v5, s[8:9] offset:1024
	v_add_co_u32 v5, s27, s11, v13
	v_add_co_ci_u32_e64 v6, null, s23, 0, s27
	s_waitcnt vmcnt(0)
	v_cmp_ne_u16_e32 vcc_lo, v11, v14
	v_cndmask_b32_e64 v11, 0, 1, vcc_lo
.LBB205_74:
	s_or_b32 exec_lo, exec_lo, s26
	v_or_b32_e32 v13, 0x300, v0
	v_cmp_gt_u32_e32 vcc_lo, s10, v13
	s_and_saveexec_b32 s26, vcc_lo
	s_cbranch_execnz .LBB205_173
; %bb.75:
	s_or_b32 exec_lo, exec_lo, s26
	s_and_saveexec_b32 s3, s1
	s_cbranch_execnz .LBB205_174
.LBB205_76:
	s_or_b32 exec_lo, exec_lo, s3
	s_and_saveexec_b32 s2, s0
	s_cbranch_execnz .LBB205_179
.LBB205_77:
	s_or_b32 exec_lo, exec_lo, s2
	s_and_saveexec_b32 s1, vcc_lo
	s_cbranch_execnz .LBB205_184
	s_branch .LBB205_189
.LBB205_78:
	v_lshlrev_b32_e32 v3, 1, v25
	s_clause 0x1
	global_load_ushort v18, v3, s[10:11]
	global_load_ushort v26, v3, s[22:23]
	v_add_co_u32 v3, s10, s28, v25
	v_add_co_ci_u32_e64 v4, null, s29, 0, s10
	s_waitcnt vmcnt(0)
	v_cmp_ne_u16_e64 s10, v18, v26
	v_cndmask_b32_e64 v18, 0, 1, s10
	s_or_b32 exec_lo, exec_lo, s30
	s_and_saveexec_b32 s11, s9
	s_cbranch_execz .LBB205_61
.LBB205_79:
	v_and_b32_e32 v17, 1, v17
	v_and_b32_e32 v25, 1, v24
	v_cmp_eq_u32_e64 s9, 1, v17
	v_cmp_eq_u32_e64 s10, 1, v25
                                        ; implicit-def: $vgpr17
	s_and_b32 s10, s9, s10
	s_xor_b32 s10, s10, -1
	s_and_saveexec_b32 s22, s10
	s_xor_b32 s10, exec_lo, s22
; %bb.80:
	v_and_b32_e32 v17, 0xffff, v24
	v_cndmask_b32_e64 v2, v16, v2, s9
	v_cndmask_b32_e64 v1, v15, v1, s9
                                        ; implicit-def: $vgpr15_vgpr16
	v_cndmask_b32_e64 v17, v17, 1, s9
; %bb.81:
	s_andn2_saveexec_b32 s10, s10
; %bb.82:
	v_cmp_lt_i64_e64 s9, v[15:16], v[1:2]
	v_mov_b32_e32 v17, 1
	v_cndmask_b32_e64 v2, v2, v16, s9
	v_cndmask_b32_e64 v1, v1, v15, s9
; %bb.83:
	s_or_b32 exec_lo, exec_lo, s10
	s_or_b32 exec_lo, exec_lo, s11
	s_and_saveexec_b32 s10, s8
	s_cbranch_execz .LBB205_62
.LBB205_84:
	v_and_b32_e32 v15, 1, v17
	v_and_b32_e32 v16, 1, v23
                                        ; implicit-def: $vgpr17
	v_cmp_eq_u32_e64 s8, 1, v15
	v_cmp_eq_u32_e64 s9, 1, v16
	s_and_b32 s9, s8, s9
	s_xor_b32 s9, s9, -1
	s_and_saveexec_b32 s11, s9
	s_xor_b32 s9, exec_lo, s11
; %bb.85:
	v_and_b32_e32 v15, 0xffff, v23
	v_cndmask_b32_e64 v2, v14, v2, s8
	v_cndmask_b32_e64 v1, v13, v1, s8
                                        ; implicit-def: $vgpr13_vgpr14
	v_cndmask_b32_e64 v17, v15, 1, s8
; %bb.86:
	s_andn2_saveexec_b32 s9, s9
; %bb.87:
	v_cmp_lt_i64_e64 s8, v[13:14], v[1:2]
	v_mov_b32_e32 v17, 1
	v_cndmask_b32_e64 v2, v2, v14, s8
	v_cndmask_b32_e64 v1, v1, v13, s8
; %bb.88:
	s_or_b32 exec_lo, exec_lo, s9
	s_or_b32 exec_lo, exec_lo, s10
	s_and_saveexec_b32 s9, s3
	s_cbranch_execz .LBB205_63
.LBB205_89:
	v_and_b32_e32 v13, 1, v17
	v_and_b32_e32 v14, 1, v22
                                        ; implicit-def: $vgpr17
	v_cmp_eq_u32_e64 s3, 1, v13
	v_cmp_eq_u32_e64 s8, 1, v14
	s_and_b32 s8, s3, s8
	s_xor_b32 s8, s8, -1
	s_and_saveexec_b32 s10, s8
	s_xor_b32 s8, exec_lo, s10
; %bb.90:
	v_and_b32_e32 v13, 0xffff, v22
	v_cndmask_b32_e64 v2, v12, v2, s3
	v_cndmask_b32_e64 v1, v11, v1, s3
                                        ; implicit-def: $vgpr11_vgpr12
	v_cndmask_b32_e64 v17, v13, 1, s3
; %bb.91:
	s_andn2_saveexec_b32 s8, s8
; %bb.92:
	v_cmp_lt_i64_e64 s3, v[11:12], v[1:2]
	v_mov_b32_e32 v17, 1
	v_cndmask_b32_e64 v2, v2, v12, s3
	v_cndmask_b32_e64 v1, v1, v11, s3
; %bb.93:
	s_or_b32 exec_lo, exec_lo, s8
	s_or_b32 exec_lo, exec_lo, s9
	s_and_saveexec_b32 s8, s2
	s_cbranch_execz .LBB205_64
.LBB205_94:
	v_and_b32_e32 v11, 1, v17
	v_and_b32_e32 v12, 1, v21
                                        ; implicit-def: $vgpr17
	v_cmp_eq_u32_e64 s2, 1, v11
	v_cmp_eq_u32_e64 s3, 1, v12
	s_and_b32 s3, s2, s3
	s_xor_b32 s3, s3, -1
	s_and_saveexec_b32 s9, s3
	s_xor_b32 s3, exec_lo, s9
; %bb.95:
	v_and_b32_e32 v11, 0xffff, v21
	v_cndmask_b32_e64 v2, v10, v2, s2
	v_cndmask_b32_e64 v1, v9, v1, s2
                                        ; implicit-def: $vgpr9_vgpr10
	v_cndmask_b32_e64 v17, v11, 1, s2
; %bb.96:
	s_andn2_saveexec_b32 s3, s3
; %bb.97:
	v_cmp_lt_i64_e64 s2, v[9:10], v[1:2]
	v_mov_b32_e32 v17, 1
	v_cndmask_b32_e64 v2, v2, v10, s2
	v_cndmask_b32_e64 v1, v1, v9, s2
; %bb.98:
	s_or_b32 exec_lo, exec_lo, s3
	s_or_b32 exec_lo, exec_lo, s8
	s_and_saveexec_b32 s3, s1
	s_cbranch_execz .LBB205_65
.LBB205_99:
	v_and_b32_e32 v9, 1, v17
	v_and_b32_e32 v10, 1, v20
                                        ; implicit-def: $vgpr17
	v_cmp_eq_u32_e64 s1, 1, v9
	v_cmp_eq_u32_e64 s2, 1, v10
	s_and_b32 s2, s1, s2
	s_xor_b32 s2, s2, -1
	s_and_saveexec_b32 s8, s2
	s_xor_b32 s2, exec_lo, s8
; %bb.100:
	v_and_b32_e32 v9, 0xffff, v20
	v_cndmask_b32_e64 v2, v8, v2, s1
	v_cndmask_b32_e64 v1, v7, v1, s1
                                        ; implicit-def: $vgpr7_vgpr8
	v_cndmask_b32_e64 v17, v9, 1, s1
; %bb.101:
	s_andn2_saveexec_b32 s2, s2
; %bb.102:
	v_cmp_lt_i64_e64 s1, v[7:8], v[1:2]
	v_mov_b32_e32 v17, 1
	v_cndmask_b32_e64 v2, v2, v8, s1
	v_cndmask_b32_e64 v1, v1, v7, s1
; %bb.103:
	s_or_b32 exec_lo, exec_lo, s2
	s_or_b32 exec_lo, exec_lo, s3
	s_and_saveexec_b32 s2, s0
	s_cbranch_execz .LBB205_66
.LBB205_104:
	v_and_b32_e32 v7, 1, v17
	v_and_b32_e32 v8, 1, v19
                                        ; implicit-def: $vgpr17
	v_cmp_eq_u32_e64 s0, 1, v7
	v_cmp_eq_u32_e64 s1, 1, v8
	s_and_b32 s1, s0, s1
	s_xor_b32 s1, s1, -1
	s_and_saveexec_b32 s3, s1
	s_xor_b32 s1, exec_lo, s3
; %bb.105:
	v_and_b32_e32 v7, 0xffff, v19
	v_cndmask_b32_e64 v2, v6, v2, s0
	v_cndmask_b32_e64 v1, v5, v1, s0
                                        ; implicit-def: $vgpr5_vgpr6
	v_cndmask_b32_e64 v17, v7, 1, s0
; %bb.106:
	s_andn2_saveexec_b32 s1, s1
; %bb.107:
	v_cmp_lt_i64_e64 s0, v[5:6], v[1:2]
	v_mov_b32_e32 v17, 1
	v_cndmask_b32_e64 v2, v2, v6, s0
	v_cndmask_b32_e64 v1, v1, v5, s0
; %bb.108:
	s_or_b32 exec_lo, exec_lo, s1
	s_or_b32 exec_lo, exec_lo, s2
	s_and_saveexec_b32 s1, vcc_lo
	s_cbranch_execz .LBB205_114
.LBB205_109:
	v_and_b32_e32 v5, 1, v17
	v_and_b32_e32 v6, 1, v18
                                        ; implicit-def: $vgpr17
	v_cmp_eq_u32_e32 vcc_lo, 1, v5
	v_cmp_eq_u32_e64 s0, 1, v6
	s_and_b32 s0, vcc_lo, s0
	s_xor_b32 s0, s0, -1
	s_and_saveexec_b32 s2, s0
	s_xor_b32 s0, exec_lo, s2
; %bb.110:
	v_and_b32_e32 v5, 0xffff, v18
	v_cndmask_b32_e32 v2, v4, v2, vcc_lo
	v_cndmask_b32_e32 v1, v3, v1, vcc_lo
                                        ; implicit-def: $vgpr3_vgpr4
	v_cndmask_b32_e64 v17, v5, 1, vcc_lo
; %bb.111:
	s_andn2_saveexec_b32 s0, s0
; %bb.112:
	v_cmp_lt_i64_e32 vcc_lo, v[3:4], v[1:2]
	v_mov_b32_e32 v17, 1
	v_cndmask_b32_e32 v2, v2, v4, vcc_lo
	v_cndmask_b32_e32 v1, v1, v3, vcc_lo
; %bb.113:
	s_or_b32 exec_lo, exec_lo, s0
.LBB205_114:
	s_or_b32 exec_lo, exec_lo, s1
	v_mbcnt_lo_u32_b32 v5, -1, 0
	v_and_b32_e32 v6, 0xe0, v0
	s_min_u32 s0, s27, 0x100
	s_mov_b32 s1, exec_lo
	v_cmp_ne_u32_e32 vcc_lo, 31, v5
	v_sub_nc_u32_e64 v6, s0, v6 clamp
	v_add_nc_u32_e32 v8, 1, v5
	v_add_co_ci_u32_e64 v3, null, 0, v5, vcc_lo
	v_lshlrev_b32_e32 v4, 2, v3
	ds_bpermute_b32 v7, v4, v17
	ds_bpermute_b32 v3, v4, v1
	;; [unrolled: 1-line block ×3, first 2 shown]
	v_cmpx_lt_u32_e64 v8, v6
	s_xor_b32 s1, exec_lo, s1
	s_cbranch_execz .LBB205_120
; %bb.115:
	s_waitcnt lgkmcnt(2)
	v_and_b32_e32 v8, v7, v17
	s_mov_b32 s2, exec_lo
	v_cmpx_ne_u32_e32 0, v8
	s_xor_b32 s2, exec_lo, s2
	s_cbranch_execz .LBB205_117
; %bb.116:
	s_waitcnt lgkmcnt(0)
	v_cmp_lt_i64_e32 vcc_lo, v[3:4], v[1:2]
                                        ; implicit-def: $vgpr17
                                        ; implicit-def: $vgpr7
	v_cndmask_b32_e32 v2, v2, v4, vcc_lo
	v_cndmask_b32_e32 v1, v1, v3, vcc_lo
                                        ; implicit-def: $vgpr3_vgpr4
.LBB205_117:
	s_or_saveexec_b32 s2, s2
	v_mov_b32_e32 v8, 1
	s_xor_b32 exec_lo, exec_lo, s2
	s_cbranch_execz .LBB205_119
; %bb.118:
	v_and_b32_e32 v8, 1, v17
	v_and_b32_e32 v7, 0xff, v7
	v_cmp_eq_u32_e32 vcc_lo, 1, v8
	s_waitcnt lgkmcnt(0)
	v_cndmask_b32_e32 v2, v4, v2, vcc_lo
	v_cndmask_b32_e32 v1, v3, v1, vcc_lo
	v_cndmask_b32_e64 v8, v7, 1, vcc_lo
.LBB205_119:
	s_or_b32 exec_lo, exec_lo, s2
	v_mov_b32_e32 v17, v8
.LBB205_120:
	s_or_b32 exec_lo, exec_lo, s1
	v_cmp_gt_u32_e32 vcc_lo, 30, v5
	v_add_nc_u32_e32 v8, 2, v5
	s_mov_b32 s1, exec_lo
	s_waitcnt lgkmcnt(1)
	v_cndmask_b32_e64 v3, 0, 2, vcc_lo
	s_waitcnt lgkmcnt(0)
	v_add_lshl_u32 v4, v3, v5, 2
	ds_bpermute_b32 v7, v4, v17
	ds_bpermute_b32 v3, v4, v1
	ds_bpermute_b32 v4, v4, v2
	v_cmpx_lt_u32_e64 v8, v6
	s_cbranch_execz .LBB205_126
; %bb.121:
	s_waitcnt lgkmcnt(2)
	v_and_b32_e32 v8, v17, v7
	s_mov_b32 s2, exec_lo
	v_and_b32_e32 v8, 1, v8
	v_cmpx_eq_u32_e32 1, v8
	s_xor_b32 s2, exec_lo, s2
	s_cbranch_execz .LBB205_123
; %bb.122:
	s_waitcnt lgkmcnt(0)
	v_cmp_lt_i64_e32 vcc_lo, v[3:4], v[1:2]
                                        ; implicit-def: $vgpr17
                                        ; implicit-def: $vgpr7
	v_cndmask_b32_e32 v2, v2, v4, vcc_lo
	v_cndmask_b32_e32 v1, v1, v3, vcc_lo
                                        ; implicit-def: $vgpr3_vgpr4
.LBB205_123:
	s_or_saveexec_b32 s2, s2
	v_mov_b32_e32 v8, 1
	s_xor_b32 exec_lo, exec_lo, s2
	s_cbranch_execz .LBB205_125
; %bb.124:
	v_and_b32_e32 v8, 1, v17
	v_and_b32_e32 v7, 0xff, v7
	v_cmp_eq_u32_e32 vcc_lo, 1, v8
	s_waitcnt lgkmcnt(0)
	v_cndmask_b32_e32 v2, v4, v2, vcc_lo
	v_cndmask_b32_e32 v1, v3, v1, vcc_lo
	v_cndmask_b32_e64 v8, v7, 1, vcc_lo
.LBB205_125:
	s_or_b32 exec_lo, exec_lo, s2
	v_mov_b32_e32 v17, v8
.LBB205_126:
	s_or_b32 exec_lo, exec_lo, s1
	v_cmp_gt_u32_e32 vcc_lo, 28, v5
	v_add_nc_u32_e32 v8, 4, v5
	s_mov_b32 s1, exec_lo
	s_waitcnt lgkmcnt(1)
	v_cndmask_b32_e64 v3, 0, 4, vcc_lo
	s_waitcnt lgkmcnt(0)
	v_add_lshl_u32 v4, v3, v5, 2
	ds_bpermute_b32 v7, v4, v17
	ds_bpermute_b32 v3, v4, v1
	ds_bpermute_b32 v4, v4, v2
	v_cmpx_lt_u32_e64 v8, v6
	s_cbranch_execz .LBB205_132
; %bb.127:
	s_waitcnt lgkmcnt(2)
	v_and_b32_e32 v8, v17, v7
	s_mov_b32 s2, exec_lo
	v_and_b32_e32 v8, 1, v8
	v_cmpx_eq_u32_e32 1, v8
	s_xor_b32 s2, exec_lo, s2
	s_cbranch_execz .LBB205_129
; %bb.128:
	s_waitcnt lgkmcnt(0)
	v_cmp_lt_i64_e32 vcc_lo, v[3:4], v[1:2]
                                        ; implicit-def: $vgpr17
                                        ; implicit-def: $vgpr7
	v_cndmask_b32_e32 v2, v2, v4, vcc_lo
	v_cndmask_b32_e32 v1, v1, v3, vcc_lo
                                        ; implicit-def: $vgpr3_vgpr4
.LBB205_129:
	s_or_saveexec_b32 s2, s2
	v_mov_b32_e32 v8, 1
	s_xor_b32 exec_lo, exec_lo, s2
	s_cbranch_execz .LBB205_131
; %bb.130:
	v_and_b32_e32 v8, 1, v17
	v_and_b32_e32 v7, 0xff, v7
	v_cmp_eq_u32_e32 vcc_lo, 1, v8
	s_waitcnt lgkmcnt(0)
	v_cndmask_b32_e32 v2, v4, v2, vcc_lo
	v_cndmask_b32_e32 v1, v3, v1, vcc_lo
	v_cndmask_b32_e64 v8, v7, 1, vcc_lo
.LBB205_131:
	s_or_b32 exec_lo, exec_lo, s2
	v_mov_b32_e32 v17, v8
.LBB205_132:
	;; [unrolled: 46-line block ×3, first 2 shown]
	s_or_b32 exec_lo, exec_lo, s1
	s_waitcnt lgkmcnt(2)
	v_lshlrev_b32_e32 v7, 2, v5
	v_add_nc_u32_e32 v9, 16, v5
	s_waitcnt lgkmcnt(0)
	v_or_b32_e32 v4, 64, v7
	v_cmp_lt_u32_e32 vcc_lo, v9, v6
	v_mov_b32_e32 v6, v17
	ds_bpermute_b32 v8, v4, v17
	ds_bpermute_b32 v3, v4, v1
	ds_bpermute_b32 v4, v4, v2
	s_and_saveexec_b32 s1, vcc_lo
	s_cbranch_execz .LBB205_144
; %bb.139:
	s_waitcnt lgkmcnt(2)
	v_and_b32_e32 v6, v17, v8
	s_mov_b32 s2, exec_lo
	v_and_b32_e32 v6, 1, v6
	v_cmpx_eq_u32_e32 1, v6
	s_xor_b32 s2, exec_lo, s2
	s_cbranch_execz .LBB205_141
; %bb.140:
	s_waitcnt lgkmcnt(0)
	v_cmp_lt_i64_e32 vcc_lo, v[3:4], v[1:2]
                                        ; implicit-def: $vgpr17
                                        ; implicit-def: $vgpr8
	v_cndmask_b32_e32 v2, v2, v4, vcc_lo
	v_cndmask_b32_e32 v1, v1, v3, vcc_lo
                                        ; implicit-def: $vgpr3_vgpr4
.LBB205_141:
	s_or_saveexec_b32 s2, s2
	v_mov_b32_e32 v6, 1
	s_xor_b32 exec_lo, exec_lo, s2
	s_cbranch_execz .LBB205_143
; %bb.142:
	v_and_b32_e32 v6, 1, v17
	v_cmp_eq_u32_e32 vcc_lo, 1, v6
	v_cndmask_b32_e64 v6, v8, 1, vcc_lo
	s_waitcnt lgkmcnt(0)
	v_cndmask_b32_e32 v2, v4, v2, vcc_lo
	v_cndmask_b32_e32 v1, v3, v1, vcc_lo
.LBB205_143:
	s_or_b32 exec_lo, exec_lo, s2
	v_and_b32_e32 v17, 0xff, v6
.LBB205_144:
	s_or_b32 exec_lo, exec_lo, s1
	s_mov_b32 s1, exec_lo
	v_cmpx_eq_u32_e32 0, v5
	s_cbranch_execz .LBB205_146
; %bb.145:
	s_waitcnt lgkmcnt(1)
	v_lshrrev_b32_e32 v3, 1, v0
	v_and_b32_e32 v3, 0x70, v3
	ds_write_b8 v3, v6 offset:512
	ds_write_b64 v3, v[1:2] offset:520
.LBB205_146:
	s_or_b32 exec_lo, exec_lo, s1
	s_mov_b32 s1, exec_lo
	s_waitcnt lgkmcnt(0)
	s_barrier
	buffer_gl0_inv
	v_cmpx_gt_u32_e32 8, v0
	s_cbranch_execz .LBB205_166
; %bb.147:
	v_lshlrev_b32_e32 v1, 4, v5
	v_and_b32_e32 v6, 7, v5
	s_add_i32 s0, s0, 31
	s_mov_b32 s2, exec_lo
	s_lshr_b32 s0, s0, 5
	ds_read_u8 v8, v1 offset:512
	ds_read_b64 v[1:2], v1 offset:520
	v_cmp_ne_u32_e32 vcc_lo, 7, v6
	v_add_nc_u32_e32 v10, 1, v6
	v_add_co_ci_u32_e64 v3, null, 0, v5, vcc_lo
	v_lshlrev_b32_e32 v4, 2, v3
	s_waitcnt lgkmcnt(1)
	v_and_b32_e32 v17, 0xff, v8
	s_waitcnt lgkmcnt(0)
	ds_bpermute_b32 v3, v4, v1
	ds_bpermute_b32 v9, v4, v17
	;; [unrolled: 1-line block ×3, first 2 shown]
	v_cmpx_gt_u32_e64 s0, v10
	s_cbranch_execz .LBB205_153
; %bb.148:
	s_waitcnt lgkmcnt(1)
	v_and_b32_e32 v10, v17, v9
	s_mov_b32 s3, exec_lo
	v_and_b32_e32 v10, 1, v10
	v_cmpx_eq_u32_e32 1, v10
	s_xor_b32 s3, exec_lo, s3
	s_cbranch_execz .LBB205_150
; %bb.149:
	s_waitcnt lgkmcnt(0)
	v_cmp_lt_i64_e32 vcc_lo, v[3:4], v[1:2]
                                        ; implicit-def: $vgpr8
                                        ; implicit-def: $vgpr9
	v_cndmask_b32_e32 v2, v2, v4, vcc_lo
	v_cndmask_b32_e32 v1, v1, v3, vcc_lo
                                        ; implicit-def: $vgpr3_vgpr4
.LBB205_150:
	s_or_saveexec_b32 s3, s3
	v_mov_b32_e32 v17, 1
	s_xor_b32 exec_lo, exec_lo, s3
	s_cbranch_execz .LBB205_152
; %bb.151:
	v_and_b32_e32 v8, 1, v8
	v_cmp_eq_u32_e32 vcc_lo, 1, v8
	v_and_b32_e32 v8, 0xff, v9
	s_waitcnt lgkmcnt(0)
	v_cndmask_b32_e32 v2, v4, v2, vcc_lo
	v_cndmask_b32_e32 v1, v3, v1, vcc_lo
	v_cndmask_b32_e64 v17, v8, 1, vcc_lo
.LBB205_152:
	s_or_b32 exec_lo, exec_lo, s3
.LBB205_153:
	s_or_b32 exec_lo, exec_lo, s2
	v_cmp_gt_u32_e32 vcc_lo, 6, v6
	v_add_nc_u32_e32 v8, 2, v6
	s_mov_b32 s2, exec_lo
	s_waitcnt lgkmcnt(2)
	v_cndmask_b32_e64 v3, 0, 2, vcc_lo
	s_waitcnt lgkmcnt(0)
	v_add_lshl_u32 v4, v3, v5, 2
	ds_bpermute_b32 v5, v4, v17
	ds_bpermute_b32 v3, v4, v1
	;; [unrolled: 1-line block ×3, first 2 shown]
	v_cmpx_gt_u32_e64 s0, v8
	s_cbranch_execz .LBB205_159
; %bb.154:
	s_waitcnt lgkmcnt(2)
	v_and_b32_e32 v8, v17, v5
	s_mov_b32 s3, exec_lo
	v_and_b32_e32 v8, 1, v8
	v_cmpx_eq_u32_e32 1, v8
	s_xor_b32 s3, exec_lo, s3
	s_cbranch_execz .LBB205_156
; %bb.155:
	s_waitcnt lgkmcnt(0)
	v_cmp_lt_i64_e32 vcc_lo, v[3:4], v[1:2]
                                        ; implicit-def: $vgpr17
                                        ; implicit-def: $vgpr5
	v_cndmask_b32_e32 v2, v2, v4, vcc_lo
	v_cndmask_b32_e32 v1, v1, v3, vcc_lo
                                        ; implicit-def: $vgpr3_vgpr4
.LBB205_156:
	s_or_saveexec_b32 s3, s3
	v_mov_b32_e32 v8, 1
	s_xor_b32 exec_lo, exec_lo, s3
	s_cbranch_execz .LBB205_158
; %bb.157:
	v_and_b32_e32 v8, 1, v17
	v_and_b32_e32 v5, 0xff, v5
	v_cmp_eq_u32_e32 vcc_lo, 1, v8
	s_waitcnt lgkmcnt(0)
	v_cndmask_b32_e32 v2, v4, v2, vcc_lo
	v_cndmask_b32_e32 v1, v3, v1, vcc_lo
	v_cndmask_b32_e64 v8, v5, 1, vcc_lo
.LBB205_158:
	s_or_b32 exec_lo, exec_lo, s3
	v_mov_b32_e32 v17, v8
.LBB205_159:
	s_or_b32 exec_lo, exec_lo, s2
	s_waitcnt lgkmcnt(0)
	v_or_b32_e32 v4, 16, v7
	v_add_nc_u32_e32 v6, 4, v6
	ds_bpermute_b32 v5, v4, v17
	ds_bpermute_b32 v3, v4, v1
	;; [unrolled: 1-line block ×3, first 2 shown]
	v_cmp_gt_u32_e32 vcc_lo, s0, v6
	s_and_saveexec_b32 s0, vcc_lo
	s_cbranch_execz .LBB205_165
; %bb.160:
	s_waitcnt lgkmcnt(2)
	v_and_b32_e32 v6, v17, v5
	s_mov_b32 s2, exec_lo
	v_and_b32_e32 v6, 1, v6
	v_cmpx_eq_u32_e32 1, v6
	s_xor_b32 s2, exec_lo, s2
	s_cbranch_execz .LBB205_162
; %bb.161:
	s_waitcnt lgkmcnt(0)
	v_cmp_lt_i64_e32 vcc_lo, v[3:4], v[1:2]
                                        ; implicit-def: $vgpr17
                                        ; implicit-def: $vgpr5
	v_cndmask_b32_e32 v2, v2, v4, vcc_lo
	v_cndmask_b32_e32 v1, v1, v3, vcc_lo
                                        ; implicit-def: $vgpr3_vgpr4
.LBB205_162:
	s_or_saveexec_b32 s2, s2
	v_mov_b32_e32 v6, 1
	s_xor_b32 exec_lo, exec_lo, s2
	s_cbranch_execz .LBB205_164
; %bb.163:
	v_and_b32_e32 v6, 1, v17
	v_cmp_eq_u32_e32 vcc_lo, 1, v6
	s_waitcnt lgkmcnt(0)
	v_cndmask_b32_e32 v2, v4, v2, vcc_lo
	v_cndmask_b32_e32 v1, v3, v1, vcc_lo
	v_cndmask_b32_e64 v6, v5, 1, vcc_lo
.LBB205_164:
	s_or_b32 exec_lo, exec_lo, s2
	v_mov_b32_e32 v17, v6
.LBB205_165:
	s_or_b32 exec_lo, exec_lo, s0
.LBB205_166:
	s_or_b32 exec_lo, exec_lo, s1
.LBB205_167:
	s_mov_b32 s22, 0
                                        ; implicit-def: $vgpr3_vgpr4
                                        ; implicit-def: $vgpr5
	s_mov_b32 s0, exec_lo
	v_cmpx_eq_u32_e32 0, v0
	s_xor_b32 s2, exec_lo, s0
	s_cbranch_execz .LBB205_171
; %bb.168:
	s_waitcnt lgkmcnt(0)
	v_mov_b32_e32 v3, s20
	v_mov_b32_e32 v4, s21
	;; [unrolled: 1-line block ×3, first 2 shown]
	s_cmp_eq_u64 s[14:15], 0
	s_cbranch_scc1 .LBB205_170
; %bb.169:
	v_and_b32_e32 v3, 1, v17
	v_cmp_gt_i64_e32 vcc_lo, s[20:21], v[1:2]
	s_bitcmp1_b32 s24, 0
	s_cselect_b32 s1, -1, 0
	v_cmp_eq_u32_e64 s0, 1, v3
	v_cndmask_b32_e64 v5, v17, 1, s1
	s_and_b32 vcc_lo, s0, vcc_lo
	v_cndmask_b32_e32 v3, s20, v1, vcc_lo
	v_cndmask_b32_e32 v4, s21, v2, vcc_lo
	v_cndmask_b32_e64 v3, v1, v3, s1
	v_cndmask_b32_e64 v4, v2, v4, s1
.LBB205_170:
	s_mov_b32 s22, exec_lo
.LBB205_171:
	s_or_b32 exec_lo, exec_lo, s2
	v_mov_b32_e32 v1, s6
	v_mov_b32_e32 v2, s7
	s_and_b32 vcc_lo, exec_lo, s26
	s_cbranch_vccnz .LBB205_24
.LBB205_172:
	s_branch .LBB205_356
.LBB205_173:
	v_lshlrev_b32_e32 v3, 1, v0
	s_clause 0x1
	global_load_ushort v10, v3, s[2:3] offset:1536
	global_load_ushort v14, v3, s[8:9] offset:1536
	v_add_co_u32 v3, s2, s11, v13
	v_add_co_ci_u32_e64 v4, null, s23, 0, s2
	s_waitcnt vmcnt(0)
	v_cmp_ne_u16_e64 s2, v10, v14
	v_cndmask_b32_e64 v10, 0, 1, s2
	s_or_b32 exec_lo, exec_lo, s26
	s_and_saveexec_b32 s3, s1
	s_cbranch_execz .LBB205_76
.LBB205_174:
	v_and_b32_e32 v9, 1, v9
	v_and_b32_e32 v13, 1, v12
	v_cmp_eq_u32_e64 s1, 1, v9
	v_cmp_eq_u32_e64 s2, 1, v13
                                        ; implicit-def: $vgpr9
	s_and_b32 s2, s1, s2
	s_xor_b32 s2, s2, -1
	s_and_saveexec_b32 s8, s2
	s_xor_b32 s2, exec_lo, s8
; %bb.175:
	v_and_b32_e32 v9, 0xffff, v12
	v_cndmask_b32_e64 v2, v8, v2, s1
	v_cndmask_b32_e64 v1, v7, v1, s1
                                        ; implicit-def: $vgpr7_vgpr8
	v_cndmask_b32_e64 v9, v9, 1, s1
; %bb.176:
	s_andn2_saveexec_b32 s2, s2
; %bb.177:
	v_cmp_lt_i64_e64 s1, v[7:8], v[1:2]
	v_mov_b32_e32 v9, 1
	v_cndmask_b32_e64 v2, v2, v8, s1
	v_cndmask_b32_e64 v1, v1, v7, s1
; %bb.178:
	s_or_b32 exec_lo, exec_lo, s2
	s_or_b32 exec_lo, exec_lo, s3
	s_and_saveexec_b32 s2, s0
	s_cbranch_execz .LBB205_77
.LBB205_179:
	v_and_b32_e32 v7, 1, v9
	v_and_b32_e32 v8, 1, v11
                                        ; implicit-def: $vgpr9
	v_cmp_eq_u32_e64 s0, 1, v7
	v_cmp_eq_u32_e64 s1, 1, v8
	s_and_b32 s1, s0, s1
	s_xor_b32 s1, s1, -1
	s_and_saveexec_b32 s3, s1
	s_xor_b32 s1, exec_lo, s3
; %bb.180:
	v_and_b32_e32 v7, 0xffff, v11
	v_cndmask_b32_e64 v2, v6, v2, s0
	v_cndmask_b32_e64 v1, v5, v1, s0
                                        ; implicit-def: $vgpr5_vgpr6
	v_cndmask_b32_e64 v9, v7, 1, s0
; %bb.181:
	s_andn2_saveexec_b32 s1, s1
; %bb.182:
	v_cmp_lt_i64_e64 s0, v[5:6], v[1:2]
	v_mov_b32_e32 v9, 1
	v_cndmask_b32_e64 v2, v2, v6, s0
	v_cndmask_b32_e64 v1, v1, v5, s0
; %bb.183:
	s_or_b32 exec_lo, exec_lo, s1
	s_or_b32 exec_lo, exec_lo, s2
	s_and_saveexec_b32 s1, vcc_lo
	s_cbranch_execz .LBB205_189
.LBB205_184:
	v_and_b32_e32 v5, 1, v9
	v_and_b32_e32 v6, 1, v10
                                        ; implicit-def: $vgpr9
	v_cmp_eq_u32_e32 vcc_lo, 1, v5
	v_cmp_eq_u32_e64 s0, 1, v6
	s_and_b32 s0, vcc_lo, s0
	s_xor_b32 s0, s0, -1
	s_and_saveexec_b32 s2, s0
	s_xor_b32 s0, exec_lo, s2
; %bb.185:
	v_and_b32_e32 v5, 0xffff, v10
	v_cndmask_b32_e32 v2, v4, v2, vcc_lo
	v_cndmask_b32_e32 v1, v3, v1, vcc_lo
                                        ; implicit-def: $vgpr3_vgpr4
	v_cndmask_b32_e64 v9, v5, 1, vcc_lo
; %bb.186:
	s_andn2_saveexec_b32 s0, s0
; %bb.187:
	v_cmp_lt_i64_e32 vcc_lo, v[3:4], v[1:2]
	v_mov_b32_e32 v9, 1
	v_cndmask_b32_e32 v2, v2, v4, vcc_lo
	v_cndmask_b32_e32 v1, v1, v3, vcc_lo
; %bb.188:
	s_or_b32 exec_lo, exec_lo, s0
.LBB205_189:
	s_or_b32 exec_lo, exec_lo, s1
	v_mbcnt_lo_u32_b32 v5, -1, 0
	v_and_b32_e32 v6, 0xe0, v0
	s_min_u32 s0, s10, 0x100
	s_mov_b32 s1, exec_lo
	v_cmp_ne_u32_e32 vcc_lo, 31, v5
	v_sub_nc_u32_e64 v6, s0, v6 clamp
	v_add_nc_u32_e32 v8, 1, v5
	v_add_co_ci_u32_e64 v3, null, 0, v5, vcc_lo
	v_lshlrev_b32_e32 v4, 2, v3
	ds_bpermute_b32 v7, v4, v9
	ds_bpermute_b32 v3, v4, v1
	;; [unrolled: 1-line block ×3, first 2 shown]
	v_cmpx_lt_u32_e64 v8, v6
	s_xor_b32 s1, exec_lo, s1
	s_cbranch_execz .LBB205_195
; %bb.190:
	s_waitcnt lgkmcnt(2)
	v_and_b32_e32 v8, v7, v9
	s_mov_b32 s2, exec_lo
	v_cmpx_ne_u32_e32 0, v8
	s_xor_b32 s2, exec_lo, s2
	s_cbranch_execz .LBB205_192
; %bb.191:
	s_waitcnt lgkmcnt(0)
	v_cmp_lt_i64_e32 vcc_lo, v[3:4], v[1:2]
                                        ; implicit-def: $vgpr9
                                        ; implicit-def: $vgpr7
	v_cndmask_b32_e32 v2, v2, v4, vcc_lo
	v_cndmask_b32_e32 v1, v1, v3, vcc_lo
                                        ; implicit-def: $vgpr3_vgpr4
.LBB205_192:
	s_or_saveexec_b32 s2, s2
	v_mov_b32_e32 v8, 1
	s_xor_b32 exec_lo, exec_lo, s2
	s_cbranch_execz .LBB205_194
; %bb.193:
	v_and_b32_e32 v8, 1, v9
	v_and_b32_e32 v7, 0xff, v7
	v_cmp_eq_u32_e32 vcc_lo, 1, v8
	s_waitcnt lgkmcnt(0)
	v_cndmask_b32_e32 v2, v4, v2, vcc_lo
	v_cndmask_b32_e32 v1, v3, v1, vcc_lo
	v_cndmask_b32_e64 v8, v7, 1, vcc_lo
.LBB205_194:
	s_or_b32 exec_lo, exec_lo, s2
	v_mov_b32_e32 v9, v8
.LBB205_195:
	s_or_b32 exec_lo, exec_lo, s1
	v_cmp_gt_u32_e32 vcc_lo, 30, v5
	v_add_nc_u32_e32 v8, 2, v5
	s_mov_b32 s1, exec_lo
	s_waitcnt lgkmcnt(1)
	v_cndmask_b32_e64 v3, 0, 2, vcc_lo
	s_waitcnt lgkmcnt(0)
	v_add_lshl_u32 v4, v3, v5, 2
	ds_bpermute_b32 v7, v4, v9
	ds_bpermute_b32 v3, v4, v1
	ds_bpermute_b32 v4, v4, v2
	v_cmpx_lt_u32_e64 v8, v6
	s_cbranch_execz .LBB205_201
; %bb.196:
	s_waitcnt lgkmcnt(2)
	v_and_b32_e32 v8, v9, v7
	s_mov_b32 s2, exec_lo
	v_and_b32_e32 v8, 1, v8
	v_cmpx_eq_u32_e32 1, v8
	s_xor_b32 s2, exec_lo, s2
	s_cbranch_execz .LBB205_198
; %bb.197:
	s_waitcnt lgkmcnt(0)
	v_cmp_lt_i64_e32 vcc_lo, v[3:4], v[1:2]
                                        ; implicit-def: $vgpr9
                                        ; implicit-def: $vgpr7
	v_cndmask_b32_e32 v2, v2, v4, vcc_lo
	v_cndmask_b32_e32 v1, v1, v3, vcc_lo
                                        ; implicit-def: $vgpr3_vgpr4
.LBB205_198:
	s_or_saveexec_b32 s2, s2
	v_mov_b32_e32 v8, 1
	s_xor_b32 exec_lo, exec_lo, s2
	s_cbranch_execz .LBB205_200
; %bb.199:
	v_and_b32_e32 v8, 1, v9
	v_and_b32_e32 v7, 0xff, v7
	v_cmp_eq_u32_e32 vcc_lo, 1, v8
	s_waitcnt lgkmcnt(0)
	v_cndmask_b32_e32 v2, v4, v2, vcc_lo
	v_cndmask_b32_e32 v1, v3, v1, vcc_lo
	v_cndmask_b32_e64 v8, v7, 1, vcc_lo
.LBB205_200:
	s_or_b32 exec_lo, exec_lo, s2
	v_mov_b32_e32 v9, v8
.LBB205_201:
	s_or_b32 exec_lo, exec_lo, s1
	v_cmp_gt_u32_e32 vcc_lo, 28, v5
	v_add_nc_u32_e32 v8, 4, v5
	s_mov_b32 s1, exec_lo
	s_waitcnt lgkmcnt(1)
	v_cndmask_b32_e64 v3, 0, 4, vcc_lo
	s_waitcnt lgkmcnt(0)
	v_add_lshl_u32 v4, v3, v5, 2
	ds_bpermute_b32 v7, v4, v9
	ds_bpermute_b32 v3, v4, v1
	ds_bpermute_b32 v4, v4, v2
	v_cmpx_lt_u32_e64 v8, v6
	s_cbranch_execz .LBB205_207
; %bb.202:
	s_waitcnt lgkmcnt(2)
	v_and_b32_e32 v8, v9, v7
	s_mov_b32 s2, exec_lo
	v_and_b32_e32 v8, 1, v8
	v_cmpx_eq_u32_e32 1, v8
	s_xor_b32 s2, exec_lo, s2
	s_cbranch_execz .LBB205_204
; %bb.203:
	s_waitcnt lgkmcnt(0)
	v_cmp_lt_i64_e32 vcc_lo, v[3:4], v[1:2]
                                        ; implicit-def: $vgpr9
                                        ; implicit-def: $vgpr7
	v_cndmask_b32_e32 v2, v2, v4, vcc_lo
	v_cndmask_b32_e32 v1, v1, v3, vcc_lo
                                        ; implicit-def: $vgpr3_vgpr4
.LBB205_204:
	s_or_saveexec_b32 s2, s2
	v_mov_b32_e32 v8, 1
	s_xor_b32 exec_lo, exec_lo, s2
	s_cbranch_execz .LBB205_206
; %bb.205:
	v_and_b32_e32 v8, 1, v9
	v_and_b32_e32 v7, 0xff, v7
	v_cmp_eq_u32_e32 vcc_lo, 1, v8
	s_waitcnt lgkmcnt(0)
	v_cndmask_b32_e32 v2, v4, v2, vcc_lo
	v_cndmask_b32_e32 v1, v3, v1, vcc_lo
	v_cndmask_b32_e64 v8, v7, 1, vcc_lo
.LBB205_206:
	s_or_b32 exec_lo, exec_lo, s2
	v_mov_b32_e32 v9, v8
.LBB205_207:
	;; [unrolled: 46-line block ×3, first 2 shown]
	s_or_b32 exec_lo, exec_lo, s1
	s_waitcnt lgkmcnt(2)
	v_lshlrev_b32_e32 v7, 2, v5
	v_add_nc_u32_e32 v10, 16, v5
	s_waitcnt lgkmcnt(0)
	v_or_b32_e32 v4, 64, v7
	v_cmp_lt_u32_e32 vcc_lo, v10, v6
	v_mov_b32_e32 v6, v9
	ds_bpermute_b32 v8, v4, v9
	ds_bpermute_b32 v3, v4, v1
	;; [unrolled: 1-line block ×3, first 2 shown]
	s_and_saveexec_b32 s1, vcc_lo
	s_cbranch_execz .LBB205_219
; %bb.214:
	s_waitcnt lgkmcnt(2)
	v_and_b32_e32 v6, v9, v8
	s_mov_b32 s2, exec_lo
	v_and_b32_e32 v6, 1, v6
	v_cmpx_eq_u32_e32 1, v6
	s_xor_b32 s2, exec_lo, s2
	s_cbranch_execz .LBB205_216
; %bb.215:
	s_waitcnt lgkmcnt(0)
	v_cmp_lt_i64_e32 vcc_lo, v[3:4], v[1:2]
                                        ; implicit-def: $vgpr9
                                        ; implicit-def: $vgpr8
	v_cndmask_b32_e32 v2, v2, v4, vcc_lo
	v_cndmask_b32_e32 v1, v1, v3, vcc_lo
                                        ; implicit-def: $vgpr3_vgpr4
.LBB205_216:
	s_or_saveexec_b32 s2, s2
	v_mov_b32_e32 v6, 1
	s_xor_b32 exec_lo, exec_lo, s2
	s_cbranch_execz .LBB205_218
; %bb.217:
	v_and_b32_e32 v6, 1, v9
	v_cmp_eq_u32_e32 vcc_lo, 1, v6
	v_cndmask_b32_e64 v6, v8, 1, vcc_lo
	s_waitcnt lgkmcnt(0)
	v_cndmask_b32_e32 v2, v4, v2, vcc_lo
	v_cndmask_b32_e32 v1, v3, v1, vcc_lo
.LBB205_218:
	s_or_b32 exec_lo, exec_lo, s2
	v_and_b32_e32 v9, 0xff, v6
.LBB205_219:
	s_or_b32 exec_lo, exec_lo, s1
	s_mov_b32 s1, exec_lo
	v_cmpx_eq_u32_e32 0, v5
	s_cbranch_execz .LBB205_221
; %bb.220:
	s_waitcnt lgkmcnt(1)
	v_lshrrev_b32_e32 v3, 1, v0
	v_and_b32_e32 v3, 0x70, v3
	ds_write_b8 v3, v6 offset:512
	ds_write_b64 v3, v[1:2] offset:520
.LBB205_221:
	s_or_b32 exec_lo, exec_lo, s1
	s_mov_b32 s1, exec_lo
	s_waitcnt lgkmcnt(0)
	s_barrier
	buffer_gl0_inv
	v_cmpx_gt_u32_e32 8, v0
	s_cbranch_execz .LBB205_241
; %bb.222:
	v_lshlrev_b32_e32 v1, 4, v5
	v_and_b32_e32 v6, 7, v5
	s_add_i32 s0, s0, 31
	s_mov_b32 s2, exec_lo
	s_lshr_b32 s0, s0, 5
	ds_read_u8 v8, v1 offset:512
	ds_read_b64 v[1:2], v1 offset:520
	v_cmp_ne_u32_e32 vcc_lo, 7, v6
	v_add_nc_u32_e32 v11, 1, v6
	v_add_co_ci_u32_e64 v3, null, 0, v5, vcc_lo
	v_lshlrev_b32_e32 v4, 2, v3
	s_waitcnt lgkmcnt(1)
	v_and_b32_e32 v9, 0xff, v8
	s_waitcnt lgkmcnt(0)
	ds_bpermute_b32 v3, v4, v1
	ds_bpermute_b32 v10, v4, v9
	;; [unrolled: 1-line block ×3, first 2 shown]
	v_cmpx_gt_u32_e64 s0, v11
	s_cbranch_execz .LBB205_228
; %bb.223:
	s_waitcnt lgkmcnt(1)
	v_and_b32_e32 v9, v9, v10
	s_mov_b32 s3, exec_lo
	v_and_b32_e32 v9, 1, v9
	v_cmpx_eq_u32_e32 1, v9
	s_xor_b32 s3, exec_lo, s3
	s_cbranch_execz .LBB205_225
; %bb.224:
	s_waitcnt lgkmcnt(0)
	v_cmp_lt_i64_e32 vcc_lo, v[3:4], v[1:2]
                                        ; implicit-def: $vgpr8
                                        ; implicit-def: $vgpr10
	v_cndmask_b32_e32 v2, v2, v4, vcc_lo
	v_cndmask_b32_e32 v1, v1, v3, vcc_lo
                                        ; implicit-def: $vgpr3_vgpr4
.LBB205_225:
	s_or_saveexec_b32 s3, s3
	v_mov_b32_e32 v9, 1
	s_xor_b32 exec_lo, exec_lo, s3
	s_cbranch_execz .LBB205_227
; %bb.226:
	v_and_b32_e32 v8, 1, v8
	v_cmp_eq_u32_e32 vcc_lo, 1, v8
	v_and_b32_e32 v8, 0xff, v10
	s_waitcnt lgkmcnt(0)
	v_cndmask_b32_e32 v2, v4, v2, vcc_lo
	v_cndmask_b32_e32 v1, v3, v1, vcc_lo
	v_cndmask_b32_e64 v9, v8, 1, vcc_lo
.LBB205_227:
	s_or_b32 exec_lo, exec_lo, s3
.LBB205_228:
	s_or_b32 exec_lo, exec_lo, s2
	v_cmp_gt_u32_e32 vcc_lo, 6, v6
	v_add_nc_u32_e32 v8, 2, v6
	s_mov_b32 s2, exec_lo
	s_waitcnt lgkmcnt(2)
	v_cndmask_b32_e64 v3, 0, 2, vcc_lo
	s_waitcnt lgkmcnt(0)
	v_add_lshl_u32 v4, v3, v5, 2
	ds_bpermute_b32 v5, v4, v9
	ds_bpermute_b32 v3, v4, v1
	;; [unrolled: 1-line block ×3, first 2 shown]
	v_cmpx_gt_u32_e64 s0, v8
	s_cbranch_execz .LBB205_234
; %bb.229:
	s_waitcnt lgkmcnt(2)
	v_and_b32_e32 v8, v9, v5
	s_mov_b32 s3, exec_lo
	v_and_b32_e32 v8, 1, v8
	v_cmpx_eq_u32_e32 1, v8
	s_xor_b32 s3, exec_lo, s3
	s_cbranch_execz .LBB205_231
; %bb.230:
	s_waitcnt lgkmcnt(0)
	v_cmp_lt_i64_e32 vcc_lo, v[3:4], v[1:2]
                                        ; implicit-def: $vgpr9
                                        ; implicit-def: $vgpr5
	v_cndmask_b32_e32 v2, v2, v4, vcc_lo
	v_cndmask_b32_e32 v1, v1, v3, vcc_lo
                                        ; implicit-def: $vgpr3_vgpr4
.LBB205_231:
	s_or_saveexec_b32 s3, s3
	v_mov_b32_e32 v8, 1
	s_xor_b32 exec_lo, exec_lo, s3
	s_cbranch_execz .LBB205_233
; %bb.232:
	v_and_b32_e32 v8, 1, v9
	v_and_b32_e32 v5, 0xff, v5
	v_cmp_eq_u32_e32 vcc_lo, 1, v8
	s_waitcnt lgkmcnt(0)
	v_cndmask_b32_e32 v2, v4, v2, vcc_lo
	v_cndmask_b32_e32 v1, v3, v1, vcc_lo
	v_cndmask_b32_e64 v8, v5, 1, vcc_lo
.LBB205_233:
	s_or_b32 exec_lo, exec_lo, s3
	v_mov_b32_e32 v9, v8
.LBB205_234:
	s_or_b32 exec_lo, exec_lo, s2
	s_waitcnt lgkmcnt(0)
	v_or_b32_e32 v4, 16, v7
	v_add_nc_u32_e32 v6, 4, v6
	ds_bpermute_b32 v5, v4, v9
	ds_bpermute_b32 v3, v4, v1
	;; [unrolled: 1-line block ×3, first 2 shown]
	v_cmp_gt_u32_e32 vcc_lo, s0, v6
	s_and_saveexec_b32 s0, vcc_lo
	s_cbranch_execz .LBB205_240
; %bb.235:
	s_waitcnt lgkmcnt(2)
	v_and_b32_e32 v6, v9, v5
	s_mov_b32 s2, exec_lo
	v_and_b32_e32 v6, 1, v6
	v_cmpx_eq_u32_e32 1, v6
	s_xor_b32 s2, exec_lo, s2
	s_cbranch_execz .LBB205_237
; %bb.236:
	s_waitcnt lgkmcnt(0)
	v_cmp_lt_i64_e32 vcc_lo, v[3:4], v[1:2]
                                        ; implicit-def: $vgpr9
                                        ; implicit-def: $vgpr5
	v_cndmask_b32_e32 v2, v2, v4, vcc_lo
	v_cndmask_b32_e32 v1, v1, v3, vcc_lo
                                        ; implicit-def: $vgpr3_vgpr4
.LBB205_237:
	s_or_saveexec_b32 s2, s2
	v_mov_b32_e32 v6, 1
	s_xor_b32 exec_lo, exec_lo, s2
	s_cbranch_execz .LBB205_239
; %bb.238:
	v_and_b32_e32 v6, 1, v9
	v_cmp_eq_u32_e32 vcc_lo, 1, v6
	s_waitcnt lgkmcnt(0)
	v_cndmask_b32_e32 v2, v4, v2, vcc_lo
	v_cndmask_b32_e32 v1, v3, v1, vcc_lo
	v_cndmask_b32_e64 v6, v5, 1, vcc_lo
.LBB205_239:
	s_or_b32 exec_lo, exec_lo, s2
	v_mov_b32_e32 v9, v6
.LBB205_240:
	s_or_b32 exec_lo, exec_lo, s0
.LBB205_241:
	s_or_b32 exec_lo, exec_lo, s1
.LBB205_242:
                                        ; implicit-def: $vgpr3_vgpr4
                                        ; implicit-def: $vgpr5
	s_mov_b32 s0, exec_lo
	v_cmpx_eq_u32_e32 0, v0
	s_xor_b32 s2, exec_lo, s0
	s_cbranch_execz .LBB205_246
; %bb.243:
	s_waitcnt lgkmcnt(0)
	v_mov_b32_e32 v3, s20
	v_mov_b32_e32 v4, s21
	;; [unrolled: 1-line block ×3, first 2 shown]
	s_cmp_eq_u64 s[14:15], 0
	s_cbranch_scc1 .LBB205_245
; %bb.244:
	v_and_b32_e32 v3, 1, v9
	v_cmp_gt_i64_e32 vcc_lo, s[20:21], v[1:2]
	s_bitcmp1_b32 s24, 0
	s_cselect_b32 s1, -1, 0
	v_cmp_eq_u32_e64 s0, 1, v3
	v_cndmask_b32_e64 v5, v9, 1, s1
	s_and_b32 vcc_lo, s0, vcc_lo
	v_cndmask_b32_e32 v3, s20, v1, vcc_lo
	v_cndmask_b32_e32 v4, s21, v2, vcc_lo
	v_cndmask_b32_e64 v3, v1, v3, s1
	v_cndmask_b32_e64 v4, v2, v4, s1
.LBB205_245:
	s_or_b32 s22, s22, exec_lo
.LBB205_246:
	s_or_b32 exec_lo, exec_lo, s2
	v_mov_b32_e32 v1, s6
	v_mov_b32_e32 v2, s7
	s_branch .LBB205_356
.LBB205_247:
	s_cmp_gt_i32 s25, 1
	s_cbranch_scc0 .LBB205_267
; %bb.248:
	s_cmp_eq_u32 s25, 2
	s_cbranch_scc0 .LBB205_268
; %bb.249:
	s_mov_b32 s7, 0
	s_lshl_b32 s10, s6, 9
	s_mov_b32 s11, s7
	s_lshr_b64 s[26:27], s[14:15], 9
	s_lshl_b64 s[0:1], s[10:11], 1
	s_add_u32 s2, s16, s0
	s_addc_u32 s3, s17, s1
	s_add_u32 s8, s18, s0
	s_addc_u32 s9, s19, s1
	;; [unrolled: 2-line block ×3, first 2 shown]
	s_cmp_lg_u64 s[26:27], s[6:7]
	s_cbranch_scc0 .LBB205_269
; %bb.250:
	v_lshlrev_b32_e32 v1, 1, v0
	s_waitcnt lgkmcnt(1)
	v_add_co_u32 v5, s0, s11, v0
	s_waitcnt lgkmcnt(0)
	v_add_co_ci_u32_e64 v6, null, s23, 0, s0
	s_clause 0x3
	global_load_ushort v2, v1, s[2:3]
	global_load_ushort v3, v1, s[8:9]
	global_load_ushort v4, v1, s[8:9] offset:512
	global_load_ushort v1, v1, s[2:3] offset:512
	v_add_co_u32 v7, vcc_lo, 0x100, v5
	v_add_co_ci_u32_e64 v8, null, 0, v6, vcc_lo
	s_waitcnt vmcnt(2)
	v_cmp_ne_u16_e32 vcc_lo, v2, v3
	s_waitcnt vmcnt(0)
	v_cmp_ne_u16_e64 s0, v1, v4
	v_cndmask_b32_e32 v2, v8, v6, vcc_lo
	v_cndmask_b32_e32 v1, v7, v5, vcc_lo
	s_or_b32 s0, vcc_lo, s0
	v_mbcnt_lo_u32_b32 v8, -1, 0
	v_cndmask_b32_e64 v5, 0, 1, s0
	v_mov_b32_dpp v4, v2 quad_perm:[1,0,3,2] row_mask:0xf bank_mask:0xf
	v_mov_b32_dpp v3, v1 quad_perm:[1,0,3,2] row_mask:0xf bank_mask:0xf
	;; [unrolled: 1-line block ×3, first 2 shown]
	v_cmp_lt_i64_e32 vcc_lo, v[1:2], v[3:4]
	v_and_b32_e32 v6, 1, v6
	s_and_b32 vcc_lo, s0, vcc_lo
	v_cndmask_b32_e32 v3, v3, v1, vcc_lo
	v_cndmask_b32_e32 v4, v4, v2, vcc_lo
	v_cmp_eq_u32_e32 vcc_lo, 1, v6
	v_cndmask_b32_e32 v2, v2, v4, vcc_lo
	v_cndmask_b32_e32 v1, v1, v3, vcc_lo
	v_cndmask_b32_e64 v5, v5, 1, vcc_lo
	v_mov_b32_dpp v4, v2 quad_perm:[2,3,0,1] row_mask:0xf bank_mask:0xf
	v_mov_b32_dpp v3, v1 quad_perm:[2,3,0,1] row_mask:0xf bank_mask:0xf
	v_and_b32_e32 v7, 1, v5
	v_mov_b32_dpp v6, v5 quad_perm:[2,3,0,1] row_mask:0xf bank_mask:0xf
	v_cmp_lt_i64_e32 vcc_lo, v[1:2], v[3:4]
	v_cmp_eq_u32_e64 s0, 1, v7
	v_and_b32_e32 v6, 1, v6
	s_and_b32 vcc_lo, s0, vcc_lo
	v_cmp_eq_u32_e64 s1, 1, v6
	v_cndmask_b32_e32 v3, v3, v1, vcc_lo
	v_cndmask_b32_e32 v4, v4, v2, vcc_lo
	v_cndmask_b32_e64 v5, v5, 1, s1
	v_cndmask_b32_e64 v1, v1, v3, s1
	;; [unrolled: 1-line block ×3, first 2 shown]
	v_and_b32_e32 v7, 1, v5
	v_mov_b32_dpp v3, v1 row_ror:4 row_mask:0xf bank_mask:0xf
	v_mov_b32_dpp v4, v2 row_ror:4 row_mask:0xf bank_mask:0xf
	;; [unrolled: 1-line block ×3, first 2 shown]
	v_cmp_eq_u32_e64 s0, 1, v7
	v_cmp_lt_i64_e32 vcc_lo, v[1:2], v[3:4]
	v_and_b32_e32 v6, 1, v6
	s_and_b32 vcc_lo, s0, vcc_lo
	v_cmp_eq_u32_e64 s1, 1, v6
	v_cndmask_b32_e32 v3, v3, v1, vcc_lo
	v_cndmask_b32_e32 v4, v4, v2, vcc_lo
	v_cndmask_b32_e64 v5, v5, 1, s1
	v_cndmask_b32_e64 v1, v1, v3, s1
	;; [unrolled: 1-line block ×3, first 2 shown]
	v_and_b32_e32 v7, 1, v5
	v_mov_b32_dpp v3, v1 row_ror:8 row_mask:0xf bank_mask:0xf
	v_mov_b32_dpp v4, v2 row_ror:8 row_mask:0xf bank_mask:0xf
	;; [unrolled: 1-line block ×3, first 2 shown]
	v_cmp_eq_u32_e64 s0, 1, v7
	v_cmp_lt_i64_e32 vcc_lo, v[1:2], v[3:4]
	v_and_b32_e32 v6, 1, v6
	s_and_b32 vcc_lo, s0, vcc_lo
	v_cmp_eq_u32_e64 s1, 1, v6
	v_cndmask_b32_e32 v3, v3, v1, vcc_lo
	v_cndmask_b32_e32 v4, v4, v2, vcc_lo
	v_cndmask_b32_e64 v5, v5, 1, s1
	v_cndmask_b32_e64 v1, v1, v3, s1
	;; [unrolled: 1-line block ×3, first 2 shown]
	ds_swizzle_b32 v6, v5 offset:swizzle(BROADCAST,32,15)
	ds_swizzle_b32 v3, v1 offset:swizzle(BROADCAST,32,15)
	;; [unrolled: 1-line block ×3, first 2 shown]
	v_and_b32_e32 v7, 1, v5
	v_cmp_eq_u32_e64 s0, 1, v7
	s_waitcnt lgkmcnt(2)
	v_and_b32_e32 v6, 1, v6
	s_waitcnt lgkmcnt(0)
	v_cmp_lt_i64_e32 vcc_lo, v[1:2], v[3:4]
	v_cmp_eq_u32_e64 s1, 1, v6
	v_mov_b32_e32 v6, 0
	s_and_b32 vcc_lo, s0, vcc_lo
	s_mov_b32 s0, exec_lo
	v_cndmask_b32_e32 v3, v3, v1, vcc_lo
	v_cndmask_b32_e32 v4, v4, v2, vcc_lo
	v_cndmask_b32_e64 v5, v5, 1, s1
	v_cndmask_b32_e64 v1, v1, v3, s1
	;; [unrolled: 1-line block ×3, first 2 shown]
	ds_bpermute_b32 v7, v6, v5 offset:124
	ds_bpermute_b32 v1, v6, v1 offset:124
	ds_bpermute_b32 v2, v6, v2 offset:124
	v_cmpx_eq_u32_e32 0, v8
	s_cbranch_execz .LBB205_252
; %bb.251:
	v_lshrrev_b32_e32 v3, 1, v0
	v_and_b32_e32 v3, 0x70, v3
	s_waitcnt lgkmcnt(2)
	ds_write_b8 v3, v7 offset:128
	s_waitcnt lgkmcnt(1)
	ds_write_b64 v3, v[1:2] offset:136
.LBB205_252:
	s_or_b32 exec_lo, exec_lo, s0
	s_mov_b32 s0, exec_lo
	s_waitcnt lgkmcnt(0)
	s_barrier
	buffer_gl0_inv
	v_cmpx_gt_u32_e32 32, v0
	s_cbranch_execz .LBB205_266
; %bb.253:
	v_and_b32_e32 v7, 7, v8
	v_lshlrev_b32_e32 v1, 4, v7
	v_cmp_ne_u32_e32 vcc_lo, 7, v7
	ds_read_u8 v10, v1 offset:128
	ds_read_b64 v[3:4], v1 offset:136
	v_add_co_ci_u32_e64 v2, null, 0, v8, vcc_lo
	v_lshlrev_b32_e32 v2, 2, v2
	s_waitcnt lgkmcnt(1)
	v_and_b32_e32 v1, 0xff, v10
	s_waitcnt lgkmcnt(0)
	ds_bpermute_b32 v5, v2, v3
	ds_bpermute_b32 v6, v2, v4
	;; [unrolled: 1-line block ×3, first 2 shown]
	s_waitcnt lgkmcnt(0)
	v_and_b32_e32 v1, v10, v11
	v_and_b32_e32 v1, 1, v1
	v_cmp_eq_u32_e32 vcc_lo, 1, v1
                                        ; implicit-def: $vgpr1_vgpr2
	s_and_saveexec_b32 s1, vcc_lo
	s_xor_b32 s1, exec_lo, s1
; %bb.254:
	v_cmp_lt_i64_e32 vcc_lo, v[5:6], v[3:4]
                                        ; implicit-def: $vgpr10
                                        ; implicit-def: $vgpr11
	v_cndmask_b32_e32 v2, v4, v6, vcc_lo
	v_cndmask_b32_e32 v1, v3, v5, vcc_lo
                                        ; implicit-def: $vgpr5_vgpr6
                                        ; implicit-def: $vgpr3_vgpr4
; %bb.255:
	s_or_saveexec_b32 s1, s1
	v_mov_b32_e32 v9, 1
	s_xor_b32 exec_lo, exec_lo, s1
; %bb.256:
	v_and_b32_e32 v1, 1, v10
	v_and_b32_e32 v9, 0xff, v11
	v_cmp_eq_u32_e32 vcc_lo, 1, v1
	v_cndmask_b32_e32 v2, v6, v4, vcc_lo
	v_cndmask_b32_e32 v1, v5, v3, vcc_lo
	v_cndmask_b32_e64 v9, v9, 1, vcc_lo
; %bb.257:
	s_or_b32 exec_lo, exec_lo, s1
	v_cmp_gt_u32_e32 vcc_lo, 6, v7
	v_cndmask_b32_e64 v3, 0, 2, vcc_lo
	v_add_lshl_u32 v3, v3, v8, 2
	ds_bpermute_b32 v7, v3, v9
	ds_bpermute_b32 v5, v3, v1
	;; [unrolled: 1-line block ×3, first 2 shown]
	s_waitcnt lgkmcnt(2)
	v_and_b32_e32 v3, v9, v7
	v_and_b32_e32 v3, 1, v3
	v_cmp_eq_u32_e32 vcc_lo, 1, v3
                                        ; implicit-def: $vgpr3_vgpr4
	s_and_saveexec_b32 s1, vcc_lo
	s_xor_b32 s1, exec_lo, s1
	s_cbranch_execz .LBB205_259
; %bb.258:
	s_waitcnt lgkmcnt(0)
	v_cmp_lt_i64_e32 vcc_lo, v[5:6], v[1:2]
                                        ; implicit-def: $vgpr9
                                        ; implicit-def: $vgpr7
	v_cndmask_b32_e32 v4, v2, v6, vcc_lo
	v_cndmask_b32_e32 v3, v1, v5, vcc_lo
                                        ; implicit-def: $vgpr5_vgpr6
                                        ; implicit-def: $vgpr1_vgpr2
.LBB205_259:
	s_or_saveexec_b32 s1, s1
	v_lshlrev_b32_e32 v10, 2, v8
	v_mov_b32_e32 v8, 1
	s_xor_b32 exec_lo, exec_lo, s1
	s_cbranch_execz .LBB205_261
; %bb.260:
	v_and_b32_e32 v3, 1, v9
	v_and_b32_e32 v7, 0xff, v7
	v_cmp_eq_u32_e32 vcc_lo, 1, v3
	s_waitcnt lgkmcnt(0)
	v_cndmask_b32_e32 v4, v6, v2, vcc_lo
	v_cndmask_b32_e32 v3, v5, v1, vcc_lo
	v_cndmask_b32_e64 v8, v7, 1, vcc_lo
.LBB205_261:
	s_or_b32 exec_lo, exec_lo, s1
	v_or_b32_e32 v1, 16, v10
	ds_bpermute_b32 v9, v1, v8
	s_waitcnt lgkmcnt(2)
	ds_bpermute_b32 v5, v1, v3
	s_waitcnt lgkmcnt(2)
	;; [unrolled: 2-line block ×3, first 2 shown]
	v_and_b32_e32 v1, v8, v9
	v_and_b32_e32 v1, 1, v1
	v_cmp_eq_u32_e32 vcc_lo, 1, v1
                                        ; implicit-def: $vgpr1_vgpr2
	s_and_saveexec_b32 s1, vcc_lo
	s_xor_b32 s1, exec_lo, s1
	s_cbranch_execz .LBB205_263
; %bb.262:
	s_waitcnt lgkmcnt(0)
	v_cmp_lt_i64_e32 vcc_lo, v[5:6], v[3:4]
                                        ; implicit-def: $vgpr8
                                        ; implicit-def: $vgpr9
	v_cndmask_b32_e32 v2, v4, v6, vcc_lo
	v_cndmask_b32_e32 v1, v3, v5, vcc_lo
                                        ; implicit-def: $vgpr5_vgpr6
                                        ; implicit-def: $vgpr3_vgpr4
.LBB205_263:
	s_or_saveexec_b32 s1, s1
	v_mov_b32_e32 v7, 1
	s_xor_b32 exec_lo, exec_lo, s1
	s_cbranch_execz .LBB205_265
; %bb.264:
	v_and_b32_e32 v1, 1, v8
	v_cmp_eq_u32_e32 vcc_lo, 1, v1
	s_waitcnt lgkmcnt(0)
	v_cndmask_b32_e32 v2, v6, v4, vcc_lo
	v_cndmask_b32_e32 v1, v5, v3, vcc_lo
	v_cndmask_b32_e64 v7, v9, 1, vcc_lo
.LBB205_265:
	s_or_b32 exec_lo, exec_lo, s1
.LBB205_266:
	s_or_b32 exec_lo, exec_lo, s0
	s_branch .LBB205_327
.LBB205_267:
                                        ; implicit-def: $vgpr3_vgpr4
                                        ; implicit-def: $vgpr5
                                        ; implicit-def: $vgpr1_vgpr2
	s_cbranch_execnz .LBB205_332
	s_branch .LBB205_356
.LBB205_268:
                                        ; implicit-def: $vgpr3_vgpr4
                                        ; implicit-def: $vgpr5
                                        ; implicit-def: $vgpr1_vgpr2
	s_branch .LBB205_356
.LBB205_269:
                                        ; implicit-def: $vgpr1_vgpr2
                                        ; implicit-def: $vgpr7
	s_cbranch_execz .LBB205_327
; %bb.270:
	s_waitcnt lgkmcnt(0)
	v_mov_b32_e32 v3, 0
	v_mov_b32_e32 v1, 0
	;; [unrolled: 1-line block ×6, first 2 shown]
	s_sub_i32 s10, s14, s10
	s_mov_b32 s0, exec_lo
	v_cmpx_gt_u32_e64 s10, v0
	s_cbranch_execz .LBB205_272
; %bb.271:
	v_lshlrev_b32_e32 v1, 1, v0
	s_clause 0x1
	global_load_ushort v6, v1, s[2:3]
	global_load_ushort v7, v1, s[8:9]
	v_add_co_u32 v1, s1, s11, v0
	v_add_co_ci_u32_e64 v2, null, s23, 0, s1
	s_waitcnt vmcnt(0)
	v_cmp_ne_u16_e32 vcc_lo, v6, v7
	v_cndmask_b32_e64 v6, 0, 1, vcc_lo
.LBB205_272:
	s_or_b32 exec_lo, exec_lo, s0
	v_or_b32_e32 v7, 0x100, v0
	v_cmp_gt_u32_e32 vcc_lo, s10, v7
	s_and_saveexec_b32 s1, vcc_lo
	s_cbranch_execz .LBB205_274
; %bb.273:
	v_lshlrev_b32_e32 v3, 1, v0
	s_clause 0x1
	global_load_ushort v5, v3, s[2:3] offset:512
	global_load_ushort v8, v3, s[8:9] offset:512
	v_add_co_u32 v3, s0, s11, v7
	v_add_co_ci_u32_e64 v4, null, s23, 0, s0
	s_waitcnt vmcnt(0)
	v_cmp_ne_u16_e64 s0, v5, v8
	v_cndmask_b32_e64 v5, 0, 1, s0
.LBB205_274:
	s_or_b32 exec_lo, exec_lo, s1
	v_and_b32_e32 v7, 1, v5
	v_cmp_lt_i64_e64 s0, v[3:4], v[1:2]
	v_and_b32_e32 v8, 0xffff, v5
	v_mbcnt_lo_u32_b32 v5, -1, 0
	v_cmp_eq_u32_e64 s1, 1, v7
	v_and_b32_e32 v7, 0xffff, v6
	v_and_b32_e32 v6, 1, v6
	s_and_b32 s0, s1, s0
	v_cmp_ne_u32_e64 s1, 31, v5
	v_cndmask_b32_e64 v9, v2, v4, s0
	v_cndmask_b32_e64 v10, v1, v3, s0
	v_cmp_eq_u32_e64 s0, 1, v6
	v_cndmask_b32_e64 v6, v8, 1, s0
	v_add_co_ci_u32_e64 v8, null, 0, v5, s1
	v_cndmask_b32_e64 v3, v3, v10, s0
	v_cndmask_b32_e64 v4, v4, v9, s0
	v_cndmask_b32_e32 v7, v7, v6, vcc_lo
	v_lshlrev_b32_e32 v6, 2, v8
	s_min_u32 s0, s10, 0x100
	v_cndmask_b32_e32 v1, v1, v3, vcc_lo
	v_cndmask_b32_e32 v2, v2, v4, vcc_lo
	v_add_nc_u32_e32 v9, 1, v5
	ds_bpermute_b32 v8, v6, v7
	s_mov_b32 s1, exec_lo
	ds_bpermute_b32 v3, v6, v1
	ds_bpermute_b32 v4, v6, v2
	v_and_b32_e32 v6, 0xe0, v0
	v_sub_nc_u32_e64 v6, s0, v6 clamp
	v_cmpx_lt_u32_e64 v9, v6
	s_cbranch_execz .LBB205_280
; %bb.275:
	s_waitcnt lgkmcnt(2)
	v_and_b32_e32 v9, v7, v8
	s_mov_b32 s2, exec_lo
	v_cmpx_ne_u32_e32 0, v9
	s_xor_b32 s2, exec_lo, s2
	s_cbranch_execz .LBB205_277
; %bb.276:
	s_waitcnt lgkmcnt(0)
	v_cmp_lt_i64_e32 vcc_lo, v[3:4], v[1:2]
                                        ; implicit-def: $vgpr7
                                        ; implicit-def: $vgpr8
	v_cndmask_b32_e32 v2, v2, v4, vcc_lo
	v_cndmask_b32_e32 v1, v1, v3, vcc_lo
                                        ; implicit-def: $vgpr3_vgpr4
.LBB205_277:
	s_or_saveexec_b32 s2, s2
	v_mov_b32_e32 v9, 1
	s_xor_b32 exec_lo, exec_lo, s2
	s_cbranch_execz .LBB205_279
; %bb.278:
	v_and_b32_e32 v7, 1, v7
	v_cmp_eq_u32_e32 vcc_lo, 1, v7
	v_and_b32_e32 v7, 0xff, v8
	s_waitcnt lgkmcnt(0)
	v_cndmask_b32_e32 v2, v4, v2, vcc_lo
	v_cndmask_b32_e32 v1, v3, v1, vcc_lo
	v_cndmask_b32_e64 v9, v7, 1, vcc_lo
.LBB205_279:
	s_or_b32 exec_lo, exec_lo, s2
	v_mov_b32_e32 v7, v9
.LBB205_280:
	s_or_b32 exec_lo, exec_lo, s1
	v_cmp_gt_u32_e32 vcc_lo, 30, v5
	v_add_nc_u32_e32 v9, 2, v5
	s_mov_b32 s1, exec_lo
	s_waitcnt lgkmcnt(1)
	v_cndmask_b32_e64 v3, 0, 2, vcc_lo
	s_waitcnt lgkmcnt(0)
	v_add_lshl_u32 v4, v3, v5, 2
	ds_bpermute_b32 v8, v4, v7
	ds_bpermute_b32 v3, v4, v1
	ds_bpermute_b32 v4, v4, v2
	v_cmpx_lt_u32_e64 v9, v6
	s_cbranch_execz .LBB205_286
; %bb.281:
	s_waitcnt lgkmcnt(2)
	v_and_b32_e32 v9, v7, v8
	s_mov_b32 s2, exec_lo
	v_and_b32_e32 v9, 1, v9
	v_cmpx_eq_u32_e32 1, v9
	s_xor_b32 s2, exec_lo, s2
	s_cbranch_execz .LBB205_283
; %bb.282:
	s_waitcnt lgkmcnt(0)
	v_cmp_lt_i64_e32 vcc_lo, v[3:4], v[1:2]
                                        ; implicit-def: $vgpr7
                                        ; implicit-def: $vgpr8
	v_cndmask_b32_e32 v2, v2, v4, vcc_lo
	v_cndmask_b32_e32 v1, v1, v3, vcc_lo
                                        ; implicit-def: $vgpr3_vgpr4
.LBB205_283:
	s_or_saveexec_b32 s2, s2
	v_mov_b32_e32 v9, 1
	s_xor_b32 exec_lo, exec_lo, s2
	s_cbranch_execz .LBB205_285
; %bb.284:
	v_and_b32_e32 v7, 1, v7
	v_cmp_eq_u32_e32 vcc_lo, 1, v7
	v_and_b32_e32 v7, 0xff, v8
	s_waitcnt lgkmcnt(0)
	v_cndmask_b32_e32 v2, v4, v2, vcc_lo
	v_cndmask_b32_e32 v1, v3, v1, vcc_lo
	v_cndmask_b32_e64 v9, v7, 1, vcc_lo
.LBB205_285:
	s_or_b32 exec_lo, exec_lo, s2
	v_mov_b32_e32 v7, v9
.LBB205_286:
	s_or_b32 exec_lo, exec_lo, s1
	v_cmp_gt_u32_e32 vcc_lo, 28, v5
	v_add_nc_u32_e32 v9, 4, v5
	s_mov_b32 s1, exec_lo
	s_waitcnt lgkmcnt(1)
	v_cndmask_b32_e64 v3, 0, 4, vcc_lo
	s_waitcnt lgkmcnt(0)
	v_add_lshl_u32 v4, v3, v5, 2
	ds_bpermute_b32 v8, v4, v7
	ds_bpermute_b32 v3, v4, v1
	ds_bpermute_b32 v4, v4, v2
	v_cmpx_lt_u32_e64 v9, v6
	s_cbranch_execz .LBB205_292
; %bb.287:
	s_waitcnt lgkmcnt(2)
	v_and_b32_e32 v9, v7, v8
	s_mov_b32 s2, exec_lo
	v_and_b32_e32 v9, 1, v9
	v_cmpx_eq_u32_e32 1, v9
	s_xor_b32 s2, exec_lo, s2
	s_cbranch_execz .LBB205_289
; %bb.288:
	s_waitcnt lgkmcnt(0)
	v_cmp_lt_i64_e32 vcc_lo, v[3:4], v[1:2]
                                        ; implicit-def: $vgpr7
                                        ; implicit-def: $vgpr8
	v_cndmask_b32_e32 v2, v2, v4, vcc_lo
	v_cndmask_b32_e32 v1, v1, v3, vcc_lo
                                        ; implicit-def: $vgpr3_vgpr4
.LBB205_289:
	s_or_saveexec_b32 s2, s2
	v_mov_b32_e32 v9, 1
	s_xor_b32 exec_lo, exec_lo, s2
	s_cbranch_execz .LBB205_291
; %bb.290:
	v_and_b32_e32 v7, 1, v7
	v_cmp_eq_u32_e32 vcc_lo, 1, v7
	v_and_b32_e32 v7, 0xff, v8
	s_waitcnt lgkmcnt(0)
	v_cndmask_b32_e32 v2, v4, v2, vcc_lo
	v_cndmask_b32_e32 v1, v3, v1, vcc_lo
	v_cndmask_b32_e64 v9, v7, 1, vcc_lo
.LBB205_291:
	s_or_b32 exec_lo, exec_lo, s2
	v_mov_b32_e32 v7, v9
.LBB205_292:
	;; [unrolled: 46-line block ×3, first 2 shown]
	s_or_b32 exec_lo, exec_lo, s1
	s_waitcnt lgkmcnt(2)
	v_lshlrev_b32_e32 v8, 2, v5
	v_add_nc_u32_e32 v10, 16, v5
	s_waitcnt lgkmcnt(0)
	v_or_b32_e32 v4, 64, v8
	v_cmp_lt_u32_e32 vcc_lo, v10, v6
	v_mov_b32_e32 v6, v7
	ds_bpermute_b32 v9, v4, v7
	ds_bpermute_b32 v3, v4, v1
	ds_bpermute_b32 v4, v4, v2
	s_and_saveexec_b32 s1, vcc_lo
	s_cbranch_execz .LBB205_304
; %bb.299:
	s_waitcnt lgkmcnt(2)
	v_and_b32_e32 v6, v7, v9
	s_mov_b32 s2, exec_lo
	v_and_b32_e32 v6, 1, v6
	v_cmpx_eq_u32_e32 1, v6
	s_xor_b32 s2, exec_lo, s2
	s_cbranch_execz .LBB205_301
; %bb.300:
	s_waitcnt lgkmcnt(0)
	v_cmp_lt_i64_e32 vcc_lo, v[3:4], v[1:2]
                                        ; implicit-def: $vgpr7
                                        ; implicit-def: $vgpr9
	v_cndmask_b32_e32 v2, v2, v4, vcc_lo
	v_cndmask_b32_e32 v1, v1, v3, vcc_lo
                                        ; implicit-def: $vgpr3_vgpr4
.LBB205_301:
	s_or_saveexec_b32 s2, s2
	v_mov_b32_e32 v6, 1
	s_xor_b32 exec_lo, exec_lo, s2
	s_cbranch_execz .LBB205_303
; %bb.302:
	v_and_b32_e32 v6, 1, v7
	v_cmp_eq_u32_e32 vcc_lo, 1, v6
	v_cndmask_b32_e64 v6, v9, 1, vcc_lo
	s_waitcnt lgkmcnt(0)
	v_cndmask_b32_e32 v2, v4, v2, vcc_lo
	v_cndmask_b32_e32 v1, v3, v1, vcc_lo
.LBB205_303:
	s_or_b32 exec_lo, exec_lo, s2
	v_and_b32_e32 v7, 0xff, v6
.LBB205_304:
	s_or_b32 exec_lo, exec_lo, s1
	s_mov_b32 s1, exec_lo
	v_cmpx_eq_u32_e32 0, v5
	s_cbranch_execz .LBB205_306
; %bb.305:
	s_waitcnt lgkmcnt(1)
	v_lshrrev_b32_e32 v3, 1, v0
	v_and_b32_e32 v3, 0x70, v3
	ds_write_b8 v3, v6 offset:512
	ds_write_b64 v3, v[1:2] offset:520
.LBB205_306:
	s_or_b32 exec_lo, exec_lo, s1
	s_mov_b32 s1, exec_lo
	s_waitcnt lgkmcnt(0)
	s_barrier
	buffer_gl0_inv
	v_cmpx_gt_u32_e32 8, v0
	s_cbranch_execz .LBB205_326
; %bb.307:
	v_lshlrev_b32_e32 v1, 4, v5
	v_and_b32_e32 v6, 7, v5
	s_add_i32 s0, s0, 31
	s_mov_b32 s2, exec_lo
	s_lshr_b32 s0, s0, 5
	ds_read_u8 v9, v1 offset:512
	ds_read_b64 v[1:2], v1 offset:520
	v_cmp_ne_u32_e32 vcc_lo, 7, v6
	v_add_nc_u32_e32 v11, 1, v6
	v_add_co_ci_u32_e64 v3, null, 0, v5, vcc_lo
	v_lshlrev_b32_e32 v4, 2, v3
	s_waitcnt lgkmcnt(1)
	v_and_b32_e32 v7, 0xff, v9
	s_waitcnt lgkmcnt(0)
	ds_bpermute_b32 v3, v4, v1
	ds_bpermute_b32 v10, v4, v7
	;; [unrolled: 1-line block ×3, first 2 shown]
	v_cmpx_gt_u32_e64 s0, v11
	s_cbranch_execz .LBB205_313
; %bb.308:
	s_waitcnt lgkmcnt(1)
	v_and_b32_e32 v7, v7, v10
	s_mov_b32 s3, exec_lo
	v_and_b32_e32 v7, 1, v7
	v_cmpx_eq_u32_e32 1, v7
	s_xor_b32 s3, exec_lo, s3
	s_cbranch_execz .LBB205_310
; %bb.309:
	s_waitcnt lgkmcnt(0)
	v_cmp_lt_i64_e32 vcc_lo, v[3:4], v[1:2]
                                        ; implicit-def: $vgpr9
                                        ; implicit-def: $vgpr10
	v_cndmask_b32_e32 v2, v2, v4, vcc_lo
	v_cndmask_b32_e32 v1, v1, v3, vcc_lo
                                        ; implicit-def: $vgpr3_vgpr4
.LBB205_310:
	s_or_saveexec_b32 s3, s3
	v_mov_b32_e32 v7, 1
	s_xor_b32 exec_lo, exec_lo, s3
	s_cbranch_execz .LBB205_312
; %bb.311:
	v_and_b32_e32 v7, 1, v9
	v_cmp_eq_u32_e32 vcc_lo, 1, v7
	v_and_b32_e32 v7, 0xff, v10
	s_waitcnt lgkmcnt(0)
	v_cndmask_b32_e32 v2, v4, v2, vcc_lo
	v_cndmask_b32_e32 v1, v3, v1, vcc_lo
	v_cndmask_b32_e64 v7, v7, 1, vcc_lo
.LBB205_312:
	s_or_b32 exec_lo, exec_lo, s3
.LBB205_313:
	s_or_b32 exec_lo, exec_lo, s2
	v_cmp_gt_u32_e32 vcc_lo, 6, v6
	v_add_nc_u32_e32 v9, 2, v6
	s_mov_b32 s2, exec_lo
	s_waitcnt lgkmcnt(2)
	v_cndmask_b32_e64 v3, 0, 2, vcc_lo
	s_waitcnt lgkmcnt(0)
	v_add_lshl_u32 v4, v3, v5, 2
	ds_bpermute_b32 v5, v4, v7
	ds_bpermute_b32 v3, v4, v1
	;; [unrolled: 1-line block ×3, first 2 shown]
	v_cmpx_gt_u32_e64 s0, v9
	s_cbranch_execz .LBB205_319
; %bb.314:
	s_waitcnt lgkmcnt(2)
	v_and_b32_e32 v9, v7, v5
	s_mov_b32 s3, exec_lo
	v_and_b32_e32 v9, 1, v9
	v_cmpx_eq_u32_e32 1, v9
	s_xor_b32 s3, exec_lo, s3
	s_cbranch_execz .LBB205_316
; %bb.315:
	s_waitcnt lgkmcnt(0)
	v_cmp_lt_i64_e32 vcc_lo, v[3:4], v[1:2]
                                        ; implicit-def: $vgpr7
                                        ; implicit-def: $vgpr5
	v_cndmask_b32_e32 v2, v2, v4, vcc_lo
	v_cndmask_b32_e32 v1, v1, v3, vcc_lo
                                        ; implicit-def: $vgpr3_vgpr4
.LBB205_316:
	s_or_saveexec_b32 s3, s3
	v_mov_b32_e32 v9, 1
	s_xor_b32 exec_lo, exec_lo, s3
	s_cbranch_execz .LBB205_318
; %bb.317:
	v_and_b32_e32 v7, 1, v7
	v_and_b32_e32 v5, 0xff, v5
	v_cmp_eq_u32_e32 vcc_lo, 1, v7
	s_waitcnt lgkmcnt(0)
	v_cndmask_b32_e32 v2, v4, v2, vcc_lo
	v_cndmask_b32_e32 v1, v3, v1, vcc_lo
	v_cndmask_b32_e64 v9, v5, 1, vcc_lo
.LBB205_318:
	s_or_b32 exec_lo, exec_lo, s3
	v_mov_b32_e32 v7, v9
.LBB205_319:
	s_or_b32 exec_lo, exec_lo, s2
	s_waitcnt lgkmcnt(0)
	v_or_b32_e32 v4, 16, v8
	v_add_nc_u32_e32 v6, 4, v6
	ds_bpermute_b32 v5, v4, v7
	ds_bpermute_b32 v3, v4, v1
	;; [unrolled: 1-line block ×3, first 2 shown]
	v_cmp_gt_u32_e32 vcc_lo, s0, v6
	s_and_saveexec_b32 s0, vcc_lo
	s_cbranch_execz .LBB205_325
; %bb.320:
	s_waitcnt lgkmcnt(2)
	v_and_b32_e32 v6, v7, v5
	s_mov_b32 s2, exec_lo
	v_and_b32_e32 v6, 1, v6
	v_cmpx_eq_u32_e32 1, v6
	s_xor_b32 s2, exec_lo, s2
	s_cbranch_execz .LBB205_322
; %bb.321:
	s_waitcnt lgkmcnt(0)
	v_cmp_lt_i64_e32 vcc_lo, v[3:4], v[1:2]
                                        ; implicit-def: $vgpr7
                                        ; implicit-def: $vgpr5
	v_cndmask_b32_e32 v2, v2, v4, vcc_lo
	v_cndmask_b32_e32 v1, v1, v3, vcc_lo
                                        ; implicit-def: $vgpr3_vgpr4
.LBB205_322:
	s_or_saveexec_b32 s2, s2
	v_mov_b32_e32 v6, 1
	s_xor_b32 exec_lo, exec_lo, s2
	s_cbranch_execz .LBB205_324
; %bb.323:
	v_and_b32_e32 v6, 1, v7
	v_cmp_eq_u32_e32 vcc_lo, 1, v6
	s_waitcnt lgkmcnt(0)
	v_cndmask_b32_e32 v2, v4, v2, vcc_lo
	v_cndmask_b32_e32 v1, v3, v1, vcc_lo
	v_cndmask_b32_e64 v6, v5, 1, vcc_lo
.LBB205_324:
	s_or_b32 exec_lo, exec_lo, s2
	v_mov_b32_e32 v7, v6
.LBB205_325:
	s_or_b32 exec_lo, exec_lo, s0
.LBB205_326:
	s_or_b32 exec_lo, exec_lo, s1
.LBB205_327:
                                        ; implicit-def: $vgpr3_vgpr4
                                        ; implicit-def: $vgpr5
	s_mov_b32 s0, exec_lo
	v_cmpx_eq_u32_e32 0, v0
	s_xor_b32 s2, exec_lo, s0
	s_cbranch_execz .LBB205_331
; %bb.328:
	s_waitcnt lgkmcnt(0)
	v_mov_b32_e32 v3, s20
	v_mov_b32_e32 v4, s21
	;; [unrolled: 1-line block ×3, first 2 shown]
	s_cmp_eq_u64 s[14:15], 0
	s_cbranch_scc1 .LBB205_330
; %bb.329:
	v_and_b32_e32 v3, 1, v7
	v_cmp_gt_i64_e32 vcc_lo, s[20:21], v[1:2]
	s_bitcmp1_b32 s24, 0
	s_cselect_b32 s1, -1, 0
	v_cmp_eq_u32_e64 s0, 1, v3
	v_cndmask_b32_e64 v5, v7, 1, s1
	s_and_b32 vcc_lo, s0, vcc_lo
	v_cndmask_b32_e32 v3, s20, v1, vcc_lo
	v_cndmask_b32_e32 v4, s21, v2, vcc_lo
	v_cndmask_b32_e64 v3, v1, v3, s1
	v_cndmask_b32_e64 v4, v2, v4, s1
.LBB205_330:
	s_or_b32 s22, s22, exec_lo
.LBB205_331:
	s_or_b32 exec_lo, exec_lo, s2
	v_mov_b32_e32 v1, s6
	v_mov_b32_e32 v2, s7
	s_branch .LBB205_356
.LBB205_332:
	s_cmp_eq_u32 s25, 1
	s_cbranch_scc0 .LBB205_355
; %bb.333:
	s_mov_b32 s3, 0
	s_lshr_b64 s[0:1], s[14:15], 8
	s_mov_b32 s7, s3
	s_lshl_b32 s2, s6, 8
	s_cmp_lg_u64 s[0:1], s[6:7]
	s_cbranch_scc0 .LBB205_359
; %bb.334:
	s_lshl_b64 s[0:1], s[2:3], 1
	v_lshlrev_b32_e32 v1, 1, v0
	s_add_u32 s8, s16, s0
	s_addc_u32 s9, s17, s1
	s_add_u32 s0, s18, s0
	s_addc_u32 s1, s19, s1
	s_waitcnt lgkmcnt(0)
	s_clause 0x1
	global_load_ushort v4, v1, s[8:9]
	global_load_ushort v5, v1, s[0:1]
	s_add_u32 s0, s12, s2
	s_addc_u32 s1, s13, 0
	v_add_co_u32 v1, s0, s0, v0
	v_add_co_ci_u32_e64 v2, null, s1, 0, s0
                                        ; implicit-def: $vgpr7
	v_mov_b32_dpp v3, v1 quad_perm:[1,0,3,2] row_mask:0xf bank_mask:0xf
	s_waitcnt vmcnt(0)
	v_cmp_ne_u16_e32 vcc_lo, v4, v5
	v_mov_b32_dpp v4, v2 quad_perm:[1,0,3,2] row_mask:0xf bank_mask:0xf
	v_cndmask_b32_e64 v5, 0, 1, vcc_lo
	v_cmp_lt_i64_e64 s0, v[1:2], v[3:4]
	v_mov_b32_dpp v5, v5 quad_perm:[1,0,3,2] row_mask:0xf bank_mask:0xf
	s_and_b32 s0, vcc_lo, s0
	v_cndmask_b32_e64 v3, v3, v1, s0
	v_and_b32_e32 v5, 1, v5
	v_cndmask_b32_e64 v4, v4, v2, s0
	v_cmp_eq_u32_e64 s0, 1, v5
	s_or_b32 s1, s0, vcc_lo
	v_cndmask_b32_e64 v4, v2, v4, s0
	v_cndmask_b32_e64 v2, 0, 1, s1
	;; [unrolled: 1-line block ×3, first 2 shown]
	v_mov_b32_dpp v6, v4 quad_perm:[2,3,0,1] row_mask:0xf bank_mask:0xf
	v_mov_b32_dpp v2, v2 quad_perm:[2,3,0,1] row_mask:0xf bank_mask:0xf
	;; [unrolled: 1-line block ×3, first 2 shown]
	v_and_b32_e32 v2, 1, v2
	v_cmp_eq_u32_e32 vcc_lo, 1, v2
                                        ; implicit-def: $vgpr1_vgpr2
	s_and_b32 s0, vcc_lo, s1
	s_xor_b32 s0, s0, -1
	s_and_saveexec_b32 s8, s0
	s_xor_b32 s0, exec_lo, s8
; %bb.335:
	s_or_b32 s1, vcc_lo, s1
	v_cndmask_b32_e32 v2, v4, v6, vcc_lo
	v_cndmask_b32_e32 v1, v3, v5, vcc_lo
	v_cndmask_b32_e64 v7, 0, 1, s1
                                        ; implicit-def: $vgpr3_vgpr4
                                        ; implicit-def: $vgpr5_vgpr6
; %bb.336:
	s_andn2_saveexec_b32 s0, s0
; %bb.337:
	v_cmp_lt_i64_e32 vcc_lo, v[3:4], v[5:6]
	v_mov_b32_e32 v7, 1
	v_cndmask_b32_e32 v2, v6, v4, vcc_lo
	v_cndmask_b32_e32 v1, v5, v3, vcc_lo
; %bb.338:
	s_or_b32 exec_lo, exec_lo, s0
	v_mov_b32_dpp v3, v1 row_ror:4 row_mask:0xf bank_mask:0xf
	v_mov_b32_dpp v4, v2 row_ror:4 row_mask:0xf bank_mask:0xf
	v_and_b32_e32 v6, 1, v7
	v_mov_b32_dpp v5, v7 row_ror:4 row_mask:0xf bank_mask:0xf
	v_mbcnt_lo_u32_b32 v8, -1, 0
	v_cmp_lt_i64_e32 vcc_lo, v[1:2], v[3:4]
	v_cmp_eq_u32_e64 s0, 1, v6
	v_and_b32_e32 v5, 1, v5
	s_and_b32 vcc_lo, s0, vcc_lo
	v_cmp_eq_u32_e64 s1, 1, v5
	v_cndmask_b32_e32 v3, v3, v1, vcc_lo
	v_cndmask_b32_e32 v4, v4, v2, vcc_lo
	v_cndmask_b32_e64 v5, v7, 1, s1
	v_cndmask_b32_e64 v1, v1, v3, s1
	;; [unrolled: 1-line block ×3, first 2 shown]
	v_and_b32_e32 v7, 1, v5
	v_mov_b32_dpp v3, v1 row_ror:8 row_mask:0xf bank_mask:0xf
	v_mov_b32_dpp v4, v2 row_ror:8 row_mask:0xf bank_mask:0xf
	;; [unrolled: 1-line block ×3, first 2 shown]
	v_cmp_eq_u32_e64 s0, 1, v7
	v_cmp_lt_i64_e32 vcc_lo, v[1:2], v[3:4]
	v_and_b32_e32 v6, 1, v6
	v_cmp_eq_u32_e64 s1, 1, v6
	s_and_b32 vcc_lo, s0, vcc_lo
	v_cndmask_b32_e32 v3, v3, v1, vcc_lo
	v_cndmask_b32_e32 v4, v4, v2, vcc_lo
	v_cndmask_b32_e64 v5, v5, 1, s1
	v_cndmask_b32_e64 v1, v1, v3, s1
	;; [unrolled: 1-line block ×3, first 2 shown]
	ds_swizzle_b32 v6, v5 offset:swizzle(BROADCAST,32,15)
	v_and_b32_e32 v7, 1, v5
	ds_swizzle_b32 v3, v1 offset:swizzle(BROADCAST,32,15)
	ds_swizzle_b32 v4, v2 offset:swizzle(BROADCAST,32,15)
	v_cmp_eq_u32_e64 s0, 1, v7
	s_waitcnt lgkmcnt(2)
	v_and_b32_e32 v6, 1, v6
	s_waitcnt lgkmcnt(0)
	v_cmp_lt_i64_e32 vcc_lo, v[1:2], v[3:4]
	v_cmp_eq_u32_e64 s1, 1, v6
	v_mov_b32_e32 v6, 0
	s_and_b32 vcc_lo, s0, vcc_lo
	v_cndmask_b32_e64 v5, v5, 1, s1
	v_cndmask_b32_e32 v3, v3, v1, vcc_lo
	v_cndmask_b32_e32 v4, v4, v2, vcc_lo
	s_mov_b32 s0, exec_lo
	ds_bpermute_b32 v7, v6, v5 offset:124
	v_cndmask_b32_e64 v1, v1, v3, s1
	v_cndmask_b32_e64 v2, v2, v4, s1
	ds_bpermute_b32 v1, v6, v1 offset:124
	ds_bpermute_b32 v2, v6, v2 offset:124
	v_cmpx_eq_u32_e32 0, v8
	s_cbranch_execz .LBB205_340
; %bb.339:
	v_lshrrev_b32_e32 v3, 1, v0
	v_and_b32_e32 v3, 0x70, v3
	s_waitcnt lgkmcnt(2)
	ds_write_b8 v3, v7
	s_waitcnt lgkmcnt(1)
	ds_write_b64 v3, v[1:2] offset:8
.LBB205_340:
	s_or_b32 exec_lo, exec_lo, s0
	s_mov_b32 s0, exec_lo
	s_waitcnt lgkmcnt(0)
	s_barrier
	buffer_gl0_inv
	v_cmpx_gt_u32_e32 32, v0
	s_cbranch_execz .LBB205_354
; %bb.341:
	v_and_b32_e32 v7, 7, v8
	v_lshlrev_b32_e32 v1, 4, v7
	v_cmp_ne_u32_e32 vcc_lo, 7, v7
	ds_read_u8 v10, v1
	ds_read_b64 v[3:4], v1 offset:8
	v_add_co_ci_u32_e64 v2, null, 0, v8, vcc_lo
	v_lshlrev_b32_e32 v2, 2, v2
	s_waitcnt lgkmcnt(1)
	v_and_b32_e32 v1, 0xff, v10
	s_waitcnt lgkmcnt(0)
	ds_bpermute_b32 v5, v2, v3
	ds_bpermute_b32 v6, v2, v4
	;; [unrolled: 1-line block ×3, first 2 shown]
	s_waitcnt lgkmcnt(0)
	v_and_b32_e32 v1, v10, v11
	v_and_b32_e32 v1, 1, v1
	v_cmp_eq_u32_e32 vcc_lo, 1, v1
                                        ; implicit-def: $vgpr1_vgpr2
	s_and_saveexec_b32 s1, vcc_lo
	s_xor_b32 s1, exec_lo, s1
; %bb.342:
	v_cmp_lt_i64_e32 vcc_lo, v[5:6], v[3:4]
                                        ; implicit-def: $vgpr10
                                        ; implicit-def: $vgpr11
	v_cndmask_b32_e32 v2, v4, v6, vcc_lo
	v_cndmask_b32_e32 v1, v3, v5, vcc_lo
                                        ; implicit-def: $vgpr5_vgpr6
                                        ; implicit-def: $vgpr3_vgpr4
; %bb.343:
	s_or_saveexec_b32 s1, s1
	v_mov_b32_e32 v9, 1
	s_xor_b32 exec_lo, exec_lo, s1
; %bb.344:
	v_and_b32_e32 v1, 1, v10
	v_and_b32_e32 v9, 0xff, v11
	v_cmp_eq_u32_e32 vcc_lo, 1, v1
	v_cndmask_b32_e32 v2, v6, v4, vcc_lo
	v_cndmask_b32_e32 v1, v5, v3, vcc_lo
	v_cndmask_b32_e64 v9, v9, 1, vcc_lo
; %bb.345:
	s_or_b32 exec_lo, exec_lo, s1
	v_cmp_gt_u32_e32 vcc_lo, 6, v7
	v_cndmask_b32_e64 v3, 0, 2, vcc_lo
	v_add_lshl_u32 v3, v3, v8, 2
	ds_bpermute_b32 v7, v3, v9
	ds_bpermute_b32 v5, v3, v1
	;; [unrolled: 1-line block ×3, first 2 shown]
	s_waitcnt lgkmcnt(2)
	v_and_b32_e32 v3, v9, v7
	v_and_b32_e32 v3, 1, v3
	v_cmp_eq_u32_e32 vcc_lo, 1, v3
                                        ; implicit-def: $vgpr3_vgpr4
	s_and_saveexec_b32 s1, vcc_lo
	s_xor_b32 s1, exec_lo, s1
	s_cbranch_execz .LBB205_347
; %bb.346:
	s_waitcnt lgkmcnt(0)
	v_cmp_lt_i64_e32 vcc_lo, v[5:6], v[1:2]
                                        ; implicit-def: $vgpr9
                                        ; implicit-def: $vgpr7
	v_cndmask_b32_e32 v4, v2, v6, vcc_lo
	v_cndmask_b32_e32 v3, v1, v5, vcc_lo
                                        ; implicit-def: $vgpr5_vgpr6
                                        ; implicit-def: $vgpr1_vgpr2
.LBB205_347:
	s_or_saveexec_b32 s1, s1
	v_lshlrev_b32_e32 v10, 2, v8
	v_mov_b32_e32 v8, 1
	s_xor_b32 exec_lo, exec_lo, s1
	s_cbranch_execz .LBB205_349
; %bb.348:
	v_and_b32_e32 v3, 1, v9
	v_and_b32_e32 v7, 0xff, v7
	v_cmp_eq_u32_e32 vcc_lo, 1, v3
	s_waitcnt lgkmcnt(0)
	v_cndmask_b32_e32 v4, v6, v2, vcc_lo
	v_cndmask_b32_e32 v3, v5, v1, vcc_lo
	v_cndmask_b32_e64 v8, v7, 1, vcc_lo
.LBB205_349:
	s_or_b32 exec_lo, exec_lo, s1
	v_or_b32_e32 v1, 16, v10
	ds_bpermute_b32 v9, v1, v8
	s_waitcnt lgkmcnt(2)
	ds_bpermute_b32 v5, v1, v3
	s_waitcnt lgkmcnt(2)
	;; [unrolled: 2-line block ×3, first 2 shown]
	v_and_b32_e32 v1, v8, v9
	v_and_b32_e32 v1, 1, v1
	v_cmp_eq_u32_e32 vcc_lo, 1, v1
                                        ; implicit-def: $vgpr1_vgpr2
	s_and_saveexec_b32 s1, vcc_lo
	s_xor_b32 s1, exec_lo, s1
	s_cbranch_execz .LBB205_351
; %bb.350:
	s_waitcnt lgkmcnt(0)
	v_cmp_lt_i64_e32 vcc_lo, v[5:6], v[3:4]
                                        ; implicit-def: $vgpr8
                                        ; implicit-def: $vgpr9
	v_cndmask_b32_e32 v2, v4, v6, vcc_lo
	v_cndmask_b32_e32 v1, v3, v5, vcc_lo
                                        ; implicit-def: $vgpr5_vgpr6
                                        ; implicit-def: $vgpr3_vgpr4
.LBB205_351:
	s_or_saveexec_b32 s1, s1
	v_mov_b32_e32 v7, 1
	s_xor_b32 exec_lo, exec_lo, s1
	s_cbranch_execz .LBB205_353
; %bb.352:
	v_and_b32_e32 v1, 1, v8
	v_cmp_eq_u32_e32 vcc_lo, 1, v1
	s_waitcnt lgkmcnt(0)
	v_cndmask_b32_e32 v2, v6, v4, vcc_lo
	v_cndmask_b32_e32 v1, v5, v3, vcc_lo
	v_cndmask_b32_e64 v7, v9, 1, vcc_lo
.LBB205_353:
	s_or_b32 exec_lo, exec_lo, s1
.LBB205_354:
	s_or_b32 exec_lo, exec_lo, s0
	s_branch .LBB205_415
.LBB205_355:
                                        ; implicit-def: $vgpr3_vgpr4
                                        ; implicit-def: $vgpr5
                                        ; implicit-def: $vgpr1_vgpr2
.LBB205_356:
	s_and_saveexec_b32 s0, s22
	s_cbranch_execz .LBB205_358
.LBB205_357:
	s_load_dwordx2 s[0:1], s[4:5], 0x38
	v_lshlrev_b64 v[0:1], 4, v[1:2]
	s_waitcnt lgkmcnt(0)
	v_add_co_u32 v0, vcc_lo, s0, v0
	v_add_co_ci_u32_e64 v1, null, s1, v1, vcc_lo
	global_store_byte v[0:1], v5, off
	global_store_dwordx2 v[0:1], v[3:4], off offset:8
.LBB205_358:
	s_endpgm
.LBB205_359:
                                        ; implicit-def: $vgpr1_vgpr2
                                        ; implicit-def: $vgpr7
	s_cbranch_execz .LBB205_415
; %bb.360:
	v_mov_b32_e32 v1, 0
	v_mov_b32_e32 v2, 0
	;; [unrolled: 1-line block ×3, first 2 shown]
	s_sub_i32 s0, s14, s2
	s_mov_b32 s1, exec_lo
	v_cmpx_gt_u32_e64 s0, v0
	s_cbranch_execz .LBB205_362
; %bb.361:
	s_lshl_b64 s[8:9], s[2:3], 1
	v_lshlrev_b32_e32 v1, 1, v0
	s_add_u32 s10, s18, s8
	s_addc_u32 s11, s19, s9
	s_add_u32 s8, s16, s8
	s_addc_u32 s9, s17, s9
	s_add_u32 s2, s12, s2
	s_waitcnt lgkmcnt(1)
	global_load_ushort v3, v1, s[8:9]
	s_waitcnt lgkmcnt(0)
	global_load_ushort v4, v1, s[10:11]
	s_addc_u32 s3, s13, 0
	v_add_co_u32 v1, s2, s2, v0
	v_add_co_ci_u32_e64 v2, null, s3, 0, s2
	s_waitcnt vmcnt(0)
	v_cmp_ne_u16_e32 vcc_lo, v3, v4
	v_cndmask_b32_e64 v8, 0, 1, vcc_lo
.LBB205_362:
	s_or_b32 exec_lo, exec_lo, s1
	s_waitcnt lgkmcnt(1)
	v_mbcnt_lo_u32_b32 v5, -1, 0
	v_and_b32_e32 v7, 0xffff, v8
	s_waitcnt lgkmcnt(0)
	v_and_b32_e32 v6, 0xe0, v0
	s_min_u32 s0, s0, 0x100
	s_mov_b32 s1, exec_lo
	v_cmp_ne_u32_e32 vcc_lo, 31, v5
	v_add_nc_u32_e32 v10, 1, v5
	v_sub_nc_u32_e64 v6, s0, v6 clamp
	v_add_co_ci_u32_e64 v3, null, 0, v5, vcc_lo
	v_lshlrev_b32_e32 v4, 2, v3
	ds_bpermute_b32 v9, v4, v7
	ds_bpermute_b32 v3, v4, v1
	;; [unrolled: 1-line block ×3, first 2 shown]
	v_cmpx_lt_u32_e64 v10, v6
	s_cbranch_execz .LBB205_368
; %bb.363:
	s_waitcnt lgkmcnt(2)
	v_and_b32_e32 v7, v9, v7
	s_mov_b32 s2, exec_lo
	v_and_b32_e32 v7, 1, v7
	v_cmpx_eq_u32_e32 1, v7
	s_xor_b32 s2, exec_lo, s2
	s_cbranch_execz .LBB205_365
; %bb.364:
	s_waitcnt lgkmcnt(0)
	v_cmp_lt_i64_e32 vcc_lo, v[3:4], v[1:2]
                                        ; implicit-def: $vgpr8
                                        ; implicit-def: $vgpr9
	v_cndmask_b32_e32 v2, v2, v4, vcc_lo
	v_cndmask_b32_e32 v1, v1, v3, vcc_lo
                                        ; implicit-def: $vgpr3_vgpr4
.LBB205_365:
	s_or_saveexec_b32 s2, s2
	v_mov_b32_e32 v7, 1
	s_xor_b32 exec_lo, exec_lo, s2
	s_cbranch_execz .LBB205_367
; %bb.366:
	v_and_b32_e32 v7, 1, v8
	v_cmp_eq_u32_e32 vcc_lo, 1, v7
	v_and_b32_e32 v7, 0xff, v9
	s_waitcnt lgkmcnt(0)
	v_cndmask_b32_e32 v2, v4, v2, vcc_lo
	v_cndmask_b32_e32 v1, v3, v1, vcc_lo
	v_cndmask_b32_e64 v7, v7, 1, vcc_lo
.LBB205_367:
	s_or_b32 exec_lo, exec_lo, s2
.LBB205_368:
	s_or_b32 exec_lo, exec_lo, s1
	v_cmp_gt_u32_e32 vcc_lo, 30, v5
	s_waitcnt lgkmcnt(2)
	v_add_nc_u32_e32 v9, 2, v5
	s_mov_b32 s1, exec_lo
	s_waitcnt lgkmcnt(1)
	v_cndmask_b32_e64 v3, 0, 2, vcc_lo
	s_waitcnt lgkmcnt(0)
	v_add_lshl_u32 v4, v3, v5, 2
	ds_bpermute_b32 v8, v4, v7
	ds_bpermute_b32 v3, v4, v1
	;; [unrolled: 1-line block ×3, first 2 shown]
	v_cmpx_lt_u32_e64 v9, v6
	s_cbranch_execz .LBB205_374
; %bb.369:
	s_waitcnt lgkmcnt(2)
	v_and_b32_e32 v9, v7, v8
	s_mov_b32 s2, exec_lo
	v_and_b32_e32 v9, 1, v9
	v_cmpx_eq_u32_e32 1, v9
	s_xor_b32 s2, exec_lo, s2
	s_cbranch_execz .LBB205_371
; %bb.370:
	s_waitcnt lgkmcnt(0)
	v_cmp_lt_i64_e32 vcc_lo, v[3:4], v[1:2]
                                        ; implicit-def: $vgpr7
                                        ; implicit-def: $vgpr8
	v_cndmask_b32_e32 v2, v2, v4, vcc_lo
	v_cndmask_b32_e32 v1, v1, v3, vcc_lo
                                        ; implicit-def: $vgpr3_vgpr4
.LBB205_371:
	s_or_saveexec_b32 s2, s2
	v_mov_b32_e32 v9, 1
	s_xor_b32 exec_lo, exec_lo, s2
	s_cbranch_execz .LBB205_373
; %bb.372:
	v_and_b32_e32 v7, 1, v7
	v_cmp_eq_u32_e32 vcc_lo, 1, v7
	v_and_b32_e32 v7, 0xff, v8
	s_waitcnt lgkmcnt(0)
	v_cndmask_b32_e32 v2, v4, v2, vcc_lo
	v_cndmask_b32_e32 v1, v3, v1, vcc_lo
	v_cndmask_b32_e64 v9, v7, 1, vcc_lo
.LBB205_373:
	s_or_b32 exec_lo, exec_lo, s2
	v_mov_b32_e32 v7, v9
.LBB205_374:
	s_or_b32 exec_lo, exec_lo, s1
	v_cmp_gt_u32_e32 vcc_lo, 28, v5
	v_add_nc_u32_e32 v9, 4, v5
	s_mov_b32 s1, exec_lo
	s_waitcnt lgkmcnt(1)
	v_cndmask_b32_e64 v3, 0, 4, vcc_lo
	s_waitcnt lgkmcnt(0)
	v_add_lshl_u32 v4, v3, v5, 2
	ds_bpermute_b32 v8, v4, v7
	ds_bpermute_b32 v3, v4, v1
	;; [unrolled: 1-line block ×3, first 2 shown]
	v_cmpx_lt_u32_e64 v9, v6
	s_cbranch_execz .LBB205_380
; %bb.375:
	s_waitcnt lgkmcnt(2)
	v_and_b32_e32 v9, v7, v8
	s_mov_b32 s2, exec_lo
	v_and_b32_e32 v9, 1, v9
	v_cmpx_eq_u32_e32 1, v9
	s_xor_b32 s2, exec_lo, s2
	s_cbranch_execz .LBB205_377
; %bb.376:
	s_waitcnt lgkmcnt(0)
	v_cmp_lt_i64_e32 vcc_lo, v[3:4], v[1:2]
                                        ; implicit-def: $vgpr7
                                        ; implicit-def: $vgpr8
	v_cndmask_b32_e32 v2, v2, v4, vcc_lo
	v_cndmask_b32_e32 v1, v1, v3, vcc_lo
                                        ; implicit-def: $vgpr3_vgpr4
.LBB205_377:
	s_or_saveexec_b32 s2, s2
	v_mov_b32_e32 v9, 1
	s_xor_b32 exec_lo, exec_lo, s2
	s_cbranch_execz .LBB205_379
; %bb.378:
	v_and_b32_e32 v7, 1, v7
	v_cmp_eq_u32_e32 vcc_lo, 1, v7
	v_and_b32_e32 v7, 0xff, v8
	s_waitcnt lgkmcnt(0)
	v_cndmask_b32_e32 v2, v4, v2, vcc_lo
	v_cndmask_b32_e32 v1, v3, v1, vcc_lo
	v_cndmask_b32_e64 v9, v7, 1, vcc_lo
.LBB205_379:
	s_or_b32 exec_lo, exec_lo, s2
	v_mov_b32_e32 v7, v9
.LBB205_380:
	s_or_b32 exec_lo, exec_lo, s1
	v_cmp_gt_u32_e32 vcc_lo, 24, v5
	v_add_nc_u32_e32 v9, 8, v5
	s_mov_b32 s1, exec_lo
	s_waitcnt lgkmcnt(1)
	v_cndmask_b32_e64 v3, 0, 8, vcc_lo
	s_waitcnt lgkmcnt(0)
	v_add_lshl_u32 v4, v3, v5, 2
	ds_bpermute_b32 v8, v4, v7
	ds_bpermute_b32 v3, v4, v1
	;; [unrolled: 1-line block ×3, first 2 shown]
	v_cmpx_lt_u32_e64 v9, v6
	s_cbranch_execz .LBB205_386
; %bb.381:
	s_waitcnt lgkmcnt(2)
	v_and_b32_e32 v9, v7, v8
	s_mov_b32 s2, exec_lo
	v_and_b32_e32 v9, 1, v9
	v_cmpx_eq_u32_e32 1, v9
	s_xor_b32 s2, exec_lo, s2
	s_cbranch_execz .LBB205_383
; %bb.382:
	s_waitcnt lgkmcnt(0)
	v_cmp_lt_i64_e32 vcc_lo, v[3:4], v[1:2]
                                        ; implicit-def: $vgpr7
                                        ; implicit-def: $vgpr8
	v_cndmask_b32_e32 v2, v2, v4, vcc_lo
	v_cndmask_b32_e32 v1, v1, v3, vcc_lo
                                        ; implicit-def: $vgpr3_vgpr4
.LBB205_383:
	s_or_saveexec_b32 s2, s2
	v_mov_b32_e32 v9, 1
	s_xor_b32 exec_lo, exec_lo, s2
	s_cbranch_execz .LBB205_385
; %bb.384:
	v_and_b32_e32 v7, 1, v7
	v_cmp_eq_u32_e32 vcc_lo, 1, v7
	v_and_b32_e32 v7, 0xff, v8
	s_waitcnt lgkmcnt(0)
	v_cndmask_b32_e32 v2, v4, v2, vcc_lo
	v_cndmask_b32_e32 v1, v3, v1, vcc_lo
	v_cndmask_b32_e64 v9, v7, 1, vcc_lo
.LBB205_385:
	s_or_b32 exec_lo, exec_lo, s2
	v_mov_b32_e32 v7, v9
.LBB205_386:
	s_or_b32 exec_lo, exec_lo, s1
	s_waitcnt lgkmcnt(2)
	v_lshlrev_b32_e32 v8, 2, v5
	v_add_nc_u32_e32 v10, 16, v5
	s_waitcnt lgkmcnt(0)
	v_or_b32_e32 v4, 64, v8
	v_cmp_lt_u32_e32 vcc_lo, v10, v6
	v_mov_b32_e32 v6, v7
	ds_bpermute_b32 v9, v4, v7
	ds_bpermute_b32 v3, v4, v1
	;; [unrolled: 1-line block ×3, first 2 shown]
	s_and_saveexec_b32 s1, vcc_lo
	s_cbranch_execz .LBB205_392
; %bb.387:
	s_waitcnt lgkmcnt(2)
	v_and_b32_e32 v6, v7, v9
	s_mov_b32 s2, exec_lo
	v_and_b32_e32 v6, 1, v6
	v_cmpx_eq_u32_e32 1, v6
	s_xor_b32 s2, exec_lo, s2
	s_cbranch_execz .LBB205_389
; %bb.388:
	s_waitcnt lgkmcnt(0)
	v_cmp_lt_i64_e32 vcc_lo, v[3:4], v[1:2]
                                        ; implicit-def: $vgpr7
                                        ; implicit-def: $vgpr9
	v_cndmask_b32_e32 v2, v2, v4, vcc_lo
	v_cndmask_b32_e32 v1, v1, v3, vcc_lo
                                        ; implicit-def: $vgpr3_vgpr4
.LBB205_389:
	s_or_saveexec_b32 s2, s2
	v_mov_b32_e32 v6, 1
	s_xor_b32 exec_lo, exec_lo, s2
	s_cbranch_execz .LBB205_391
; %bb.390:
	v_and_b32_e32 v6, 1, v7
	v_cmp_eq_u32_e32 vcc_lo, 1, v6
	v_cndmask_b32_e64 v6, v9, 1, vcc_lo
	s_waitcnt lgkmcnt(0)
	v_cndmask_b32_e32 v2, v4, v2, vcc_lo
	v_cndmask_b32_e32 v1, v3, v1, vcc_lo
.LBB205_391:
	s_or_b32 exec_lo, exec_lo, s2
	v_and_b32_e32 v7, 0xff, v6
.LBB205_392:
	s_or_b32 exec_lo, exec_lo, s1
	s_mov_b32 s1, exec_lo
	v_cmpx_eq_u32_e32 0, v5
	s_cbranch_execz .LBB205_394
; %bb.393:
	s_waitcnt lgkmcnt(1)
	v_lshrrev_b32_e32 v3, 1, v0
	v_and_b32_e32 v3, 0x70, v3
	ds_write_b8 v3, v6 offset:512
	ds_write_b64 v3, v[1:2] offset:520
.LBB205_394:
	s_or_b32 exec_lo, exec_lo, s1
	s_mov_b32 s1, exec_lo
	s_waitcnt lgkmcnt(0)
	s_barrier
	buffer_gl0_inv
	v_cmpx_gt_u32_e32 8, v0
	s_cbranch_execz .LBB205_414
; %bb.395:
	v_lshlrev_b32_e32 v1, 4, v5
	v_and_b32_e32 v6, 7, v5
	s_add_i32 s0, s0, 31
	s_mov_b32 s2, exec_lo
	s_lshr_b32 s0, s0, 5
	ds_read_u8 v9, v1 offset:512
	ds_read_b64 v[1:2], v1 offset:520
	v_cmp_ne_u32_e32 vcc_lo, 7, v6
	v_add_nc_u32_e32 v11, 1, v6
	v_add_co_ci_u32_e64 v3, null, 0, v5, vcc_lo
	v_lshlrev_b32_e32 v4, 2, v3
	s_waitcnt lgkmcnt(1)
	v_and_b32_e32 v7, 0xff, v9
	s_waitcnt lgkmcnt(0)
	ds_bpermute_b32 v3, v4, v1
	ds_bpermute_b32 v10, v4, v7
	ds_bpermute_b32 v4, v4, v2
	v_cmpx_gt_u32_e64 s0, v11
	s_cbranch_execz .LBB205_401
; %bb.396:
	s_waitcnt lgkmcnt(1)
	v_and_b32_e32 v7, v7, v10
	s_mov_b32 s3, exec_lo
	v_and_b32_e32 v7, 1, v7
	v_cmpx_eq_u32_e32 1, v7
	s_xor_b32 s3, exec_lo, s3
	s_cbranch_execz .LBB205_398
; %bb.397:
	s_waitcnt lgkmcnt(0)
	v_cmp_lt_i64_e32 vcc_lo, v[3:4], v[1:2]
                                        ; implicit-def: $vgpr9
                                        ; implicit-def: $vgpr10
	v_cndmask_b32_e32 v2, v2, v4, vcc_lo
	v_cndmask_b32_e32 v1, v1, v3, vcc_lo
                                        ; implicit-def: $vgpr3_vgpr4
.LBB205_398:
	s_or_saveexec_b32 s3, s3
	v_mov_b32_e32 v7, 1
	s_xor_b32 exec_lo, exec_lo, s3
	s_cbranch_execz .LBB205_400
; %bb.399:
	v_and_b32_e32 v7, 1, v9
	v_cmp_eq_u32_e32 vcc_lo, 1, v7
	v_and_b32_e32 v7, 0xff, v10
	s_waitcnt lgkmcnt(0)
	v_cndmask_b32_e32 v2, v4, v2, vcc_lo
	v_cndmask_b32_e32 v1, v3, v1, vcc_lo
	v_cndmask_b32_e64 v7, v7, 1, vcc_lo
.LBB205_400:
	s_or_b32 exec_lo, exec_lo, s3
.LBB205_401:
	s_or_b32 exec_lo, exec_lo, s2
	v_cmp_gt_u32_e32 vcc_lo, 6, v6
	v_add_nc_u32_e32 v9, 2, v6
	s_mov_b32 s2, exec_lo
	s_waitcnt lgkmcnt(2)
	v_cndmask_b32_e64 v3, 0, 2, vcc_lo
	s_waitcnt lgkmcnt(0)
	v_add_lshl_u32 v4, v3, v5, 2
	ds_bpermute_b32 v5, v4, v7
	ds_bpermute_b32 v3, v4, v1
	;; [unrolled: 1-line block ×3, first 2 shown]
	v_cmpx_gt_u32_e64 s0, v9
	s_cbranch_execz .LBB205_407
; %bb.402:
	s_waitcnt lgkmcnt(2)
	v_and_b32_e32 v9, v7, v5
	s_mov_b32 s3, exec_lo
	v_and_b32_e32 v9, 1, v9
	v_cmpx_eq_u32_e32 1, v9
	s_xor_b32 s3, exec_lo, s3
	s_cbranch_execz .LBB205_404
; %bb.403:
	s_waitcnt lgkmcnt(0)
	v_cmp_lt_i64_e32 vcc_lo, v[3:4], v[1:2]
                                        ; implicit-def: $vgpr7
                                        ; implicit-def: $vgpr5
	v_cndmask_b32_e32 v2, v2, v4, vcc_lo
	v_cndmask_b32_e32 v1, v1, v3, vcc_lo
                                        ; implicit-def: $vgpr3_vgpr4
.LBB205_404:
	s_or_saveexec_b32 s3, s3
	v_mov_b32_e32 v9, 1
	s_xor_b32 exec_lo, exec_lo, s3
	s_cbranch_execz .LBB205_406
; %bb.405:
	v_and_b32_e32 v7, 1, v7
	v_and_b32_e32 v5, 0xff, v5
	v_cmp_eq_u32_e32 vcc_lo, 1, v7
	s_waitcnt lgkmcnt(0)
	v_cndmask_b32_e32 v2, v4, v2, vcc_lo
	v_cndmask_b32_e32 v1, v3, v1, vcc_lo
	v_cndmask_b32_e64 v9, v5, 1, vcc_lo
.LBB205_406:
	s_or_b32 exec_lo, exec_lo, s3
	v_mov_b32_e32 v7, v9
.LBB205_407:
	s_or_b32 exec_lo, exec_lo, s2
	s_waitcnt lgkmcnt(0)
	v_or_b32_e32 v4, 16, v8
	v_add_nc_u32_e32 v6, 4, v6
	ds_bpermute_b32 v5, v4, v7
	ds_bpermute_b32 v3, v4, v1
	;; [unrolled: 1-line block ×3, first 2 shown]
	v_cmp_gt_u32_e32 vcc_lo, s0, v6
	s_and_saveexec_b32 s0, vcc_lo
	s_cbranch_execz .LBB205_413
; %bb.408:
	s_waitcnt lgkmcnt(2)
	v_and_b32_e32 v6, v7, v5
	s_mov_b32 s2, exec_lo
	v_and_b32_e32 v6, 1, v6
	v_cmpx_eq_u32_e32 1, v6
	s_xor_b32 s2, exec_lo, s2
	s_cbranch_execz .LBB205_410
; %bb.409:
	s_waitcnt lgkmcnt(0)
	v_cmp_lt_i64_e32 vcc_lo, v[3:4], v[1:2]
                                        ; implicit-def: $vgpr7
                                        ; implicit-def: $vgpr5
	v_cndmask_b32_e32 v2, v2, v4, vcc_lo
	v_cndmask_b32_e32 v1, v1, v3, vcc_lo
                                        ; implicit-def: $vgpr3_vgpr4
.LBB205_410:
	s_or_saveexec_b32 s2, s2
	v_mov_b32_e32 v6, 1
	s_xor_b32 exec_lo, exec_lo, s2
	s_cbranch_execz .LBB205_412
; %bb.411:
	v_and_b32_e32 v6, 1, v7
	v_cmp_eq_u32_e32 vcc_lo, 1, v6
	s_waitcnt lgkmcnt(0)
	v_cndmask_b32_e32 v2, v4, v2, vcc_lo
	v_cndmask_b32_e32 v1, v3, v1, vcc_lo
	v_cndmask_b32_e64 v6, v5, 1, vcc_lo
.LBB205_412:
	s_or_b32 exec_lo, exec_lo, s2
	v_mov_b32_e32 v7, v6
.LBB205_413:
	s_or_b32 exec_lo, exec_lo, s0
.LBB205_414:
	s_or_b32 exec_lo, exec_lo, s1
.LBB205_415:
	s_mov_b32 s2, exec_lo
                                        ; implicit-def: $vgpr3_vgpr4
                                        ; implicit-def: $vgpr5
	v_cmpx_eq_u32_e32 0, v0
	s_cbranch_execz .LBB205_419
; %bb.416:
	s_waitcnt lgkmcnt(0)
	v_mov_b32_e32 v3, s20
	v_mov_b32_e32 v4, s21
	;; [unrolled: 1-line block ×3, first 2 shown]
	s_cmp_eq_u64 s[14:15], 0
	s_cbranch_scc1 .LBB205_418
; %bb.417:
	v_and_b32_e32 v0, 1, v7
	v_cmp_gt_i64_e32 vcc_lo, s[20:21], v[1:2]
	s_bitcmp1_b32 s24, 0
	s_cselect_b32 s1, -1, 0
	v_cmp_eq_u32_e64 s0, 1, v0
	v_cndmask_b32_e64 v5, v7, 1, s1
	s_and_b32 vcc_lo, s0, vcc_lo
	v_cndmask_b32_e32 v0, s20, v1, vcc_lo
	v_cndmask_b32_e32 v3, s21, v2, vcc_lo
	v_cndmask_b32_e64 v4, v2, v3, s1
	v_cndmask_b32_e64 v3, v1, v0, s1
.LBB205_418:
	s_or_b32 s22, s22, exec_lo
.LBB205_419:
	s_or_b32 exec_lo, exec_lo, s2
	v_mov_b32_e32 v1, s6
	v_mov_b32_e32 v2, s7
	s_and_saveexec_b32 s0, s22
	s_cbranch_execnz .LBB205_357
	s_branch .LBB205_358
	.section	.rodata,"a",@progbits
	.p2align	6, 0x0
	.amdhsa_kernel _ZN7rocprim17ROCPRIM_400000_NS6detail17trampoline_kernelINS0_14default_configENS1_22reduce_config_selectorIN6thrust23THRUST_200600_302600_NS5tupleIblNS6_9null_typeES8_S8_S8_S8_S8_S8_S8_EEEEZNS1_11reduce_implILb1ES3_NS6_12zip_iteratorINS7_INS6_11hip_rocprim26transform_input_iterator_tIbNSD_35transform_pair_of_input_iterators_tIbNS6_6detail15normal_iteratorINS6_10device_ptrIKtEEEESL_NS6_8equal_toItEEEENSG_9not_fun_tINSD_8identityEEEEENSD_19counting_iterator_tIlEES8_S8_S8_S8_S8_S8_S8_S8_EEEEPS9_S9_NSD_9__find_if7functorIS9_EEEE10hipError_tPvRmT1_T2_T3_mT4_P12ihipStream_tbEUlT_E1_NS1_11comp_targetILNS1_3genE8ELNS1_11target_archE1030ELNS1_3gpuE2ELNS1_3repE0EEENS1_30default_config_static_selectorELNS0_4arch9wavefront6targetE0EEEvS14_
		.amdhsa_group_segment_fixed_size 640
		.amdhsa_private_segment_fixed_size 0
		.amdhsa_kernarg_size 88
		.amdhsa_user_sgpr_count 6
		.amdhsa_user_sgpr_private_segment_buffer 1
		.amdhsa_user_sgpr_dispatch_ptr 0
		.amdhsa_user_sgpr_queue_ptr 0
		.amdhsa_user_sgpr_kernarg_segment_ptr 1
		.amdhsa_user_sgpr_dispatch_id 0
		.amdhsa_user_sgpr_flat_scratch_init 0
		.amdhsa_user_sgpr_private_segment_size 0
		.amdhsa_wavefront_size32 1
		.amdhsa_uses_dynamic_stack 0
		.amdhsa_system_sgpr_private_segment_wavefront_offset 0
		.amdhsa_system_sgpr_workgroup_id_x 1
		.amdhsa_system_sgpr_workgroup_id_y 0
		.amdhsa_system_sgpr_workgroup_id_z 0
		.amdhsa_system_sgpr_workgroup_info 0
		.amdhsa_system_vgpr_workitem_id 0
		.amdhsa_next_free_vgpr 27
		.amdhsa_next_free_sgpr 32
		.amdhsa_reserve_vcc 1
		.amdhsa_reserve_flat_scratch 0
		.amdhsa_float_round_mode_32 0
		.amdhsa_float_round_mode_16_64 0
		.amdhsa_float_denorm_mode_32 3
		.amdhsa_float_denorm_mode_16_64 3
		.amdhsa_dx10_clamp 1
		.amdhsa_ieee_mode 1
		.amdhsa_fp16_overflow 0
		.amdhsa_workgroup_processor_mode 1
		.amdhsa_memory_ordered 1
		.amdhsa_forward_progress 1
		.amdhsa_shared_vgpr_count 0
		.amdhsa_exception_fp_ieee_invalid_op 0
		.amdhsa_exception_fp_denorm_src 0
		.amdhsa_exception_fp_ieee_div_zero 0
		.amdhsa_exception_fp_ieee_overflow 0
		.amdhsa_exception_fp_ieee_underflow 0
		.amdhsa_exception_fp_ieee_inexact 0
		.amdhsa_exception_int_div_zero 0
	.end_amdhsa_kernel
	.section	.text._ZN7rocprim17ROCPRIM_400000_NS6detail17trampoline_kernelINS0_14default_configENS1_22reduce_config_selectorIN6thrust23THRUST_200600_302600_NS5tupleIblNS6_9null_typeES8_S8_S8_S8_S8_S8_S8_EEEEZNS1_11reduce_implILb1ES3_NS6_12zip_iteratorINS7_INS6_11hip_rocprim26transform_input_iterator_tIbNSD_35transform_pair_of_input_iterators_tIbNS6_6detail15normal_iteratorINS6_10device_ptrIKtEEEESL_NS6_8equal_toItEEEENSG_9not_fun_tINSD_8identityEEEEENSD_19counting_iterator_tIlEES8_S8_S8_S8_S8_S8_S8_S8_EEEEPS9_S9_NSD_9__find_if7functorIS9_EEEE10hipError_tPvRmT1_T2_T3_mT4_P12ihipStream_tbEUlT_E1_NS1_11comp_targetILNS1_3genE8ELNS1_11target_archE1030ELNS1_3gpuE2ELNS1_3repE0EEENS1_30default_config_static_selectorELNS0_4arch9wavefront6targetE0EEEvS14_,"axG",@progbits,_ZN7rocprim17ROCPRIM_400000_NS6detail17trampoline_kernelINS0_14default_configENS1_22reduce_config_selectorIN6thrust23THRUST_200600_302600_NS5tupleIblNS6_9null_typeES8_S8_S8_S8_S8_S8_S8_EEEEZNS1_11reduce_implILb1ES3_NS6_12zip_iteratorINS7_INS6_11hip_rocprim26transform_input_iterator_tIbNSD_35transform_pair_of_input_iterators_tIbNS6_6detail15normal_iteratorINS6_10device_ptrIKtEEEESL_NS6_8equal_toItEEEENSG_9not_fun_tINSD_8identityEEEEENSD_19counting_iterator_tIlEES8_S8_S8_S8_S8_S8_S8_S8_EEEEPS9_S9_NSD_9__find_if7functorIS9_EEEE10hipError_tPvRmT1_T2_T3_mT4_P12ihipStream_tbEUlT_E1_NS1_11comp_targetILNS1_3genE8ELNS1_11target_archE1030ELNS1_3gpuE2ELNS1_3repE0EEENS1_30default_config_static_selectorELNS0_4arch9wavefront6targetE0EEEvS14_,comdat
.Lfunc_end205:
	.size	_ZN7rocprim17ROCPRIM_400000_NS6detail17trampoline_kernelINS0_14default_configENS1_22reduce_config_selectorIN6thrust23THRUST_200600_302600_NS5tupleIblNS6_9null_typeES8_S8_S8_S8_S8_S8_S8_EEEEZNS1_11reduce_implILb1ES3_NS6_12zip_iteratorINS7_INS6_11hip_rocprim26transform_input_iterator_tIbNSD_35transform_pair_of_input_iterators_tIbNS6_6detail15normal_iteratorINS6_10device_ptrIKtEEEESL_NS6_8equal_toItEEEENSG_9not_fun_tINSD_8identityEEEEENSD_19counting_iterator_tIlEES8_S8_S8_S8_S8_S8_S8_S8_EEEEPS9_S9_NSD_9__find_if7functorIS9_EEEE10hipError_tPvRmT1_T2_T3_mT4_P12ihipStream_tbEUlT_E1_NS1_11comp_targetILNS1_3genE8ELNS1_11target_archE1030ELNS1_3gpuE2ELNS1_3repE0EEENS1_30default_config_static_selectorELNS0_4arch9wavefront6targetE0EEEvS14_, .Lfunc_end205-_ZN7rocprim17ROCPRIM_400000_NS6detail17trampoline_kernelINS0_14default_configENS1_22reduce_config_selectorIN6thrust23THRUST_200600_302600_NS5tupleIblNS6_9null_typeES8_S8_S8_S8_S8_S8_S8_EEEEZNS1_11reduce_implILb1ES3_NS6_12zip_iteratorINS7_INS6_11hip_rocprim26transform_input_iterator_tIbNSD_35transform_pair_of_input_iterators_tIbNS6_6detail15normal_iteratorINS6_10device_ptrIKtEEEESL_NS6_8equal_toItEEEENSG_9not_fun_tINSD_8identityEEEEENSD_19counting_iterator_tIlEES8_S8_S8_S8_S8_S8_S8_S8_EEEEPS9_S9_NSD_9__find_if7functorIS9_EEEE10hipError_tPvRmT1_T2_T3_mT4_P12ihipStream_tbEUlT_E1_NS1_11comp_targetILNS1_3genE8ELNS1_11target_archE1030ELNS1_3gpuE2ELNS1_3repE0EEENS1_30default_config_static_selectorELNS0_4arch9wavefront6targetE0EEEvS14_
                                        ; -- End function
	.set _ZN7rocprim17ROCPRIM_400000_NS6detail17trampoline_kernelINS0_14default_configENS1_22reduce_config_selectorIN6thrust23THRUST_200600_302600_NS5tupleIblNS6_9null_typeES8_S8_S8_S8_S8_S8_S8_EEEEZNS1_11reduce_implILb1ES3_NS6_12zip_iteratorINS7_INS6_11hip_rocprim26transform_input_iterator_tIbNSD_35transform_pair_of_input_iterators_tIbNS6_6detail15normal_iteratorINS6_10device_ptrIKtEEEESL_NS6_8equal_toItEEEENSG_9not_fun_tINSD_8identityEEEEENSD_19counting_iterator_tIlEES8_S8_S8_S8_S8_S8_S8_S8_EEEEPS9_S9_NSD_9__find_if7functorIS9_EEEE10hipError_tPvRmT1_T2_T3_mT4_P12ihipStream_tbEUlT_E1_NS1_11comp_targetILNS1_3genE8ELNS1_11target_archE1030ELNS1_3gpuE2ELNS1_3repE0EEENS1_30default_config_static_selectorELNS0_4arch9wavefront6targetE0EEEvS14_.num_vgpr, 27
	.set _ZN7rocprim17ROCPRIM_400000_NS6detail17trampoline_kernelINS0_14default_configENS1_22reduce_config_selectorIN6thrust23THRUST_200600_302600_NS5tupleIblNS6_9null_typeES8_S8_S8_S8_S8_S8_S8_EEEEZNS1_11reduce_implILb1ES3_NS6_12zip_iteratorINS7_INS6_11hip_rocprim26transform_input_iterator_tIbNSD_35transform_pair_of_input_iterators_tIbNS6_6detail15normal_iteratorINS6_10device_ptrIKtEEEESL_NS6_8equal_toItEEEENSG_9not_fun_tINSD_8identityEEEEENSD_19counting_iterator_tIlEES8_S8_S8_S8_S8_S8_S8_S8_EEEEPS9_S9_NSD_9__find_if7functorIS9_EEEE10hipError_tPvRmT1_T2_T3_mT4_P12ihipStream_tbEUlT_E1_NS1_11comp_targetILNS1_3genE8ELNS1_11target_archE1030ELNS1_3gpuE2ELNS1_3repE0EEENS1_30default_config_static_selectorELNS0_4arch9wavefront6targetE0EEEvS14_.num_agpr, 0
	.set _ZN7rocprim17ROCPRIM_400000_NS6detail17trampoline_kernelINS0_14default_configENS1_22reduce_config_selectorIN6thrust23THRUST_200600_302600_NS5tupleIblNS6_9null_typeES8_S8_S8_S8_S8_S8_S8_EEEEZNS1_11reduce_implILb1ES3_NS6_12zip_iteratorINS7_INS6_11hip_rocprim26transform_input_iterator_tIbNSD_35transform_pair_of_input_iterators_tIbNS6_6detail15normal_iteratorINS6_10device_ptrIKtEEEESL_NS6_8equal_toItEEEENSG_9not_fun_tINSD_8identityEEEEENSD_19counting_iterator_tIlEES8_S8_S8_S8_S8_S8_S8_S8_EEEEPS9_S9_NSD_9__find_if7functorIS9_EEEE10hipError_tPvRmT1_T2_T3_mT4_P12ihipStream_tbEUlT_E1_NS1_11comp_targetILNS1_3genE8ELNS1_11target_archE1030ELNS1_3gpuE2ELNS1_3repE0EEENS1_30default_config_static_selectorELNS0_4arch9wavefront6targetE0EEEvS14_.numbered_sgpr, 32
	.set _ZN7rocprim17ROCPRIM_400000_NS6detail17trampoline_kernelINS0_14default_configENS1_22reduce_config_selectorIN6thrust23THRUST_200600_302600_NS5tupleIblNS6_9null_typeES8_S8_S8_S8_S8_S8_S8_EEEEZNS1_11reduce_implILb1ES3_NS6_12zip_iteratorINS7_INS6_11hip_rocprim26transform_input_iterator_tIbNSD_35transform_pair_of_input_iterators_tIbNS6_6detail15normal_iteratorINS6_10device_ptrIKtEEEESL_NS6_8equal_toItEEEENSG_9not_fun_tINSD_8identityEEEEENSD_19counting_iterator_tIlEES8_S8_S8_S8_S8_S8_S8_S8_EEEEPS9_S9_NSD_9__find_if7functorIS9_EEEE10hipError_tPvRmT1_T2_T3_mT4_P12ihipStream_tbEUlT_E1_NS1_11comp_targetILNS1_3genE8ELNS1_11target_archE1030ELNS1_3gpuE2ELNS1_3repE0EEENS1_30default_config_static_selectorELNS0_4arch9wavefront6targetE0EEEvS14_.num_named_barrier, 0
	.set _ZN7rocprim17ROCPRIM_400000_NS6detail17trampoline_kernelINS0_14default_configENS1_22reduce_config_selectorIN6thrust23THRUST_200600_302600_NS5tupleIblNS6_9null_typeES8_S8_S8_S8_S8_S8_S8_EEEEZNS1_11reduce_implILb1ES3_NS6_12zip_iteratorINS7_INS6_11hip_rocprim26transform_input_iterator_tIbNSD_35transform_pair_of_input_iterators_tIbNS6_6detail15normal_iteratorINS6_10device_ptrIKtEEEESL_NS6_8equal_toItEEEENSG_9not_fun_tINSD_8identityEEEEENSD_19counting_iterator_tIlEES8_S8_S8_S8_S8_S8_S8_S8_EEEEPS9_S9_NSD_9__find_if7functorIS9_EEEE10hipError_tPvRmT1_T2_T3_mT4_P12ihipStream_tbEUlT_E1_NS1_11comp_targetILNS1_3genE8ELNS1_11target_archE1030ELNS1_3gpuE2ELNS1_3repE0EEENS1_30default_config_static_selectorELNS0_4arch9wavefront6targetE0EEEvS14_.private_seg_size, 0
	.set _ZN7rocprim17ROCPRIM_400000_NS6detail17trampoline_kernelINS0_14default_configENS1_22reduce_config_selectorIN6thrust23THRUST_200600_302600_NS5tupleIblNS6_9null_typeES8_S8_S8_S8_S8_S8_S8_EEEEZNS1_11reduce_implILb1ES3_NS6_12zip_iteratorINS7_INS6_11hip_rocprim26transform_input_iterator_tIbNSD_35transform_pair_of_input_iterators_tIbNS6_6detail15normal_iteratorINS6_10device_ptrIKtEEEESL_NS6_8equal_toItEEEENSG_9not_fun_tINSD_8identityEEEEENSD_19counting_iterator_tIlEES8_S8_S8_S8_S8_S8_S8_S8_EEEEPS9_S9_NSD_9__find_if7functorIS9_EEEE10hipError_tPvRmT1_T2_T3_mT4_P12ihipStream_tbEUlT_E1_NS1_11comp_targetILNS1_3genE8ELNS1_11target_archE1030ELNS1_3gpuE2ELNS1_3repE0EEENS1_30default_config_static_selectorELNS0_4arch9wavefront6targetE0EEEvS14_.uses_vcc, 1
	.set _ZN7rocprim17ROCPRIM_400000_NS6detail17trampoline_kernelINS0_14default_configENS1_22reduce_config_selectorIN6thrust23THRUST_200600_302600_NS5tupleIblNS6_9null_typeES8_S8_S8_S8_S8_S8_S8_EEEEZNS1_11reduce_implILb1ES3_NS6_12zip_iteratorINS7_INS6_11hip_rocprim26transform_input_iterator_tIbNSD_35transform_pair_of_input_iterators_tIbNS6_6detail15normal_iteratorINS6_10device_ptrIKtEEEESL_NS6_8equal_toItEEEENSG_9not_fun_tINSD_8identityEEEEENSD_19counting_iterator_tIlEES8_S8_S8_S8_S8_S8_S8_S8_EEEEPS9_S9_NSD_9__find_if7functorIS9_EEEE10hipError_tPvRmT1_T2_T3_mT4_P12ihipStream_tbEUlT_E1_NS1_11comp_targetILNS1_3genE8ELNS1_11target_archE1030ELNS1_3gpuE2ELNS1_3repE0EEENS1_30default_config_static_selectorELNS0_4arch9wavefront6targetE0EEEvS14_.uses_flat_scratch, 0
	.set _ZN7rocprim17ROCPRIM_400000_NS6detail17trampoline_kernelINS0_14default_configENS1_22reduce_config_selectorIN6thrust23THRUST_200600_302600_NS5tupleIblNS6_9null_typeES8_S8_S8_S8_S8_S8_S8_EEEEZNS1_11reduce_implILb1ES3_NS6_12zip_iteratorINS7_INS6_11hip_rocprim26transform_input_iterator_tIbNSD_35transform_pair_of_input_iterators_tIbNS6_6detail15normal_iteratorINS6_10device_ptrIKtEEEESL_NS6_8equal_toItEEEENSG_9not_fun_tINSD_8identityEEEEENSD_19counting_iterator_tIlEES8_S8_S8_S8_S8_S8_S8_S8_EEEEPS9_S9_NSD_9__find_if7functorIS9_EEEE10hipError_tPvRmT1_T2_T3_mT4_P12ihipStream_tbEUlT_E1_NS1_11comp_targetILNS1_3genE8ELNS1_11target_archE1030ELNS1_3gpuE2ELNS1_3repE0EEENS1_30default_config_static_selectorELNS0_4arch9wavefront6targetE0EEEvS14_.has_dyn_sized_stack, 0
	.set _ZN7rocprim17ROCPRIM_400000_NS6detail17trampoline_kernelINS0_14default_configENS1_22reduce_config_selectorIN6thrust23THRUST_200600_302600_NS5tupleIblNS6_9null_typeES8_S8_S8_S8_S8_S8_S8_EEEEZNS1_11reduce_implILb1ES3_NS6_12zip_iteratorINS7_INS6_11hip_rocprim26transform_input_iterator_tIbNSD_35transform_pair_of_input_iterators_tIbNS6_6detail15normal_iteratorINS6_10device_ptrIKtEEEESL_NS6_8equal_toItEEEENSG_9not_fun_tINSD_8identityEEEEENSD_19counting_iterator_tIlEES8_S8_S8_S8_S8_S8_S8_S8_EEEEPS9_S9_NSD_9__find_if7functorIS9_EEEE10hipError_tPvRmT1_T2_T3_mT4_P12ihipStream_tbEUlT_E1_NS1_11comp_targetILNS1_3genE8ELNS1_11target_archE1030ELNS1_3gpuE2ELNS1_3repE0EEENS1_30default_config_static_selectorELNS0_4arch9wavefront6targetE0EEEvS14_.has_recursion, 0
	.set _ZN7rocprim17ROCPRIM_400000_NS6detail17trampoline_kernelINS0_14default_configENS1_22reduce_config_selectorIN6thrust23THRUST_200600_302600_NS5tupleIblNS6_9null_typeES8_S8_S8_S8_S8_S8_S8_EEEEZNS1_11reduce_implILb1ES3_NS6_12zip_iteratorINS7_INS6_11hip_rocprim26transform_input_iterator_tIbNSD_35transform_pair_of_input_iterators_tIbNS6_6detail15normal_iteratorINS6_10device_ptrIKtEEEESL_NS6_8equal_toItEEEENSG_9not_fun_tINSD_8identityEEEEENSD_19counting_iterator_tIlEES8_S8_S8_S8_S8_S8_S8_S8_EEEEPS9_S9_NSD_9__find_if7functorIS9_EEEE10hipError_tPvRmT1_T2_T3_mT4_P12ihipStream_tbEUlT_E1_NS1_11comp_targetILNS1_3genE8ELNS1_11target_archE1030ELNS1_3gpuE2ELNS1_3repE0EEENS1_30default_config_static_selectorELNS0_4arch9wavefront6targetE0EEEvS14_.has_indirect_call, 0
	.section	.AMDGPU.csdata,"",@progbits
; Kernel info:
; codeLenInByte = 14768
; TotalNumSgprs: 34
; NumVgprs: 27
; ScratchSize: 0
; MemoryBound: 0
; FloatMode: 240
; IeeeMode: 1
; LDSByteSize: 640 bytes/workgroup (compile time only)
; SGPRBlocks: 0
; VGPRBlocks: 3
; NumSGPRsForWavesPerEU: 34
; NumVGPRsForWavesPerEU: 27
; Occupancy: 16
; WaveLimiterHint : 0
; COMPUTE_PGM_RSRC2:SCRATCH_EN: 0
; COMPUTE_PGM_RSRC2:USER_SGPR: 6
; COMPUTE_PGM_RSRC2:TRAP_HANDLER: 0
; COMPUTE_PGM_RSRC2:TGID_X_EN: 1
; COMPUTE_PGM_RSRC2:TGID_Y_EN: 0
; COMPUTE_PGM_RSRC2:TGID_Z_EN: 0
; COMPUTE_PGM_RSRC2:TIDIG_COMP_CNT: 0
	.section	.text._ZN6thrust23THRUST_200600_302600_NS11hip_rocprim14__parallel_for6kernelILj256ENS1_20__uninitialized_fill7functorINS0_10device_ptrIxEExEEmLj1EEEvT0_T1_SA_,"axG",@progbits,_ZN6thrust23THRUST_200600_302600_NS11hip_rocprim14__parallel_for6kernelILj256ENS1_20__uninitialized_fill7functorINS0_10device_ptrIxEExEEmLj1EEEvT0_T1_SA_,comdat
	.protected	_ZN6thrust23THRUST_200600_302600_NS11hip_rocprim14__parallel_for6kernelILj256ENS1_20__uninitialized_fill7functorINS0_10device_ptrIxEExEEmLj1EEEvT0_T1_SA_ ; -- Begin function _ZN6thrust23THRUST_200600_302600_NS11hip_rocprim14__parallel_for6kernelILj256ENS1_20__uninitialized_fill7functorINS0_10device_ptrIxEExEEmLj1EEEvT0_T1_SA_
	.globl	_ZN6thrust23THRUST_200600_302600_NS11hip_rocprim14__parallel_for6kernelILj256ENS1_20__uninitialized_fill7functorINS0_10device_ptrIxEExEEmLj1EEEvT0_T1_SA_
	.p2align	8
	.type	_ZN6thrust23THRUST_200600_302600_NS11hip_rocprim14__parallel_for6kernelILj256ENS1_20__uninitialized_fill7functorINS0_10device_ptrIxEExEEmLj1EEEvT0_T1_SA_,@function
_ZN6thrust23THRUST_200600_302600_NS11hip_rocprim14__parallel_for6kernelILj256ENS1_20__uninitialized_fill7functorINS0_10device_ptrIxEExEEmLj1EEEvT0_T1_SA_: ; @_ZN6thrust23THRUST_200600_302600_NS11hip_rocprim14__parallel_for6kernelILj256ENS1_20__uninitialized_fill7functorINS0_10device_ptrIxEExEEmLj1EEEvT0_T1_SA_
; %bb.0:
	s_load_dwordx8 s[8:15], s[4:5], 0x0
	s_lshl_b32 s0, s6, 8
	s_waitcnt lgkmcnt(0)
	s_add_u32 s0, s14, s0
	s_addc_u32 s1, s15, 0
	s_sub_u32 s2, s12, s0
	s_subb_u32 s3, s13, s1
	v_cmp_lt_u64_e64 s3, 0xff, s[2:3]
	s_and_b32 vcc_lo, exec_lo, s3
	s_mov_b32 s3, -1
	s_cbranch_vccz .LBB206_3
; %bb.1:
	s_andn2_b32 vcc_lo, exec_lo, s3
	s_cbranch_vccz .LBB206_6
.LBB206_2:
	s_endpgm
.LBB206_3:
	v_cmp_gt_u32_e32 vcc_lo, s2, v0
	s_and_saveexec_b32 s2, vcc_lo
	s_cbranch_execz .LBB206_5
; %bb.4:
	v_lshlrev_b32_e32 v1, 3, v0
	s_lshl_b64 s[4:5], s[0:1], 3
	v_mov_b32_e32 v3, s10
	s_add_u32 s3, s8, s4
	s_addc_u32 s4, s9, s5
	v_add_co_u32 v1, s3, s3, v1
	v_add_co_ci_u32_e64 v2, null, s4, 0, s3
	v_mov_b32_e32 v4, s11
	flat_store_dwordx2 v[1:2], v[3:4]
.LBB206_5:
	s_or_b32 exec_lo, exec_lo, s2
	s_cbranch_execnz .LBB206_2
.LBB206_6:
	v_lshlrev_b32_e32 v0, 3, v0
	s_lshl_b64 s[0:1], s[0:1], 3
	v_mov_b32_e32 v2, s10
	s_add_u32 s0, s8, s0
	s_addc_u32 s1, s9, s1
	v_add_co_u32 v0, s0, s0, v0
	v_add_co_ci_u32_e64 v1, null, s1, 0, s0
	v_mov_b32_e32 v3, s11
	flat_store_dwordx2 v[0:1], v[2:3]
	s_endpgm
	.section	.rodata,"a",@progbits
	.p2align	6, 0x0
	.amdhsa_kernel _ZN6thrust23THRUST_200600_302600_NS11hip_rocprim14__parallel_for6kernelILj256ENS1_20__uninitialized_fill7functorINS0_10device_ptrIxEExEEmLj1EEEvT0_T1_SA_
		.amdhsa_group_segment_fixed_size 0
		.amdhsa_private_segment_fixed_size 0
		.amdhsa_kernarg_size 32
		.amdhsa_user_sgpr_count 6
		.amdhsa_user_sgpr_private_segment_buffer 1
		.amdhsa_user_sgpr_dispatch_ptr 0
		.amdhsa_user_sgpr_queue_ptr 0
		.amdhsa_user_sgpr_kernarg_segment_ptr 1
		.amdhsa_user_sgpr_dispatch_id 0
		.amdhsa_user_sgpr_flat_scratch_init 0
		.amdhsa_user_sgpr_private_segment_size 0
		.amdhsa_wavefront_size32 1
		.amdhsa_uses_dynamic_stack 0
		.amdhsa_system_sgpr_private_segment_wavefront_offset 0
		.amdhsa_system_sgpr_workgroup_id_x 1
		.amdhsa_system_sgpr_workgroup_id_y 0
		.amdhsa_system_sgpr_workgroup_id_z 0
		.amdhsa_system_sgpr_workgroup_info 0
		.amdhsa_system_vgpr_workitem_id 0
		.amdhsa_next_free_vgpr 5
		.amdhsa_next_free_sgpr 16
		.amdhsa_reserve_vcc 1
		.amdhsa_reserve_flat_scratch 0
		.amdhsa_float_round_mode_32 0
		.amdhsa_float_round_mode_16_64 0
		.amdhsa_float_denorm_mode_32 3
		.amdhsa_float_denorm_mode_16_64 3
		.amdhsa_dx10_clamp 1
		.amdhsa_ieee_mode 1
		.amdhsa_fp16_overflow 0
		.amdhsa_workgroup_processor_mode 1
		.amdhsa_memory_ordered 1
		.amdhsa_forward_progress 1
		.amdhsa_shared_vgpr_count 0
		.amdhsa_exception_fp_ieee_invalid_op 0
		.amdhsa_exception_fp_denorm_src 0
		.amdhsa_exception_fp_ieee_div_zero 0
		.amdhsa_exception_fp_ieee_overflow 0
		.amdhsa_exception_fp_ieee_underflow 0
		.amdhsa_exception_fp_ieee_inexact 0
		.amdhsa_exception_int_div_zero 0
	.end_amdhsa_kernel
	.section	.text._ZN6thrust23THRUST_200600_302600_NS11hip_rocprim14__parallel_for6kernelILj256ENS1_20__uninitialized_fill7functorINS0_10device_ptrIxEExEEmLj1EEEvT0_T1_SA_,"axG",@progbits,_ZN6thrust23THRUST_200600_302600_NS11hip_rocprim14__parallel_for6kernelILj256ENS1_20__uninitialized_fill7functorINS0_10device_ptrIxEExEEmLj1EEEvT0_T1_SA_,comdat
.Lfunc_end206:
	.size	_ZN6thrust23THRUST_200600_302600_NS11hip_rocprim14__parallel_for6kernelILj256ENS1_20__uninitialized_fill7functorINS0_10device_ptrIxEExEEmLj1EEEvT0_T1_SA_, .Lfunc_end206-_ZN6thrust23THRUST_200600_302600_NS11hip_rocprim14__parallel_for6kernelILj256ENS1_20__uninitialized_fill7functorINS0_10device_ptrIxEExEEmLj1EEEvT0_T1_SA_
                                        ; -- End function
	.set _ZN6thrust23THRUST_200600_302600_NS11hip_rocprim14__parallel_for6kernelILj256ENS1_20__uninitialized_fill7functorINS0_10device_ptrIxEExEEmLj1EEEvT0_T1_SA_.num_vgpr, 5
	.set _ZN6thrust23THRUST_200600_302600_NS11hip_rocprim14__parallel_for6kernelILj256ENS1_20__uninitialized_fill7functorINS0_10device_ptrIxEExEEmLj1EEEvT0_T1_SA_.num_agpr, 0
	.set _ZN6thrust23THRUST_200600_302600_NS11hip_rocprim14__parallel_for6kernelILj256ENS1_20__uninitialized_fill7functorINS0_10device_ptrIxEExEEmLj1EEEvT0_T1_SA_.numbered_sgpr, 16
	.set _ZN6thrust23THRUST_200600_302600_NS11hip_rocprim14__parallel_for6kernelILj256ENS1_20__uninitialized_fill7functorINS0_10device_ptrIxEExEEmLj1EEEvT0_T1_SA_.num_named_barrier, 0
	.set _ZN6thrust23THRUST_200600_302600_NS11hip_rocprim14__parallel_for6kernelILj256ENS1_20__uninitialized_fill7functorINS0_10device_ptrIxEExEEmLj1EEEvT0_T1_SA_.private_seg_size, 0
	.set _ZN6thrust23THRUST_200600_302600_NS11hip_rocprim14__parallel_for6kernelILj256ENS1_20__uninitialized_fill7functorINS0_10device_ptrIxEExEEmLj1EEEvT0_T1_SA_.uses_vcc, 1
	.set _ZN6thrust23THRUST_200600_302600_NS11hip_rocprim14__parallel_for6kernelILj256ENS1_20__uninitialized_fill7functorINS0_10device_ptrIxEExEEmLj1EEEvT0_T1_SA_.uses_flat_scratch, 0
	.set _ZN6thrust23THRUST_200600_302600_NS11hip_rocprim14__parallel_for6kernelILj256ENS1_20__uninitialized_fill7functorINS0_10device_ptrIxEExEEmLj1EEEvT0_T1_SA_.has_dyn_sized_stack, 0
	.set _ZN6thrust23THRUST_200600_302600_NS11hip_rocprim14__parallel_for6kernelILj256ENS1_20__uninitialized_fill7functorINS0_10device_ptrIxEExEEmLj1EEEvT0_T1_SA_.has_recursion, 0
	.set _ZN6thrust23THRUST_200600_302600_NS11hip_rocprim14__parallel_for6kernelILj256ENS1_20__uninitialized_fill7functorINS0_10device_ptrIxEExEEmLj1EEEvT0_T1_SA_.has_indirect_call, 0
	.section	.AMDGPU.csdata,"",@progbits
; Kernel info:
; codeLenInByte = 188
; TotalNumSgprs: 18
; NumVgprs: 5
; ScratchSize: 0
; MemoryBound: 0
; FloatMode: 240
; IeeeMode: 1
; LDSByteSize: 0 bytes/workgroup (compile time only)
; SGPRBlocks: 0
; VGPRBlocks: 0
; NumSGPRsForWavesPerEU: 18
; NumVGPRsForWavesPerEU: 5
; Occupancy: 16
; WaveLimiterHint : 0
; COMPUTE_PGM_RSRC2:SCRATCH_EN: 0
; COMPUTE_PGM_RSRC2:USER_SGPR: 6
; COMPUTE_PGM_RSRC2:TRAP_HANDLER: 0
; COMPUTE_PGM_RSRC2:TGID_X_EN: 1
; COMPUTE_PGM_RSRC2:TGID_Y_EN: 0
; COMPUTE_PGM_RSRC2:TGID_Z_EN: 0
; COMPUTE_PGM_RSRC2:TIDIG_COMP_CNT: 0
	.section	.text._ZN7rocprim17ROCPRIM_400000_NS6detail17trampoline_kernelINS0_14default_configENS1_21merge_config_selectorINS0_5tupleIJxxEEENS0_10empty_typeEEEZNS1_10merge_implIS3_NS0_12zip_iteratorINS5_IJN6thrust23THRUST_200600_302600_NS6detail15normal_iteratorINSC_10device_ptrIKxEEEESI_EEEEESK_NSA_INS5_IJNSE_INSF_IxEEEESM_EEEEEPS7_SP_SP_NSC_11hip_rocprim7__merge17predicate_wrapperIxxNSC_4lessIxEEEEEE10hipError_tPvRmT0_T1_T2_T3_T4_T5_mmT6_P12ihipStream_tbEUlT_E_NS1_11comp_targetILNS1_3genE0ELNS1_11target_archE4294967295ELNS1_3gpuE0ELNS1_3repE0EEENS1_30default_config_static_selectorELNS0_4arch9wavefront6targetE0EEEvS10_,"axG",@progbits,_ZN7rocprim17ROCPRIM_400000_NS6detail17trampoline_kernelINS0_14default_configENS1_21merge_config_selectorINS0_5tupleIJxxEEENS0_10empty_typeEEEZNS1_10merge_implIS3_NS0_12zip_iteratorINS5_IJN6thrust23THRUST_200600_302600_NS6detail15normal_iteratorINSC_10device_ptrIKxEEEESI_EEEEESK_NSA_INS5_IJNSE_INSF_IxEEEESM_EEEEEPS7_SP_SP_NSC_11hip_rocprim7__merge17predicate_wrapperIxxNSC_4lessIxEEEEEE10hipError_tPvRmT0_T1_T2_T3_T4_T5_mmT6_P12ihipStream_tbEUlT_E_NS1_11comp_targetILNS1_3genE0ELNS1_11target_archE4294967295ELNS1_3gpuE0ELNS1_3repE0EEENS1_30default_config_static_selectorELNS0_4arch9wavefront6targetE0EEEvS10_,comdat
	.protected	_ZN7rocprim17ROCPRIM_400000_NS6detail17trampoline_kernelINS0_14default_configENS1_21merge_config_selectorINS0_5tupleIJxxEEENS0_10empty_typeEEEZNS1_10merge_implIS3_NS0_12zip_iteratorINS5_IJN6thrust23THRUST_200600_302600_NS6detail15normal_iteratorINSC_10device_ptrIKxEEEESI_EEEEESK_NSA_INS5_IJNSE_INSF_IxEEEESM_EEEEEPS7_SP_SP_NSC_11hip_rocprim7__merge17predicate_wrapperIxxNSC_4lessIxEEEEEE10hipError_tPvRmT0_T1_T2_T3_T4_T5_mmT6_P12ihipStream_tbEUlT_E_NS1_11comp_targetILNS1_3genE0ELNS1_11target_archE4294967295ELNS1_3gpuE0ELNS1_3repE0EEENS1_30default_config_static_selectorELNS0_4arch9wavefront6targetE0EEEvS10_ ; -- Begin function _ZN7rocprim17ROCPRIM_400000_NS6detail17trampoline_kernelINS0_14default_configENS1_21merge_config_selectorINS0_5tupleIJxxEEENS0_10empty_typeEEEZNS1_10merge_implIS3_NS0_12zip_iteratorINS5_IJN6thrust23THRUST_200600_302600_NS6detail15normal_iteratorINSC_10device_ptrIKxEEEESI_EEEEESK_NSA_INS5_IJNSE_INSF_IxEEEESM_EEEEEPS7_SP_SP_NSC_11hip_rocprim7__merge17predicate_wrapperIxxNSC_4lessIxEEEEEE10hipError_tPvRmT0_T1_T2_T3_T4_T5_mmT6_P12ihipStream_tbEUlT_E_NS1_11comp_targetILNS1_3genE0ELNS1_11target_archE4294967295ELNS1_3gpuE0ELNS1_3repE0EEENS1_30default_config_static_selectorELNS0_4arch9wavefront6targetE0EEEvS10_
	.globl	_ZN7rocprim17ROCPRIM_400000_NS6detail17trampoline_kernelINS0_14default_configENS1_21merge_config_selectorINS0_5tupleIJxxEEENS0_10empty_typeEEEZNS1_10merge_implIS3_NS0_12zip_iteratorINS5_IJN6thrust23THRUST_200600_302600_NS6detail15normal_iteratorINSC_10device_ptrIKxEEEESI_EEEEESK_NSA_INS5_IJNSE_INSF_IxEEEESM_EEEEEPS7_SP_SP_NSC_11hip_rocprim7__merge17predicate_wrapperIxxNSC_4lessIxEEEEEE10hipError_tPvRmT0_T1_T2_T3_T4_T5_mmT6_P12ihipStream_tbEUlT_E_NS1_11comp_targetILNS1_3genE0ELNS1_11target_archE4294967295ELNS1_3gpuE0ELNS1_3repE0EEENS1_30default_config_static_selectorELNS0_4arch9wavefront6targetE0EEEvS10_
	.p2align	8
	.type	_ZN7rocprim17ROCPRIM_400000_NS6detail17trampoline_kernelINS0_14default_configENS1_21merge_config_selectorINS0_5tupleIJxxEEENS0_10empty_typeEEEZNS1_10merge_implIS3_NS0_12zip_iteratorINS5_IJN6thrust23THRUST_200600_302600_NS6detail15normal_iteratorINSC_10device_ptrIKxEEEESI_EEEEESK_NSA_INS5_IJNSE_INSF_IxEEEESM_EEEEEPS7_SP_SP_NSC_11hip_rocprim7__merge17predicate_wrapperIxxNSC_4lessIxEEEEEE10hipError_tPvRmT0_T1_T2_T3_T4_T5_mmT6_P12ihipStream_tbEUlT_E_NS1_11comp_targetILNS1_3genE0ELNS1_11target_archE4294967295ELNS1_3gpuE0ELNS1_3repE0EEENS1_30default_config_static_selectorELNS0_4arch9wavefront6targetE0EEEvS10_,@function
_ZN7rocprim17ROCPRIM_400000_NS6detail17trampoline_kernelINS0_14default_configENS1_21merge_config_selectorINS0_5tupleIJxxEEENS0_10empty_typeEEEZNS1_10merge_implIS3_NS0_12zip_iteratorINS5_IJN6thrust23THRUST_200600_302600_NS6detail15normal_iteratorINSC_10device_ptrIKxEEEESI_EEEEESK_NSA_INS5_IJNSE_INSF_IxEEEESM_EEEEEPS7_SP_SP_NSC_11hip_rocprim7__merge17predicate_wrapperIxxNSC_4lessIxEEEEEE10hipError_tPvRmT0_T1_T2_T3_T4_T5_mmT6_P12ihipStream_tbEUlT_E_NS1_11comp_targetILNS1_3genE0ELNS1_11target_archE4294967295ELNS1_3gpuE0ELNS1_3repE0EEENS1_30default_config_static_selectorELNS0_4arch9wavefront6targetE0EEEvS10_: ; @_ZN7rocprim17ROCPRIM_400000_NS6detail17trampoline_kernelINS0_14default_configENS1_21merge_config_selectorINS0_5tupleIJxxEEENS0_10empty_typeEEEZNS1_10merge_implIS3_NS0_12zip_iteratorINS5_IJN6thrust23THRUST_200600_302600_NS6detail15normal_iteratorINSC_10device_ptrIKxEEEESI_EEEEESK_NSA_INS5_IJNSE_INSF_IxEEEESM_EEEEEPS7_SP_SP_NSC_11hip_rocprim7__merge17predicate_wrapperIxxNSC_4lessIxEEEEEE10hipError_tPvRmT0_T1_T2_T3_T4_T5_mmT6_P12ihipStream_tbEUlT_E_NS1_11comp_targetILNS1_3genE0ELNS1_11target_archE4294967295ELNS1_3gpuE0ELNS1_3repE0EEENS1_30default_config_static_selectorELNS0_4arch9wavefront6targetE0EEEvS10_
; %bb.0:
	.section	.rodata,"a",@progbits
	.p2align	6, 0x0
	.amdhsa_kernel _ZN7rocprim17ROCPRIM_400000_NS6detail17trampoline_kernelINS0_14default_configENS1_21merge_config_selectorINS0_5tupleIJxxEEENS0_10empty_typeEEEZNS1_10merge_implIS3_NS0_12zip_iteratorINS5_IJN6thrust23THRUST_200600_302600_NS6detail15normal_iteratorINSC_10device_ptrIKxEEEESI_EEEEESK_NSA_INS5_IJNSE_INSF_IxEEEESM_EEEEEPS7_SP_SP_NSC_11hip_rocprim7__merge17predicate_wrapperIxxNSC_4lessIxEEEEEE10hipError_tPvRmT0_T1_T2_T3_T4_T5_mmT6_P12ihipStream_tbEUlT_E_NS1_11comp_targetILNS1_3genE0ELNS1_11target_archE4294967295ELNS1_3gpuE0ELNS1_3repE0EEENS1_30default_config_static_selectorELNS0_4arch9wavefront6targetE0EEEvS10_
		.amdhsa_group_segment_fixed_size 0
		.amdhsa_private_segment_fixed_size 0
		.amdhsa_kernarg_size 64
		.amdhsa_user_sgpr_count 6
		.amdhsa_user_sgpr_private_segment_buffer 1
		.amdhsa_user_sgpr_dispatch_ptr 0
		.amdhsa_user_sgpr_queue_ptr 0
		.amdhsa_user_sgpr_kernarg_segment_ptr 1
		.amdhsa_user_sgpr_dispatch_id 0
		.amdhsa_user_sgpr_flat_scratch_init 0
		.amdhsa_user_sgpr_private_segment_size 0
		.amdhsa_wavefront_size32 1
		.amdhsa_uses_dynamic_stack 0
		.amdhsa_system_sgpr_private_segment_wavefront_offset 0
		.amdhsa_system_sgpr_workgroup_id_x 1
		.amdhsa_system_sgpr_workgroup_id_y 0
		.amdhsa_system_sgpr_workgroup_id_z 0
		.amdhsa_system_sgpr_workgroup_info 0
		.amdhsa_system_vgpr_workitem_id 0
		.amdhsa_next_free_vgpr 1
		.amdhsa_next_free_sgpr 1
		.amdhsa_reserve_vcc 0
		.amdhsa_reserve_flat_scratch 0
		.amdhsa_float_round_mode_32 0
		.amdhsa_float_round_mode_16_64 0
		.amdhsa_float_denorm_mode_32 3
		.amdhsa_float_denorm_mode_16_64 3
		.amdhsa_dx10_clamp 1
		.amdhsa_ieee_mode 1
		.amdhsa_fp16_overflow 0
		.amdhsa_workgroup_processor_mode 1
		.amdhsa_memory_ordered 1
		.amdhsa_forward_progress 1
		.amdhsa_shared_vgpr_count 0
		.amdhsa_exception_fp_ieee_invalid_op 0
		.amdhsa_exception_fp_denorm_src 0
		.amdhsa_exception_fp_ieee_div_zero 0
		.amdhsa_exception_fp_ieee_overflow 0
		.amdhsa_exception_fp_ieee_underflow 0
		.amdhsa_exception_fp_ieee_inexact 0
		.amdhsa_exception_int_div_zero 0
	.end_amdhsa_kernel
	.section	.text._ZN7rocprim17ROCPRIM_400000_NS6detail17trampoline_kernelINS0_14default_configENS1_21merge_config_selectorINS0_5tupleIJxxEEENS0_10empty_typeEEEZNS1_10merge_implIS3_NS0_12zip_iteratorINS5_IJN6thrust23THRUST_200600_302600_NS6detail15normal_iteratorINSC_10device_ptrIKxEEEESI_EEEEESK_NSA_INS5_IJNSE_INSF_IxEEEESM_EEEEEPS7_SP_SP_NSC_11hip_rocprim7__merge17predicate_wrapperIxxNSC_4lessIxEEEEEE10hipError_tPvRmT0_T1_T2_T3_T4_T5_mmT6_P12ihipStream_tbEUlT_E_NS1_11comp_targetILNS1_3genE0ELNS1_11target_archE4294967295ELNS1_3gpuE0ELNS1_3repE0EEENS1_30default_config_static_selectorELNS0_4arch9wavefront6targetE0EEEvS10_,"axG",@progbits,_ZN7rocprim17ROCPRIM_400000_NS6detail17trampoline_kernelINS0_14default_configENS1_21merge_config_selectorINS0_5tupleIJxxEEENS0_10empty_typeEEEZNS1_10merge_implIS3_NS0_12zip_iteratorINS5_IJN6thrust23THRUST_200600_302600_NS6detail15normal_iteratorINSC_10device_ptrIKxEEEESI_EEEEESK_NSA_INS5_IJNSE_INSF_IxEEEESM_EEEEEPS7_SP_SP_NSC_11hip_rocprim7__merge17predicate_wrapperIxxNSC_4lessIxEEEEEE10hipError_tPvRmT0_T1_T2_T3_T4_T5_mmT6_P12ihipStream_tbEUlT_E_NS1_11comp_targetILNS1_3genE0ELNS1_11target_archE4294967295ELNS1_3gpuE0ELNS1_3repE0EEENS1_30default_config_static_selectorELNS0_4arch9wavefront6targetE0EEEvS10_,comdat
.Lfunc_end207:
	.size	_ZN7rocprim17ROCPRIM_400000_NS6detail17trampoline_kernelINS0_14default_configENS1_21merge_config_selectorINS0_5tupleIJxxEEENS0_10empty_typeEEEZNS1_10merge_implIS3_NS0_12zip_iteratorINS5_IJN6thrust23THRUST_200600_302600_NS6detail15normal_iteratorINSC_10device_ptrIKxEEEESI_EEEEESK_NSA_INS5_IJNSE_INSF_IxEEEESM_EEEEEPS7_SP_SP_NSC_11hip_rocprim7__merge17predicate_wrapperIxxNSC_4lessIxEEEEEE10hipError_tPvRmT0_T1_T2_T3_T4_T5_mmT6_P12ihipStream_tbEUlT_E_NS1_11comp_targetILNS1_3genE0ELNS1_11target_archE4294967295ELNS1_3gpuE0ELNS1_3repE0EEENS1_30default_config_static_selectorELNS0_4arch9wavefront6targetE0EEEvS10_, .Lfunc_end207-_ZN7rocprim17ROCPRIM_400000_NS6detail17trampoline_kernelINS0_14default_configENS1_21merge_config_selectorINS0_5tupleIJxxEEENS0_10empty_typeEEEZNS1_10merge_implIS3_NS0_12zip_iteratorINS5_IJN6thrust23THRUST_200600_302600_NS6detail15normal_iteratorINSC_10device_ptrIKxEEEESI_EEEEESK_NSA_INS5_IJNSE_INSF_IxEEEESM_EEEEEPS7_SP_SP_NSC_11hip_rocprim7__merge17predicate_wrapperIxxNSC_4lessIxEEEEEE10hipError_tPvRmT0_T1_T2_T3_T4_T5_mmT6_P12ihipStream_tbEUlT_E_NS1_11comp_targetILNS1_3genE0ELNS1_11target_archE4294967295ELNS1_3gpuE0ELNS1_3repE0EEENS1_30default_config_static_selectorELNS0_4arch9wavefront6targetE0EEEvS10_
                                        ; -- End function
	.set _ZN7rocprim17ROCPRIM_400000_NS6detail17trampoline_kernelINS0_14default_configENS1_21merge_config_selectorINS0_5tupleIJxxEEENS0_10empty_typeEEEZNS1_10merge_implIS3_NS0_12zip_iteratorINS5_IJN6thrust23THRUST_200600_302600_NS6detail15normal_iteratorINSC_10device_ptrIKxEEEESI_EEEEESK_NSA_INS5_IJNSE_INSF_IxEEEESM_EEEEEPS7_SP_SP_NSC_11hip_rocprim7__merge17predicate_wrapperIxxNSC_4lessIxEEEEEE10hipError_tPvRmT0_T1_T2_T3_T4_T5_mmT6_P12ihipStream_tbEUlT_E_NS1_11comp_targetILNS1_3genE0ELNS1_11target_archE4294967295ELNS1_3gpuE0ELNS1_3repE0EEENS1_30default_config_static_selectorELNS0_4arch9wavefront6targetE0EEEvS10_.num_vgpr, 0
	.set _ZN7rocprim17ROCPRIM_400000_NS6detail17trampoline_kernelINS0_14default_configENS1_21merge_config_selectorINS0_5tupleIJxxEEENS0_10empty_typeEEEZNS1_10merge_implIS3_NS0_12zip_iteratorINS5_IJN6thrust23THRUST_200600_302600_NS6detail15normal_iteratorINSC_10device_ptrIKxEEEESI_EEEEESK_NSA_INS5_IJNSE_INSF_IxEEEESM_EEEEEPS7_SP_SP_NSC_11hip_rocprim7__merge17predicate_wrapperIxxNSC_4lessIxEEEEEE10hipError_tPvRmT0_T1_T2_T3_T4_T5_mmT6_P12ihipStream_tbEUlT_E_NS1_11comp_targetILNS1_3genE0ELNS1_11target_archE4294967295ELNS1_3gpuE0ELNS1_3repE0EEENS1_30default_config_static_selectorELNS0_4arch9wavefront6targetE0EEEvS10_.num_agpr, 0
	.set _ZN7rocprim17ROCPRIM_400000_NS6detail17trampoline_kernelINS0_14default_configENS1_21merge_config_selectorINS0_5tupleIJxxEEENS0_10empty_typeEEEZNS1_10merge_implIS3_NS0_12zip_iteratorINS5_IJN6thrust23THRUST_200600_302600_NS6detail15normal_iteratorINSC_10device_ptrIKxEEEESI_EEEEESK_NSA_INS5_IJNSE_INSF_IxEEEESM_EEEEEPS7_SP_SP_NSC_11hip_rocprim7__merge17predicate_wrapperIxxNSC_4lessIxEEEEEE10hipError_tPvRmT0_T1_T2_T3_T4_T5_mmT6_P12ihipStream_tbEUlT_E_NS1_11comp_targetILNS1_3genE0ELNS1_11target_archE4294967295ELNS1_3gpuE0ELNS1_3repE0EEENS1_30default_config_static_selectorELNS0_4arch9wavefront6targetE0EEEvS10_.numbered_sgpr, 0
	.set _ZN7rocprim17ROCPRIM_400000_NS6detail17trampoline_kernelINS0_14default_configENS1_21merge_config_selectorINS0_5tupleIJxxEEENS0_10empty_typeEEEZNS1_10merge_implIS3_NS0_12zip_iteratorINS5_IJN6thrust23THRUST_200600_302600_NS6detail15normal_iteratorINSC_10device_ptrIKxEEEESI_EEEEESK_NSA_INS5_IJNSE_INSF_IxEEEESM_EEEEEPS7_SP_SP_NSC_11hip_rocprim7__merge17predicate_wrapperIxxNSC_4lessIxEEEEEE10hipError_tPvRmT0_T1_T2_T3_T4_T5_mmT6_P12ihipStream_tbEUlT_E_NS1_11comp_targetILNS1_3genE0ELNS1_11target_archE4294967295ELNS1_3gpuE0ELNS1_3repE0EEENS1_30default_config_static_selectorELNS0_4arch9wavefront6targetE0EEEvS10_.num_named_barrier, 0
	.set _ZN7rocprim17ROCPRIM_400000_NS6detail17trampoline_kernelINS0_14default_configENS1_21merge_config_selectorINS0_5tupleIJxxEEENS0_10empty_typeEEEZNS1_10merge_implIS3_NS0_12zip_iteratorINS5_IJN6thrust23THRUST_200600_302600_NS6detail15normal_iteratorINSC_10device_ptrIKxEEEESI_EEEEESK_NSA_INS5_IJNSE_INSF_IxEEEESM_EEEEEPS7_SP_SP_NSC_11hip_rocprim7__merge17predicate_wrapperIxxNSC_4lessIxEEEEEE10hipError_tPvRmT0_T1_T2_T3_T4_T5_mmT6_P12ihipStream_tbEUlT_E_NS1_11comp_targetILNS1_3genE0ELNS1_11target_archE4294967295ELNS1_3gpuE0ELNS1_3repE0EEENS1_30default_config_static_selectorELNS0_4arch9wavefront6targetE0EEEvS10_.private_seg_size, 0
	.set _ZN7rocprim17ROCPRIM_400000_NS6detail17trampoline_kernelINS0_14default_configENS1_21merge_config_selectorINS0_5tupleIJxxEEENS0_10empty_typeEEEZNS1_10merge_implIS3_NS0_12zip_iteratorINS5_IJN6thrust23THRUST_200600_302600_NS6detail15normal_iteratorINSC_10device_ptrIKxEEEESI_EEEEESK_NSA_INS5_IJNSE_INSF_IxEEEESM_EEEEEPS7_SP_SP_NSC_11hip_rocprim7__merge17predicate_wrapperIxxNSC_4lessIxEEEEEE10hipError_tPvRmT0_T1_T2_T3_T4_T5_mmT6_P12ihipStream_tbEUlT_E_NS1_11comp_targetILNS1_3genE0ELNS1_11target_archE4294967295ELNS1_3gpuE0ELNS1_3repE0EEENS1_30default_config_static_selectorELNS0_4arch9wavefront6targetE0EEEvS10_.uses_vcc, 0
	.set _ZN7rocprim17ROCPRIM_400000_NS6detail17trampoline_kernelINS0_14default_configENS1_21merge_config_selectorINS0_5tupleIJxxEEENS0_10empty_typeEEEZNS1_10merge_implIS3_NS0_12zip_iteratorINS5_IJN6thrust23THRUST_200600_302600_NS6detail15normal_iteratorINSC_10device_ptrIKxEEEESI_EEEEESK_NSA_INS5_IJNSE_INSF_IxEEEESM_EEEEEPS7_SP_SP_NSC_11hip_rocprim7__merge17predicate_wrapperIxxNSC_4lessIxEEEEEE10hipError_tPvRmT0_T1_T2_T3_T4_T5_mmT6_P12ihipStream_tbEUlT_E_NS1_11comp_targetILNS1_3genE0ELNS1_11target_archE4294967295ELNS1_3gpuE0ELNS1_3repE0EEENS1_30default_config_static_selectorELNS0_4arch9wavefront6targetE0EEEvS10_.uses_flat_scratch, 0
	.set _ZN7rocprim17ROCPRIM_400000_NS6detail17trampoline_kernelINS0_14default_configENS1_21merge_config_selectorINS0_5tupleIJxxEEENS0_10empty_typeEEEZNS1_10merge_implIS3_NS0_12zip_iteratorINS5_IJN6thrust23THRUST_200600_302600_NS6detail15normal_iteratorINSC_10device_ptrIKxEEEESI_EEEEESK_NSA_INS5_IJNSE_INSF_IxEEEESM_EEEEEPS7_SP_SP_NSC_11hip_rocprim7__merge17predicate_wrapperIxxNSC_4lessIxEEEEEE10hipError_tPvRmT0_T1_T2_T3_T4_T5_mmT6_P12ihipStream_tbEUlT_E_NS1_11comp_targetILNS1_3genE0ELNS1_11target_archE4294967295ELNS1_3gpuE0ELNS1_3repE0EEENS1_30default_config_static_selectorELNS0_4arch9wavefront6targetE0EEEvS10_.has_dyn_sized_stack, 0
	.set _ZN7rocprim17ROCPRIM_400000_NS6detail17trampoline_kernelINS0_14default_configENS1_21merge_config_selectorINS0_5tupleIJxxEEENS0_10empty_typeEEEZNS1_10merge_implIS3_NS0_12zip_iteratorINS5_IJN6thrust23THRUST_200600_302600_NS6detail15normal_iteratorINSC_10device_ptrIKxEEEESI_EEEEESK_NSA_INS5_IJNSE_INSF_IxEEEESM_EEEEEPS7_SP_SP_NSC_11hip_rocprim7__merge17predicate_wrapperIxxNSC_4lessIxEEEEEE10hipError_tPvRmT0_T1_T2_T3_T4_T5_mmT6_P12ihipStream_tbEUlT_E_NS1_11comp_targetILNS1_3genE0ELNS1_11target_archE4294967295ELNS1_3gpuE0ELNS1_3repE0EEENS1_30default_config_static_selectorELNS0_4arch9wavefront6targetE0EEEvS10_.has_recursion, 0
	.set _ZN7rocprim17ROCPRIM_400000_NS6detail17trampoline_kernelINS0_14default_configENS1_21merge_config_selectorINS0_5tupleIJxxEEENS0_10empty_typeEEEZNS1_10merge_implIS3_NS0_12zip_iteratorINS5_IJN6thrust23THRUST_200600_302600_NS6detail15normal_iteratorINSC_10device_ptrIKxEEEESI_EEEEESK_NSA_INS5_IJNSE_INSF_IxEEEESM_EEEEEPS7_SP_SP_NSC_11hip_rocprim7__merge17predicate_wrapperIxxNSC_4lessIxEEEEEE10hipError_tPvRmT0_T1_T2_T3_T4_T5_mmT6_P12ihipStream_tbEUlT_E_NS1_11comp_targetILNS1_3genE0ELNS1_11target_archE4294967295ELNS1_3gpuE0ELNS1_3repE0EEENS1_30default_config_static_selectorELNS0_4arch9wavefront6targetE0EEEvS10_.has_indirect_call, 0
	.section	.AMDGPU.csdata,"",@progbits
; Kernel info:
; codeLenInByte = 0
; TotalNumSgprs: 0
; NumVgprs: 0
; ScratchSize: 0
; MemoryBound: 0
; FloatMode: 240
; IeeeMode: 1
; LDSByteSize: 0 bytes/workgroup (compile time only)
; SGPRBlocks: 0
; VGPRBlocks: 0
; NumSGPRsForWavesPerEU: 1
; NumVGPRsForWavesPerEU: 1
; Occupancy: 16
; WaveLimiterHint : 0
; COMPUTE_PGM_RSRC2:SCRATCH_EN: 0
; COMPUTE_PGM_RSRC2:USER_SGPR: 6
; COMPUTE_PGM_RSRC2:TRAP_HANDLER: 0
; COMPUTE_PGM_RSRC2:TGID_X_EN: 1
; COMPUTE_PGM_RSRC2:TGID_Y_EN: 0
; COMPUTE_PGM_RSRC2:TGID_Z_EN: 0
; COMPUTE_PGM_RSRC2:TIDIG_COMP_CNT: 0
	.section	.text._ZN7rocprim17ROCPRIM_400000_NS6detail17trampoline_kernelINS0_14default_configENS1_21merge_config_selectorINS0_5tupleIJxxEEENS0_10empty_typeEEEZNS1_10merge_implIS3_NS0_12zip_iteratorINS5_IJN6thrust23THRUST_200600_302600_NS6detail15normal_iteratorINSC_10device_ptrIKxEEEESI_EEEEESK_NSA_INS5_IJNSE_INSF_IxEEEESM_EEEEEPS7_SP_SP_NSC_11hip_rocprim7__merge17predicate_wrapperIxxNSC_4lessIxEEEEEE10hipError_tPvRmT0_T1_T2_T3_T4_T5_mmT6_P12ihipStream_tbEUlT_E_NS1_11comp_targetILNS1_3genE5ELNS1_11target_archE942ELNS1_3gpuE9ELNS1_3repE0EEENS1_30default_config_static_selectorELNS0_4arch9wavefront6targetE0EEEvS10_,"axG",@progbits,_ZN7rocprim17ROCPRIM_400000_NS6detail17trampoline_kernelINS0_14default_configENS1_21merge_config_selectorINS0_5tupleIJxxEEENS0_10empty_typeEEEZNS1_10merge_implIS3_NS0_12zip_iteratorINS5_IJN6thrust23THRUST_200600_302600_NS6detail15normal_iteratorINSC_10device_ptrIKxEEEESI_EEEEESK_NSA_INS5_IJNSE_INSF_IxEEEESM_EEEEEPS7_SP_SP_NSC_11hip_rocprim7__merge17predicate_wrapperIxxNSC_4lessIxEEEEEE10hipError_tPvRmT0_T1_T2_T3_T4_T5_mmT6_P12ihipStream_tbEUlT_E_NS1_11comp_targetILNS1_3genE5ELNS1_11target_archE942ELNS1_3gpuE9ELNS1_3repE0EEENS1_30default_config_static_selectorELNS0_4arch9wavefront6targetE0EEEvS10_,comdat
	.protected	_ZN7rocprim17ROCPRIM_400000_NS6detail17trampoline_kernelINS0_14default_configENS1_21merge_config_selectorINS0_5tupleIJxxEEENS0_10empty_typeEEEZNS1_10merge_implIS3_NS0_12zip_iteratorINS5_IJN6thrust23THRUST_200600_302600_NS6detail15normal_iteratorINSC_10device_ptrIKxEEEESI_EEEEESK_NSA_INS5_IJNSE_INSF_IxEEEESM_EEEEEPS7_SP_SP_NSC_11hip_rocprim7__merge17predicate_wrapperIxxNSC_4lessIxEEEEEE10hipError_tPvRmT0_T1_T2_T3_T4_T5_mmT6_P12ihipStream_tbEUlT_E_NS1_11comp_targetILNS1_3genE5ELNS1_11target_archE942ELNS1_3gpuE9ELNS1_3repE0EEENS1_30default_config_static_selectorELNS0_4arch9wavefront6targetE0EEEvS10_ ; -- Begin function _ZN7rocprim17ROCPRIM_400000_NS6detail17trampoline_kernelINS0_14default_configENS1_21merge_config_selectorINS0_5tupleIJxxEEENS0_10empty_typeEEEZNS1_10merge_implIS3_NS0_12zip_iteratorINS5_IJN6thrust23THRUST_200600_302600_NS6detail15normal_iteratorINSC_10device_ptrIKxEEEESI_EEEEESK_NSA_INS5_IJNSE_INSF_IxEEEESM_EEEEEPS7_SP_SP_NSC_11hip_rocprim7__merge17predicate_wrapperIxxNSC_4lessIxEEEEEE10hipError_tPvRmT0_T1_T2_T3_T4_T5_mmT6_P12ihipStream_tbEUlT_E_NS1_11comp_targetILNS1_3genE5ELNS1_11target_archE942ELNS1_3gpuE9ELNS1_3repE0EEENS1_30default_config_static_selectorELNS0_4arch9wavefront6targetE0EEEvS10_
	.globl	_ZN7rocprim17ROCPRIM_400000_NS6detail17trampoline_kernelINS0_14default_configENS1_21merge_config_selectorINS0_5tupleIJxxEEENS0_10empty_typeEEEZNS1_10merge_implIS3_NS0_12zip_iteratorINS5_IJN6thrust23THRUST_200600_302600_NS6detail15normal_iteratorINSC_10device_ptrIKxEEEESI_EEEEESK_NSA_INS5_IJNSE_INSF_IxEEEESM_EEEEEPS7_SP_SP_NSC_11hip_rocprim7__merge17predicate_wrapperIxxNSC_4lessIxEEEEEE10hipError_tPvRmT0_T1_T2_T3_T4_T5_mmT6_P12ihipStream_tbEUlT_E_NS1_11comp_targetILNS1_3genE5ELNS1_11target_archE942ELNS1_3gpuE9ELNS1_3repE0EEENS1_30default_config_static_selectorELNS0_4arch9wavefront6targetE0EEEvS10_
	.p2align	8
	.type	_ZN7rocprim17ROCPRIM_400000_NS6detail17trampoline_kernelINS0_14default_configENS1_21merge_config_selectorINS0_5tupleIJxxEEENS0_10empty_typeEEEZNS1_10merge_implIS3_NS0_12zip_iteratorINS5_IJN6thrust23THRUST_200600_302600_NS6detail15normal_iteratorINSC_10device_ptrIKxEEEESI_EEEEESK_NSA_INS5_IJNSE_INSF_IxEEEESM_EEEEEPS7_SP_SP_NSC_11hip_rocprim7__merge17predicate_wrapperIxxNSC_4lessIxEEEEEE10hipError_tPvRmT0_T1_T2_T3_T4_T5_mmT6_P12ihipStream_tbEUlT_E_NS1_11comp_targetILNS1_3genE5ELNS1_11target_archE942ELNS1_3gpuE9ELNS1_3repE0EEENS1_30default_config_static_selectorELNS0_4arch9wavefront6targetE0EEEvS10_,@function
_ZN7rocprim17ROCPRIM_400000_NS6detail17trampoline_kernelINS0_14default_configENS1_21merge_config_selectorINS0_5tupleIJxxEEENS0_10empty_typeEEEZNS1_10merge_implIS3_NS0_12zip_iteratorINS5_IJN6thrust23THRUST_200600_302600_NS6detail15normal_iteratorINSC_10device_ptrIKxEEEESI_EEEEESK_NSA_INS5_IJNSE_INSF_IxEEEESM_EEEEEPS7_SP_SP_NSC_11hip_rocprim7__merge17predicate_wrapperIxxNSC_4lessIxEEEEEE10hipError_tPvRmT0_T1_T2_T3_T4_T5_mmT6_P12ihipStream_tbEUlT_E_NS1_11comp_targetILNS1_3genE5ELNS1_11target_archE942ELNS1_3gpuE9ELNS1_3repE0EEENS1_30default_config_static_selectorELNS0_4arch9wavefront6targetE0EEEvS10_: ; @_ZN7rocprim17ROCPRIM_400000_NS6detail17trampoline_kernelINS0_14default_configENS1_21merge_config_selectorINS0_5tupleIJxxEEENS0_10empty_typeEEEZNS1_10merge_implIS3_NS0_12zip_iteratorINS5_IJN6thrust23THRUST_200600_302600_NS6detail15normal_iteratorINSC_10device_ptrIKxEEEESI_EEEEESK_NSA_INS5_IJNSE_INSF_IxEEEESM_EEEEEPS7_SP_SP_NSC_11hip_rocprim7__merge17predicate_wrapperIxxNSC_4lessIxEEEEEE10hipError_tPvRmT0_T1_T2_T3_T4_T5_mmT6_P12ihipStream_tbEUlT_E_NS1_11comp_targetILNS1_3genE5ELNS1_11target_archE942ELNS1_3gpuE9ELNS1_3repE0EEENS1_30default_config_static_selectorELNS0_4arch9wavefront6targetE0EEEvS10_
; %bb.0:
	.section	.rodata,"a",@progbits
	.p2align	6, 0x0
	.amdhsa_kernel _ZN7rocprim17ROCPRIM_400000_NS6detail17trampoline_kernelINS0_14default_configENS1_21merge_config_selectorINS0_5tupleIJxxEEENS0_10empty_typeEEEZNS1_10merge_implIS3_NS0_12zip_iteratorINS5_IJN6thrust23THRUST_200600_302600_NS6detail15normal_iteratorINSC_10device_ptrIKxEEEESI_EEEEESK_NSA_INS5_IJNSE_INSF_IxEEEESM_EEEEEPS7_SP_SP_NSC_11hip_rocprim7__merge17predicate_wrapperIxxNSC_4lessIxEEEEEE10hipError_tPvRmT0_T1_T2_T3_T4_T5_mmT6_P12ihipStream_tbEUlT_E_NS1_11comp_targetILNS1_3genE5ELNS1_11target_archE942ELNS1_3gpuE9ELNS1_3repE0EEENS1_30default_config_static_selectorELNS0_4arch9wavefront6targetE0EEEvS10_
		.amdhsa_group_segment_fixed_size 0
		.amdhsa_private_segment_fixed_size 0
		.amdhsa_kernarg_size 64
		.amdhsa_user_sgpr_count 6
		.amdhsa_user_sgpr_private_segment_buffer 1
		.amdhsa_user_sgpr_dispatch_ptr 0
		.amdhsa_user_sgpr_queue_ptr 0
		.amdhsa_user_sgpr_kernarg_segment_ptr 1
		.amdhsa_user_sgpr_dispatch_id 0
		.amdhsa_user_sgpr_flat_scratch_init 0
		.amdhsa_user_sgpr_private_segment_size 0
		.amdhsa_wavefront_size32 1
		.amdhsa_uses_dynamic_stack 0
		.amdhsa_system_sgpr_private_segment_wavefront_offset 0
		.amdhsa_system_sgpr_workgroup_id_x 1
		.amdhsa_system_sgpr_workgroup_id_y 0
		.amdhsa_system_sgpr_workgroup_id_z 0
		.amdhsa_system_sgpr_workgroup_info 0
		.amdhsa_system_vgpr_workitem_id 0
		.amdhsa_next_free_vgpr 1
		.amdhsa_next_free_sgpr 1
		.amdhsa_reserve_vcc 0
		.amdhsa_reserve_flat_scratch 0
		.amdhsa_float_round_mode_32 0
		.amdhsa_float_round_mode_16_64 0
		.amdhsa_float_denorm_mode_32 3
		.amdhsa_float_denorm_mode_16_64 3
		.amdhsa_dx10_clamp 1
		.amdhsa_ieee_mode 1
		.amdhsa_fp16_overflow 0
		.amdhsa_workgroup_processor_mode 1
		.amdhsa_memory_ordered 1
		.amdhsa_forward_progress 1
		.amdhsa_shared_vgpr_count 0
		.amdhsa_exception_fp_ieee_invalid_op 0
		.amdhsa_exception_fp_denorm_src 0
		.amdhsa_exception_fp_ieee_div_zero 0
		.amdhsa_exception_fp_ieee_overflow 0
		.amdhsa_exception_fp_ieee_underflow 0
		.amdhsa_exception_fp_ieee_inexact 0
		.amdhsa_exception_int_div_zero 0
	.end_amdhsa_kernel
	.section	.text._ZN7rocprim17ROCPRIM_400000_NS6detail17trampoline_kernelINS0_14default_configENS1_21merge_config_selectorINS0_5tupleIJxxEEENS0_10empty_typeEEEZNS1_10merge_implIS3_NS0_12zip_iteratorINS5_IJN6thrust23THRUST_200600_302600_NS6detail15normal_iteratorINSC_10device_ptrIKxEEEESI_EEEEESK_NSA_INS5_IJNSE_INSF_IxEEEESM_EEEEEPS7_SP_SP_NSC_11hip_rocprim7__merge17predicate_wrapperIxxNSC_4lessIxEEEEEE10hipError_tPvRmT0_T1_T2_T3_T4_T5_mmT6_P12ihipStream_tbEUlT_E_NS1_11comp_targetILNS1_3genE5ELNS1_11target_archE942ELNS1_3gpuE9ELNS1_3repE0EEENS1_30default_config_static_selectorELNS0_4arch9wavefront6targetE0EEEvS10_,"axG",@progbits,_ZN7rocprim17ROCPRIM_400000_NS6detail17trampoline_kernelINS0_14default_configENS1_21merge_config_selectorINS0_5tupleIJxxEEENS0_10empty_typeEEEZNS1_10merge_implIS3_NS0_12zip_iteratorINS5_IJN6thrust23THRUST_200600_302600_NS6detail15normal_iteratorINSC_10device_ptrIKxEEEESI_EEEEESK_NSA_INS5_IJNSE_INSF_IxEEEESM_EEEEEPS7_SP_SP_NSC_11hip_rocprim7__merge17predicate_wrapperIxxNSC_4lessIxEEEEEE10hipError_tPvRmT0_T1_T2_T3_T4_T5_mmT6_P12ihipStream_tbEUlT_E_NS1_11comp_targetILNS1_3genE5ELNS1_11target_archE942ELNS1_3gpuE9ELNS1_3repE0EEENS1_30default_config_static_selectorELNS0_4arch9wavefront6targetE0EEEvS10_,comdat
.Lfunc_end208:
	.size	_ZN7rocprim17ROCPRIM_400000_NS6detail17trampoline_kernelINS0_14default_configENS1_21merge_config_selectorINS0_5tupleIJxxEEENS0_10empty_typeEEEZNS1_10merge_implIS3_NS0_12zip_iteratorINS5_IJN6thrust23THRUST_200600_302600_NS6detail15normal_iteratorINSC_10device_ptrIKxEEEESI_EEEEESK_NSA_INS5_IJNSE_INSF_IxEEEESM_EEEEEPS7_SP_SP_NSC_11hip_rocprim7__merge17predicate_wrapperIxxNSC_4lessIxEEEEEE10hipError_tPvRmT0_T1_T2_T3_T4_T5_mmT6_P12ihipStream_tbEUlT_E_NS1_11comp_targetILNS1_3genE5ELNS1_11target_archE942ELNS1_3gpuE9ELNS1_3repE0EEENS1_30default_config_static_selectorELNS0_4arch9wavefront6targetE0EEEvS10_, .Lfunc_end208-_ZN7rocprim17ROCPRIM_400000_NS6detail17trampoline_kernelINS0_14default_configENS1_21merge_config_selectorINS0_5tupleIJxxEEENS0_10empty_typeEEEZNS1_10merge_implIS3_NS0_12zip_iteratorINS5_IJN6thrust23THRUST_200600_302600_NS6detail15normal_iteratorINSC_10device_ptrIKxEEEESI_EEEEESK_NSA_INS5_IJNSE_INSF_IxEEEESM_EEEEEPS7_SP_SP_NSC_11hip_rocprim7__merge17predicate_wrapperIxxNSC_4lessIxEEEEEE10hipError_tPvRmT0_T1_T2_T3_T4_T5_mmT6_P12ihipStream_tbEUlT_E_NS1_11comp_targetILNS1_3genE5ELNS1_11target_archE942ELNS1_3gpuE9ELNS1_3repE0EEENS1_30default_config_static_selectorELNS0_4arch9wavefront6targetE0EEEvS10_
                                        ; -- End function
	.set _ZN7rocprim17ROCPRIM_400000_NS6detail17trampoline_kernelINS0_14default_configENS1_21merge_config_selectorINS0_5tupleIJxxEEENS0_10empty_typeEEEZNS1_10merge_implIS3_NS0_12zip_iteratorINS5_IJN6thrust23THRUST_200600_302600_NS6detail15normal_iteratorINSC_10device_ptrIKxEEEESI_EEEEESK_NSA_INS5_IJNSE_INSF_IxEEEESM_EEEEEPS7_SP_SP_NSC_11hip_rocprim7__merge17predicate_wrapperIxxNSC_4lessIxEEEEEE10hipError_tPvRmT0_T1_T2_T3_T4_T5_mmT6_P12ihipStream_tbEUlT_E_NS1_11comp_targetILNS1_3genE5ELNS1_11target_archE942ELNS1_3gpuE9ELNS1_3repE0EEENS1_30default_config_static_selectorELNS0_4arch9wavefront6targetE0EEEvS10_.num_vgpr, 0
	.set _ZN7rocprim17ROCPRIM_400000_NS6detail17trampoline_kernelINS0_14default_configENS1_21merge_config_selectorINS0_5tupleIJxxEEENS0_10empty_typeEEEZNS1_10merge_implIS3_NS0_12zip_iteratorINS5_IJN6thrust23THRUST_200600_302600_NS6detail15normal_iteratorINSC_10device_ptrIKxEEEESI_EEEEESK_NSA_INS5_IJNSE_INSF_IxEEEESM_EEEEEPS7_SP_SP_NSC_11hip_rocprim7__merge17predicate_wrapperIxxNSC_4lessIxEEEEEE10hipError_tPvRmT0_T1_T2_T3_T4_T5_mmT6_P12ihipStream_tbEUlT_E_NS1_11comp_targetILNS1_3genE5ELNS1_11target_archE942ELNS1_3gpuE9ELNS1_3repE0EEENS1_30default_config_static_selectorELNS0_4arch9wavefront6targetE0EEEvS10_.num_agpr, 0
	.set _ZN7rocprim17ROCPRIM_400000_NS6detail17trampoline_kernelINS0_14default_configENS1_21merge_config_selectorINS0_5tupleIJxxEEENS0_10empty_typeEEEZNS1_10merge_implIS3_NS0_12zip_iteratorINS5_IJN6thrust23THRUST_200600_302600_NS6detail15normal_iteratorINSC_10device_ptrIKxEEEESI_EEEEESK_NSA_INS5_IJNSE_INSF_IxEEEESM_EEEEEPS7_SP_SP_NSC_11hip_rocprim7__merge17predicate_wrapperIxxNSC_4lessIxEEEEEE10hipError_tPvRmT0_T1_T2_T3_T4_T5_mmT6_P12ihipStream_tbEUlT_E_NS1_11comp_targetILNS1_3genE5ELNS1_11target_archE942ELNS1_3gpuE9ELNS1_3repE0EEENS1_30default_config_static_selectorELNS0_4arch9wavefront6targetE0EEEvS10_.numbered_sgpr, 0
	.set _ZN7rocprim17ROCPRIM_400000_NS6detail17trampoline_kernelINS0_14default_configENS1_21merge_config_selectorINS0_5tupleIJxxEEENS0_10empty_typeEEEZNS1_10merge_implIS3_NS0_12zip_iteratorINS5_IJN6thrust23THRUST_200600_302600_NS6detail15normal_iteratorINSC_10device_ptrIKxEEEESI_EEEEESK_NSA_INS5_IJNSE_INSF_IxEEEESM_EEEEEPS7_SP_SP_NSC_11hip_rocprim7__merge17predicate_wrapperIxxNSC_4lessIxEEEEEE10hipError_tPvRmT0_T1_T2_T3_T4_T5_mmT6_P12ihipStream_tbEUlT_E_NS1_11comp_targetILNS1_3genE5ELNS1_11target_archE942ELNS1_3gpuE9ELNS1_3repE0EEENS1_30default_config_static_selectorELNS0_4arch9wavefront6targetE0EEEvS10_.num_named_barrier, 0
	.set _ZN7rocprim17ROCPRIM_400000_NS6detail17trampoline_kernelINS0_14default_configENS1_21merge_config_selectorINS0_5tupleIJxxEEENS0_10empty_typeEEEZNS1_10merge_implIS3_NS0_12zip_iteratorINS5_IJN6thrust23THRUST_200600_302600_NS6detail15normal_iteratorINSC_10device_ptrIKxEEEESI_EEEEESK_NSA_INS5_IJNSE_INSF_IxEEEESM_EEEEEPS7_SP_SP_NSC_11hip_rocprim7__merge17predicate_wrapperIxxNSC_4lessIxEEEEEE10hipError_tPvRmT0_T1_T2_T3_T4_T5_mmT6_P12ihipStream_tbEUlT_E_NS1_11comp_targetILNS1_3genE5ELNS1_11target_archE942ELNS1_3gpuE9ELNS1_3repE0EEENS1_30default_config_static_selectorELNS0_4arch9wavefront6targetE0EEEvS10_.private_seg_size, 0
	.set _ZN7rocprim17ROCPRIM_400000_NS6detail17trampoline_kernelINS0_14default_configENS1_21merge_config_selectorINS0_5tupleIJxxEEENS0_10empty_typeEEEZNS1_10merge_implIS3_NS0_12zip_iteratorINS5_IJN6thrust23THRUST_200600_302600_NS6detail15normal_iteratorINSC_10device_ptrIKxEEEESI_EEEEESK_NSA_INS5_IJNSE_INSF_IxEEEESM_EEEEEPS7_SP_SP_NSC_11hip_rocprim7__merge17predicate_wrapperIxxNSC_4lessIxEEEEEE10hipError_tPvRmT0_T1_T2_T3_T4_T5_mmT6_P12ihipStream_tbEUlT_E_NS1_11comp_targetILNS1_3genE5ELNS1_11target_archE942ELNS1_3gpuE9ELNS1_3repE0EEENS1_30default_config_static_selectorELNS0_4arch9wavefront6targetE0EEEvS10_.uses_vcc, 0
	.set _ZN7rocprim17ROCPRIM_400000_NS6detail17trampoline_kernelINS0_14default_configENS1_21merge_config_selectorINS0_5tupleIJxxEEENS0_10empty_typeEEEZNS1_10merge_implIS3_NS0_12zip_iteratorINS5_IJN6thrust23THRUST_200600_302600_NS6detail15normal_iteratorINSC_10device_ptrIKxEEEESI_EEEEESK_NSA_INS5_IJNSE_INSF_IxEEEESM_EEEEEPS7_SP_SP_NSC_11hip_rocprim7__merge17predicate_wrapperIxxNSC_4lessIxEEEEEE10hipError_tPvRmT0_T1_T2_T3_T4_T5_mmT6_P12ihipStream_tbEUlT_E_NS1_11comp_targetILNS1_3genE5ELNS1_11target_archE942ELNS1_3gpuE9ELNS1_3repE0EEENS1_30default_config_static_selectorELNS0_4arch9wavefront6targetE0EEEvS10_.uses_flat_scratch, 0
	.set _ZN7rocprim17ROCPRIM_400000_NS6detail17trampoline_kernelINS0_14default_configENS1_21merge_config_selectorINS0_5tupleIJxxEEENS0_10empty_typeEEEZNS1_10merge_implIS3_NS0_12zip_iteratorINS5_IJN6thrust23THRUST_200600_302600_NS6detail15normal_iteratorINSC_10device_ptrIKxEEEESI_EEEEESK_NSA_INS5_IJNSE_INSF_IxEEEESM_EEEEEPS7_SP_SP_NSC_11hip_rocprim7__merge17predicate_wrapperIxxNSC_4lessIxEEEEEE10hipError_tPvRmT0_T1_T2_T3_T4_T5_mmT6_P12ihipStream_tbEUlT_E_NS1_11comp_targetILNS1_3genE5ELNS1_11target_archE942ELNS1_3gpuE9ELNS1_3repE0EEENS1_30default_config_static_selectorELNS0_4arch9wavefront6targetE0EEEvS10_.has_dyn_sized_stack, 0
	.set _ZN7rocprim17ROCPRIM_400000_NS6detail17trampoline_kernelINS0_14default_configENS1_21merge_config_selectorINS0_5tupleIJxxEEENS0_10empty_typeEEEZNS1_10merge_implIS3_NS0_12zip_iteratorINS5_IJN6thrust23THRUST_200600_302600_NS6detail15normal_iteratorINSC_10device_ptrIKxEEEESI_EEEEESK_NSA_INS5_IJNSE_INSF_IxEEEESM_EEEEEPS7_SP_SP_NSC_11hip_rocprim7__merge17predicate_wrapperIxxNSC_4lessIxEEEEEE10hipError_tPvRmT0_T1_T2_T3_T4_T5_mmT6_P12ihipStream_tbEUlT_E_NS1_11comp_targetILNS1_3genE5ELNS1_11target_archE942ELNS1_3gpuE9ELNS1_3repE0EEENS1_30default_config_static_selectorELNS0_4arch9wavefront6targetE0EEEvS10_.has_recursion, 0
	.set _ZN7rocprim17ROCPRIM_400000_NS6detail17trampoline_kernelINS0_14default_configENS1_21merge_config_selectorINS0_5tupleIJxxEEENS0_10empty_typeEEEZNS1_10merge_implIS3_NS0_12zip_iteratorINS5_IJN6thrust23THRUST_200600_302600_NS6detail15normal_iteratorINSC_10device_ptrIKxEEEESI_EEEEESK_NSA_INS5_IJNSE_INSF_IxEEEESM_EEEEEPS7_SP_SP_NSC_11hip_rocprim7__merge17predicate_wrapperIxxNSC_4lessIxEEEEEE10hipError_tPvRmT0_T1_T2_T3_T4_T5_mmT6_P12ihipStream_tbEUlT_E_NS1_11comp_targetILNS1_3genE5ELNS1_11target_archE942ELNS1_3gpuE9ELNS1_3repE0EEENS1_30default_config_static_selectorELNS0_4arch9wavefront6targetE0EEEvS10_.has_indirect_call, 0
	.section	.AMDGPU.csdata,"",@progbits
; Kernel info:
; codeLenInByte = 0
; TotalNumSgprs: 0
; NumVgprs: 0
; ScratchSize: 0
; MemoryBound: 0
; FloatMode: 240
; IeeeMode: 1
; LDSByteSize: 0 bytes/workgroup (compile time only)
; SGPRBlocks: 0
; VGPRBlocks: 0
; NumSGPRsForWavesPerEU: 1
; NumVGPRsForWavesPerEU: 1
; Occupancy: 16
; WaveLimiterHint : 0
; COMPUTE_PGM_RSRC2:SCRATCH_EN: 0
; COMPUTE_PGM_RSRC2:USER_SGPR: 6
; COMPUTE_PGM_RSRC2:TRAP_HANDLER: 0
; COMPUTE_PGM_RSRC2:TGID_X_EN: 1
; COMPUTE_PGM_RSRC2:TGID_Y_EN: 0
; COMPUTE_PGM_RSRC2:TGID_Z_EN: 0
; COMPUTE_PGM_RSRC2:TIDIG_COMP_CNT: 0
	.section	.text._ZN7rocprim17ROCPRIM_400000_NS6detail17trampoline_kernelINS0_14default_configENS1_21merge_config_selectorINS0_5tupleIJxxEEENS0_10empty_typeEEEZNS1_10merge_implIS3_NS0_12zip_iteratorINS5_IJN6thrust23THRUST_200600_302600_NS6detail15normal_iteratorINSC_10device_ptrIKxEEEESI_EEEEESK_NSA_INS5_IJNSE_INSF_IxEEEESM_EEEEEPS7_SP_SP_NSC_11hip_rocprim7__merge17predicate_wrapperIxxNSC_4lessIxEEEEEE10hipError_tPvRmT0_T1_T2_T3_T4_T5_mmT6_P12ihipStream_tbEUlT_E_NS1_11comp_targetILNS1_3genE4ELNS1_11target_archE910ELNS1_3gpuE8ELNS1_3repE0EEENS1_30default_config_static_selectorELNS0_4arch9wavefront6targetE0EEEvS10_,"axG",@progbits,_ZN7rocprim17ROCPRIM_400000_NS6detail17trampoline_kernelINS0_14default_configENS1_21merge_config_selectorINS0_5tupleIJxxEEENS0_10empty_typeEEEZNS1_10merge_implIS3_NS0_12zip_iteratorINS5_IJN6thrust23THRUST_200600_302600_NS6detail15normal_iteratorINSC_10device_ptrIKxEEEESI_EEEEESK_NSA_INS5_IJNSE_INSF_IxEEEESM_EEEEEPS7_SP_SP_NSC_11hip_rocprim7__merge17predicate_wrapperIxxNSC_4lessIxEEEEEE10hipError_tPvRmT0_T1_T2_T3_T4_T5_mmT6_P12ihipStream_tbEUlT_E_NS1_11comp_targetILNS1_3genE4ELNS1_11target_archE910ELNS1_3gpuE8ELNS1_3repE0EEENS1_30default_config_static_selectorELNS0_4arch9wavefront6targetE0EEEvS10_,comdat
	.protected	_ZN7rocprim17ROCPRIM_400000_NS6detail17trampoline_kernelINS0_14default_configENS1_21merge_config_selectorINS0_5tupleIJxxEEENS0_10empty_typeEEEZNS1_10merge_implIS3_NS0_12zip_iteratorINS5_IJN6thrust23THRUST_200600_302600_NS6detail15normal_iteratorINSC_10device_ptrIKxEEEESI_EEEEESK_NSA_INS5_IJNSE_INSF_IxEEEESM_EEEEEPS7_SP_SP_NSC_11hip_rocprim7__merge17predicate_wrapperIxxNSC_4lessIxEEEEEE10hipError_tPvRmT0_T1_T2_T3_T4_T5_mmT6_P12ihipStream_tbEUlT_E_NS1_11comp_targetILNS1_3genE4ELNS1_11target_archE910ELNS1_3gpuE8ELNS1_3repE0EEENS1_30default_config_static_selectorELNS0_4arch9wavefront6targetE0EEEvS10_ ; -- Begin function _ZN7rocprim17ROCPRIM_400000_NS6detail17trampoline_kernelINS0_14default_configENS1_21merge_config_selectorINS0_5tupleIJxxEEENS0_10empty_typeEEEZNS1_10merge_implIS3_NS0_12zip_iteratorINS5_IJN6thrust23THRUST_200600_302600_NS6detail15normal_iteratorINSC_10device_ptrIKxEEEESI_EEEEESK_NSA_INS5_IJNSE_INSF_IxEEEESM_EEEEEPS7_SP_SP_NSC_11hip_rocprim7__merge17predicate_wrapperIxxNSC_4lessIxEEEEEE10hipError_tPvRmT0_T1_T2_T3_T4_T5_mmT6_P12ihipStream_tbEUlT_E_NS1_11comp_targetILNS1_3genE4ELNS1_11target_archE910ELNS1_3gpuE8ELNS1_3repE0EEENS1_30default_config_static_selectorELNS0_4arch9wavefront6targetE0EEEvS10_
	.globl	_ZN7rocprim17ROCPRIM_400000_NS6detail17trampoline_kernelINS0_14default_configENS1_21merge_config_selectorINS0_5tupleIJxxEEENS0_10empty_typeEEEZNS1_10merge_implIS3_NS0_12zip_iteratorINS5_IJN6thrust23THRUST_200600_302600_NS6detail15normal_iteratorINSC_10device_ptrIKxEEEESI_EEEEESK_NSA_INS5_IJNSE_INSF_IxEEEESM_EEEEEPS7_SP_SP_NSC_11hip_rocprim7__merge17predicate_wrapperIxxNSC_4lessIxEEEEEE10hipError_tPvRmT0_T1_T2_T3_T4_T5_mmT6_P12ihipStream_tbEUlT_E_NS1_11comp_targetILNS1_3genE4ELNS1_11target_archE910ELNS1_3gpuE8ELNS1_3repE0EEENS1_30default_config_static_selectorELNS0_4arch9wavefront6targetE0EEEvS10_
	.p2align	8
	.type	_ZN7rocprim17ROCPRIM_400000_NS6detail17trampoline_kernelINS0_14default_configENS1_21merge_config_selectorINS0_5tupleIJxxEEENS0_10empty_typeEEEZNS1_10merge_implIS3_NS0_12zip_iteratorINS5_IJN6thrust23THRUST_200600_302600_NS6detail15normal_iteratorINSC_10device_ptrIKxEEEESI_EEEEESK_NSA_INS5_IJNSE_INSF_IxEEEESM_EEEEEPS7_SP_SP_NSC_11hip_rocprim7__merge17predicate_wrapperIxxNSC_4lessIxEEEEEE10hipError_tPvRmT0_T1_T2_T3_T4_T5_mmT6_P12ihipStream_tbEUlT_E_NS1_11comp_targetILNS1_3genE4ELNS1_11target_archE910ELNS1_3gpuE8ELNS1_3repE0EEENS1_30default_config_static_selectorELNS0_4arch9wavefront6targetE0EEEvS10_,@function
_ZN7rocprim17ROCPRIM_400000_NS6detail17trampoline_kernelINS0_14default_configENS1_21merge_config_selectorINS0_5tupleIJxxEEENS0_10empty_typeEEEZNS1_10merge_implIS3_NS0_12zip_iteratorINS5_IJN6thrust23THRUST_200600_302600_NS6detail15normal_iteratorINSC_10device_ptrIKxEEEESI_EEEEESK_NSA_INS5_IJNSE_INSF_IxEEEESM_EEEEEPS7_SP_SP_NSC_11hip_rocprim7__merge17predicate_wrapperIxxNSC_4lessIxEEEEEE10hipError_tPvRmT0_T1_T2_T3_T4_T5_mmT6_P12ihipStream_tbEUlT_E_NS1_11comp_targetILNS1_3genE4ELNS1_11target_archE910ELNS1_3gpuE8ELNS1_3repE0EEENS1_30default_config_static_selectorELNS0_4arch9wavefront6targetE0EEEvS10_: ; @_ZN7rocprim17ROCPRIM_400000_NS6detail17trampoline_kernelINS0_14default_configENS1_21merge_config_selectorINS0_5tupleIJxxEEENS0_10empty_typeEEEZNS1_10merge_implIS3_NS0_12zip_iteratorINS5_IJN6thrust23THRUST_200600_302600_NS6detail15normal_iteratorINSC_10device_ptrIKxEEEESI_EEEEESK_NSA_INS5_IJNSE_INSF_IxEEEESM_EEEEEPS7_SP_SP_NSC_11hip_rocprim7__merge17predicate_wrapperIxxNSC_4lessIxEEEEEE10hipError_tPvRmT0_T1_T2_T3_T4_T5_mmT6_P12ihipStream_tbEUlT_E_NS1_11comp_targetILNS1_3genE4ELNS1_11target_archE910ELNS1_3gpuE8ELNS1_3repE0EEENS1_30default_config_static_selectorELNS0_4arch9wavefront6targetE0EEEvS10_
; %bb.0:
	.section	.rodata,"a",@progbits
	.p2align	6, 0x0
	.amdhsa_kernel _ZN7rocprim17ROCPRIM_400000_NS6detail17trampoline_kernelINS0_14default_configENS1_21merge_config_selectorINS0_5tupleIJxxEEENS0_10empty_typeEEEZNS1_10merge_implIS3_NS0_12zip_iteratorINS5_IJN6thrust23THRUST_200600_302600_NS6detail15normal_iteratorINSC_10device_ptrIKxEEEESI_EEEEESK_NSA_INS5_IJNSE_INSF_IxEEEESM_EEEEEPS7_SP_SP_NSC_11hip_rocprim7__merge17predicate_wrapperIxxNSC_4lessIxEEEEEE10hipError_tPvRmT0_T1_T2_T3_T4_T5_mmT6_P12ihipStream_tbEUlT_E_NS1_11comp_targetILNS1_3genE4ELNS1_11target_archE910ELNS1_3gpuE8ELNS1_3repE0EEENS1_30default_config_static_selectorELNS0_4arch9wavefront6targetE0EEEvS10_
		.amdhsa_group_segment_fixed_size 0
		.amdhsa_private_segment_fixed_size 0
		.amdhsa_kernarg_size 64
		.amdhsa_user_sgpr_count 6
		.amdhsa_user_sgpr_private_segment_buffer 1
		.amdhsa_user_sgpr_dispatch_ptr 0
		.amdhsa_user_sgpr_queue_ptr 0
		.amdhsa_user_sgpr_kernarg_segment_ptr 1
		.amdhsa_user_sgpr_dispatch_id 0
		.amdhsa_user_sgpr_flat_scratch_init 0
		.amdhsa_user_sgpr_private_segment_size 0
		.amdhsa_wavefront_size32 1
		.amdhsa_uses_dynamic_stack 0
		.amdhsa_system_sgpr_private_segment_wavefront_offset 0
		.amdhsa_system_sgpr_workgroup_id_x 1
		.amdhsa_system_sgpr_workgroup_id_y 0
		.amdhsa_system_sgpr_workgroup_id_z 0
		.amdhsa_system_sgpr_workgroup_info 0
		.amdhsa_system_vgpr_workitem_id 0
		.amdhsa_next_free_vgpr 1
		.amdhsa_next_free_sgpr 1
		.amdhsa_reserve_vcc 0
		.amdhsa_reserve_flat_scratch 0
		.amdhsa_float_round_mode_32 0
		.amdhsa_float_round_mode_16_64 0
		.amdhsa_float_denorm_mode_32 3
		.amdhsa_float_denorm_mode_16_64 3
		.amdhsa_dx10_clamp 1
		.amdhsa_ieee_mode 1
		.amdhsa_fp16_overflow 0
		.amdhsa_workgroup_processor_mode 1
		.amdhsa_memory_ordered 1
		.amdhsa_forward_progress 1
		.amdhsa_shared_vgpr_count 0
		.amdhsa_exception_fp_ieee_invalid_op 0
		.amdhsa_exception_fp_denorm_src 0
		.amdhsa_exception_fp_ieee_div_zero 0
		.amdhsa_exception_fp_ieee_overflow 0
		.amdhsa_exception_fp_ieee_underflow 0
		.amdhsa_exception_fp_ieee_inexact 0
		.amdhsa_exception_int_div_zero 0
	.end_amdhsa_kernel
	.section	.text._ZN7rocprim17ROCPRIM_400000_NS6detail17trampoline_kernelINS0_14default_configENS1_21merge_config_selectorINS0_5tupleIJxxEEENS0_10empty_typeEEEZNS1_10merge_implIS3_NS0_12zip_iteratorINS5_IJN6thrust23THRUST_200600_302600_NS6detail15normal_iteratorINSC_10device_ptrIKxEEEESI_EEEEESK_NSA_INS5_IJNSE_INSF_IxEEEESM_EEEEEPS7_SP_SP_NSC_11hip_rocprim7__merge17predicate_wrapperIxxNSC_4lessIxEEEEEE10hipError_tPvRmT0_T1_T2_T3_T4_T5_mmT6_P12ihipStream_tbEUlT_E_NS1_11comp_targetILNS1_3genE4ELNS1_11target_archE910ELNS1_3gpuE8ELNS1_3repE0EEENS1_30default_config_static_selectorELNS0_4arch9wavefront6targetE0EEEvS10_,"axG",@progbits,_ZN7rocprim17ROCPRIM_400000_NS6detail17trampoline_kernelINS0_14default_configENS1_21merge_config_selectorINS0_5tupleIJxxEEENS0_10empty_typeEEEZNS1_10merge_implIS3_NS0_12zip_iteratorINS5_IJN6thrust23THRUST_200600_302600_NS6detail15normal_iteratorINSC_10device_ptrIKxEEEESI_EEEEESK_NSA_INS5_IJNSE_INSF_IxEEEESM_EEEEEPS7_SP_SP_NSC_11hip_rocprim7__merge17predicate_wrapperIxxNSC_4lessIxEEEEEE10hipError_tPvRmT0_T1_T2_T3_T4_T5_mmT6_P12ihipStream_tbEUlT_E_NS1_11comp_targetILNS1_3genE4ELNS1_11target_archE910ELNS1_3gpuE8ELNS1_3repE0EEENS1_30default_config_static_selectorELNS0_4arch9wavefront6targetE0EEEvS10_,comdat
.Lfunc_end209:
	.size	_ZN7rocprim17ROCPRIM_400000_NS6detail17trampoline_kernelINS0_14default_configENS1_21merge_config_selectorINS0_5tupleIJxxEEENS0_10empty_typeEEEZNS1_10merge_implIS3_NS0_12zip_iteratorINS5_IJN6thrust23THRUST_200600_302600_NS6detail15normal_iteratorINSC_10device_ptrIKxEEEESI_EEEEESK_NSA_INS5_IJNSE_INSF_IxEEEESM_EEEEEPS7_SP_SP_NSC_11hip_rocprim7__merge17predicate_wrapperIxxNSC_4lessIxEEEEEE10hipError_tPvRmT0_T1_T2_T3_T4_T5_mmT6_P12ihipStream_tbEUlT_E_NS1_11comp_targetILNS1_3genE4ELNS1_11target_archE910ELNS1_3gpuE8ELNS1_3repE0EEENS1_30default_config_static_selectorELNS0_4arch9wavefront6targetE0EEEvS10_, .Lfunc_end209-_ZN7rocprim17ROCPRIM_400000_NS6detail17trampoline_kernelINS0_14default_configENS1_21merge_config_selectorINS0_5tupleIJxxEEENS0_10empty_typeEEEZNS1_10merge_implIS3_NS0_12zip_iteratorINS5_IJN6thrust23THRUST_200600_302600_NS6detail15normal_iteratorINSC_10device_ptrIKxEEEESI_EEEEESK_NSA_INS5_IJNSE_INSF_IxEEEESM_EEEEEPS7_SP_SP_NSC_11hip_rocprim7__merge17predicate_wrapperIxxNSC_4lessIxEEEEEE10hipError_tPvRmT0_T1_T2_T3_T4_T5_mmT6_P12ihipStream_tbEUlT_E_NS1_11comp_targetILNS1_3genE4ELNS1_11target_archE910ELNS1_3gpuE8ELNS1_3repE0EEENS1_30default_config_static_selectorELNS0_4arch9wavefront6targetE0EEEvS10_
                                        ; -- End function
	.set _ZN7rocprim17ROCPRIM_400000_NS6detail17trampoline_kernelINS0_14default_configENS1_21merge_config_selectorINS0_5tupleIJxxEEENS0_10empty_typeEEEZNS1_10merge_implIS3_NS0_12zip_iteratorINS5_IJN6thrust23THRUST_200600_302600_NS6detail15normal_iteratorINSC_10device_ptrIKxEEEESI_EEEEESK_NSA_INS5_IJNSE_INSF_IxEEEESM_EEEEEPS7_SP_SP_NSC_11hip_rocprim7__merge17predicate_wrapperIxxNSC_4lessIxEEEEEE10hipError_tPvRmT0_T1_T2_T3_T4_T5_mmT6_P12ihipStream_tbEUlT_E_NS1_11comp_targetILNS1_3genE4ELNS1_11target_archE910ELNS1_3gpuE8ELNS1_3repE0EEENS1_30default_config_static_selectorELNS0_4arch9wavefront6targetE0EEEvS10_.num_vgpr, 0
	.set _ZN7rocprim17ROCPRIM_400000_NS6detail17trampoline_kernelINS0_14default_configENS1_21merge_config_selectorINS0_5tupleIJxxEEENS0_10empty_typeEEEZNS1_10merge_implIS3_NS0_12zip_iteratorINS5_IJN6thrust23THRUST_200600_302600_NS6detail15normal_iteratorINSC_10device_ptrIKxEEEESI_EEEEESK_NSA_INS5_IJNSE_INSF_IxEEEESM_EEEEEPS7_SP_SP_NSC_11hip_rocprim7__merge17predicate_wrapperIxxNSC_4lessIxEEEEEE10hipError_tPvRmT0_T1_T2_T3_T4_T5_mmT6_P12ihipStream_tbEUlT_E_NS1_11comp_targetILNS1_3genE4ELNS1_11target_archE910ELNS1_3gpuE8ELNS1_3repE0EEENS1_30default_config_static_selectorELNS0_4arch9wavefront6targetE0EEEvS10_.num_agpr, 0
	.set _ZN7rocprim17ROCPRIM_400000_NS6detail17trampoline_kernelINS0_14default_configENS1_21merge_config_selectorINS0_5tupleIJxxEEENS0_10empty_typeEEEZNS1_10merge_implIS3_NS0_12zip_iteratorINS5_IJN6thrust23THRUST_200600_302600_NS6detail15normal_iteratorINSC_10device_ptrIKxEEEESI_EEEEESK_NSA_INS5_IJNSE_INSF_IxEEEESM_EEEEEPS7_SP_SP_NSC_11hip_rocprim7__merge17predicate_wrapperIxxNSC_4lessIxEEEEEE10hipError_tPvRmT0_T1_T2_T3_T4_T5_mmT6_P12ihipStream_tbEUlT_E_NS1_11comp_targetILNS1_3genE4ELNS1_11target_archE910ELNS1_3gpuE8ELNS1_3repE0EEENS1_30default_config_static_selectorELNS0_4arch9wavefront6targetE0EEEvS10_.numbered_sgpr, 0
	.set _ZN7rocprim17ROCPRIM_400000_NS6detail17trampoline_kernelINS0_14default_configENS1_21merge_config_selectorINS0_5tupleIJxxEEENS0_10empty_typeEEEZNS1_10merge_implIS3_NS0_12zip_iteratorINS5_IJN6thrust23THRUST_200600_302600_NS6detail15normal_iteratorINSC_10device_ptrIKxEEEESI_EEEEESK_NSA_INS5_IJNSE_INSF_IxEEEESM_EEEEEPS7_SP_SP_NSC_11hip_rocprim7__merge17predicate_wrapperIxxNSC_4lessIxEEEEEE10hipError_tPvRmT0_T1_T2_T3_T4_T5_mmT6_P12ihipStream_tbEUlT_E_NS1_11comp_targetILNS1_3genE4ELNS1_11target_archE910ELNS1_3gpuE8ELNS1_3repE0EEENS1_30default_config_static_selectorELNS0_4arch9wavefront6targetE0EEEvS10_.num_named_barrier, 0
	.set _ZN7rocprim17ROCPRIM_400000_NS6detail17trampoline_kernelINS0_14default_configENS1_21merge_config_selectorINS0_5tupleIJxxEEENS0_10empty_typeEEEZNS1_10merge_implIS3_NS0_12zip_iteratorINS5_IJN6thrust23THRUST_200600_302600_NS6detail15normal_iteratorINSC_10device_ptrIKxEEEESI_EEEEESK_NSA_INS5_IJNSE_INSF_IxEEEESM_EEEEEPS7_SP_SP_NSC_11hip_rocprim7__merge17predicate_wrapperIxxNSC_4lessIxEEEEEE10hipError_tPvRmT0_T1_T2_T3_T4_T5_mmT6_P12ihipStream_tbEUlT_E_NS1_11comp_targetILNS1_3genE4ELNS1_11target_archE910ELNS1_3gpuE8ELNS1_3repE0EEENS1_30default_config_static_selectorELNS0_4arch9wavefront6targetE0EEEvS10_.private_seg_size, 0
	.set _ZN7rocprim17ROCPRIM_400000_NS6detail17trampoline_kernelINS0_14default_configENS1_21merge_config_selectorINS0_5tupleIJxxEEENS0_10empty_typeEEEZNS1_10merge_implIS3_NS0_12zip_iteratorINS5_IJN6thrust23THRUST_200600_302600_NS6detail15normal_iteratorINSC_10device_ptrIKxEEEESI_EEEEESK_NSA_INS5_IJNSE_INSF_IxEEEESM_EEEEEPS7_SP_SP_NSC_11hip_rocprim7__merge17predicate_wrapperIxxNSC_4lessIxEEEEEE10hipError_tPvRmT0_T1_T2_T3_T4_T5_mmT6_P12ihipStream_tbEUlT_E_NS1_11comp_targetILNS1_3genE4ELNS1_11target_archE910ELNS1_3gpuE8ELNS1_3repE0EEENS1_30default_config_static_selectorELNS0_4arch9wavefront6targetE0EEEvS10_.uses_vcc, 0
	.set _ZN7rocprim17ROCPRIM_400000_NS6detail17trampoline_kernelINS0_14default_configENS1_21merge_config_selectorINS0_5tupleIJxxEEENS0_10empty_typeEEEZNS1_10merge_implIS3_NS0_12zip_iteratorINS5_IJN6thrust23THRUST_200600_302600_NS6detail15normal_iteratorINSC_10device_ptrIKxEEEESI_EEEEESK_NSA_INS5_IJNSE_INSF_IxEEEESM_EEEEEPS7_SP_SP_NSC_11hip_rocprim7__merge17predicate_wrapperIxxNSC_4lessIxEEEEEE10hipError_tPvRmT0_T1_T2_T3_T4_T5_mmT6_P12ihipStream_tbEUlT_E_NS1_11comp_targetILNS1_3genE4ELNS1_11target_archE910ELNS1_3gpuE8ELNS1_3repE0EEENS1_30default_config_static_selectorELNS0_4arch9wavefront6targetE0EEEvS10_.uses_flat_scratch, 0
	.set _ZN7rocprim17ROCPRIM_400000_NS6detail17trampoline_kernelINS0_14default_configENS1_21merge_config_selectorINS0_5tupleIJxxEEENS0_10empty_typeEEEZNS1_10merge_implIS3_NS0_12zip_iteratorINS5_IJN6thrust23THRUST_200600_302600_NS6detail15normal_iteratorINSC_10device_ptrIKxEEEESI_EEEEESK_NSA_INS5_IJNSE_INSF_IxEEEESM_EEEEEPS7_SP_SP_NSC_11hip_rocprim7__merge17predicate_wrapperIxxNSC_4lessIxEEEEEE10hipError_tPvRmT0_T1_T2_T3_T4_T5_mmT6_P12ihipStream_tbEUlT_E_NS1_11comp_targetILNS1_3genE4ELNS1_11target_archE910ELNS1_3gpuE8ELNS1_3repE0EEENS1_30default_config_static_selectorELNS0_4arch9wavefront6targetE0EEEvS10_.has_dyn_sized_stack, 0
	.set _ZN7rocprim17ROCPRIM_400000_NS6detail17trampoline_kernelINS0_14default_configENS1_21merge_config_selectorINS0_5tupleIJxxEEENS0_10empty_typeEEEZNS1_10merge_implIS3_NS0_12zip_iteratorINS5_IJN6thrust23THRUST_200600_302600_NS6detail15normal_iteratorINSC_10device_ptrIKxEEEESI_EEEEESK_NSA_INS5_IJNSE_INSF_IxEEEESM_EEEEEPS7_SP_SP_NSC_11hip_rocprim7__merge17predicate_wrapperIxxNSC_4lessIxEEEEEE10hipError_tPvRmT0_T1_T2_T3_T4_T5_mmT6_P12ihipStream_tbEUlT_E_NS1_11comp_targetILNS1_3genE4ELNS1_11target_archE910ELNS1_3gpuE8ELNS1_3repE0EEENS1_30default_config_static_selectorELNS0_4arch9wavefront6targetE0EEEvS10_.has_recursion, 0
	.set _ZN7rocprim17ROCPRIM_400000_NS6detail17trampoline_kernelINS0_14default_configENS1_21merge_config_selectorINS0_5tupleIJxxEEENS0_10empty_typeEEEZNS1_10merge_implIS3_NS0_12zip_iteratorINS5_IJN6thrust23THRUST_200600_302600_NS6detail15normal_iteratorINSC_10device_ptrIKxEEEESI_EEEEESK_NSA_INS5_IJNSE_INSF_IxEEEESM_EEEEEPS7_SP_SP_NSC_11hip_rocprim7__merge17predicate_wrapperIxxNSC_4lessIxEEEEEE10hipError_tPvRmT0_T1_T2_T3_T4_T5_mmT6_P12ihipStream_tbEUlT_E_NS1_11comp_targetILNS1_3genE4ELNS1_11target_archE910ELNS1_3gpuE8ELNS1_3repE0EEENS1_30default_config_static_selectorELNS0_4arch9wavefront6targetE0EEEvS10_.has_indirect_call, 0
	.section	.AMDGPU.csdata,"",@progbits
; Kernel info:
; codeLenInByte = 0
; TotalNumSgprs: 0
; NumVgprs: 0
; ScratchSize: 0
; MemoryBound: 0
; FloatMode: 240
; IeeeMode: 1
; LDSByteSize: 0 bytes/workgroup (compile time only)
; SGPRBlocks: 0
; VGPRBlocks: 0
; NumSGPRsForWavesPerEU: 1
; NumVGPRsForWavesPerEU: 1
; Occupancy: 16
; WaveLimiterHint : 0
; COMPUTE_PGM_RSRC2:SCRATCH_EN: 0
; COMPUTE_PGM_RSRC2:USER_SGPR: 6
; COMPUTE_PGM_RSRC2:TRAP_HANDLER: 0
; COMPUTE_PGM_RSRC2:TGID_X_EN: 1
; COMPUTE_PGM_RSRC2:TGID_Y_EN: 0
; COMPUTE_PGM_RSRC2:TGID_Z_EN: 0
; COMPUTE_PGM_RSRC2:TIDIG_COMP_CNT: 0
	.section	.text._ZN7rocprim17ROCPRIM_400000_NS6detail17trampoline_kernelINS0_14default_configENS1_21merge_config_selectorINS0_5tupleIJxxEEENS0_10empty_typeEEEZNS1_10merge_implIS3_NS0_12zip_iteratorINS5_IJN6thrust23THRUST_200600_302600_NS6detail15normal_iteratorINSC_10device_ptrIKxEEEESI_EEEEESK_NSA_INS5_IJNSE_INSF_IxEEEESM_EEEEEPS7_SP_SP_NSC_11hip_rocprim7__merge17predicate_wrapperIxxNSC_4lessIxEEEEEE10hipError_tPvRmT0_T1_T2_T3_T4_T5_mmT6_P12ihipStream_tbEUlT_E_NS1_11comp_targetILNS1_3genE3ELNS1_11target_archE908ELNS1_3gpuE7ELNS1_3repE0EEENS1_30default_config_static_selectorELNS0_4arch9wavefront6targetE0EEEvS10_,"axG",@progbits,_ZN7rocprim17ROCPRIM_400000_NS6detail17trampoline_kernelINS0_14default_configENS1_21merge_config_selectorINS0_5tupleIJxxEEENS0_10empty_typeEEEZNS1_10merge_implIS3_NS0_12zip_iteratorINS5_IJN6thrust23THRUST_200600_302600_NS6detail15normal_iteratorINSC_10device_ptrIKxEEEESI_EEEEESK_NSA_INS5_IJNSE_INSF_IxEEEESM_EEEEEPS7_SP_SP_NSC_11hip_rocprim7__merge17predicate_wrapperIxxNSC_4lessIxEEEEEE10hipError_tPvRmT0_T1_T2_T3_T4_T5_mmT6_P12ihipStream_tbEUlT_E_NS1_11comp_targetILNS1_3genE3ELNS1_11target_archE908ELNS1_3gpuE7ELNS1_3repE0EEENS1_30default_config_static_selectorELNS0_4arch9wavefront6targetE0EEEvS10_,comdat
	.protected	_ZN7rocprim17ROCPRIM_400000_NS6detail17trampoline_kernelINS0_14default_configENS1_21merge_config_selectorINS0_5tupleIJxxEEENS0_10empty_typeEEEZNS1_10merge_implIS3_NS0_12zip_iteratorINS5_IJN6thrust23THRUST_200600_302600_NS6detail15normal_iteratorINSC_10device_ptrIKxEEEESI_EEEEESK_NSA_INS5_IJNSE_INSF_IxEEEESM_EEEEEPS7_SP_SP_NSC_11hip_rocprim7__merge17predicate_wrapperIxxNSC_4lessIxEEEEEE10hipError_tPvRmT0_T1_T2_T3_T4_T5_mmT6_P12ihipStream_tbEUlT_E_NS1_11comp_targetILNS1_3genE3ELNS1_11target_archE908ELNS1_3gpuE7ELNS1_3repE0EEENS1_30default_config_static_selectorELNS0_4arch9wavefront6targetE0EEEvS10_ ; -- Begin function _ZN7rocprim17ROCPRIM_400000_NS6detail17trampoline_kernelINS0_14default_configENS1_21merge_config_selectorINS0_5tupleIJxxEEENS0_10empty_typeEEEZNS1_10merge_implIS3_NS0_12zip_iteratorINS5_IJN6thrust23THRUST_200600_302600_NS6detail15normal_iteratorINSC_10device_ptrIKxEEEESI_EEEEESK_NSA_INS5_IJNSE_INSF_IxEEEESM_EEEEEPS7_SP_SP_NSC_11hip_rocprim7__merge17predicate_wrapperIxxNSC_4lessIxEEEEEE10hipError_tPvRmT0_T1_T2_T3_T4_T5_mmT6_P12ihipStream_tbEUlT_E_NS1_11comp_targetILNS1_3genE3ELNS1_11target_archE908ELNS1_3gpuE7ELNS1_3repE0EEENS1_30default_config_static_selectorELNS0_4arch9wavefront6targetE0EEEvS10_
	.globl	_ZN7rocprim17ROCPRIM_400000_NS6detail17trampoline_kernelINS0_14default_configENS1_21merge_config_selectorINS0_5tupleIJxxEEENS0_10empty_typeEEEZNS1_10merge_implIS3_NS0_12zip_iteratorINS5_IJN6thrust23THRUST_200600_302600_NS6detail15normal_iteratorINSC_10device_ptrIKxEEEESI_EEEEESK_NSA_INS5_IJNSE_INSF_IxEEEESM_EEEEEPS7_SP_SP_NSC_11hip_rocprim7__merge17predicate_wrapperIxxNSC_4lessIxEEEEEE10hipError_tPvRmT0_T1_T2_T3_T4_T5_mmT6_P12ihipStream_tbEUlT_E_NS1_11comp_targetILNS1_3genE3ELNS1_11target_archE908ELNS1_3gpuE7ELNS1_3repE0EEENS1_30default_config_static_selectorELNS0_4arch9wavefront6targetE0EEEvS10_
	.p2align	8
	.type	_ZN7rocprim17ROCPRIM_400000_NS6detail17trampoline_kernelINS0_14default_configENS1_21merge_config_selectorINS0_5tupleIJxxEEENS0_10empty_typeEEEZNS1_10merge_implIS3_NS0_12zip_iteratorINS5_IJN6thrust23THRUST_200600_302600_NS6detail15normal_iteratorINSC_10device_ptrIKxEEEESI_EEEEESK_NSA_INS5_IJNSE_INSF_IxEEEESM_EEEEEPS7_SP_SP_NSC_11hip_rocprim7__merge17predicate_wrapperIxxNSC_4lessIxEEEEEE10hipError_tPvRmT0_T1_T2_T3_T4_T5_mmT6_P12ihipStream_tbEUlT_E_NS1_11comp_targetILNS1_3genE3ELNS1_11target_archE908ELNS1_3gpuE7ELNS1_3repE0EEENS1_30default_config_static_selectorELNS0_4arch9wavefront6targetE0EEEvS10_,@function
_ZN7rocprim17ROCPRIM_400000_NS6detail17trampoline_kernelINS0_14default_configENS1_21merge_config_selectorINS0_5tupleIJxxEEENS0_10empty_typeEEEZNS1_10merge_implIS3_NS0_12zip_iteratorINS5_IJN6thrust23THRUST_200600_302600_NS6detail15normal_iteratorINSC_10device_ptrIKxEEEESI_EEEEESK_NSA_INS5_IJNSE_INSF_IxEEEESM_EEEEEPS7_SP_SP_NSC_11hip_rocprim7__merge17predicate_wrapperIxxNSC_4lessIxEEEEEE10hipError_tPvRmT0_T1_T2_T3_T4_T5_mmT6_P12ihipStream_tbEUlT_E_NS1_11comp_targetILNS1_3genE3ELNS1_11target_archE908ELNS1_3gpuE7ELNS1_3repE0EEENS1_30default_config_static_selectorELNS0_4arch9wavefront6targetE0EEEvS10_: ; @_ZN7rocprim17ROCPRIM_400000_NS6detail17trampoline_kernelINS0_14default_configENS1_21merge_config_selectorINS0_5tupleIJxxEEENS0_10empty_typeEEEZNS1_10merge_implIS3_NS0_12zip_iteratorINS5_IJN6thrust23THRUST_200600_302600_NS6detail15normal_iteratorINSC_10device_ptrIKxEEEESI_EEEEESK_NSA_INS5_IJNSE_INSF_IxEEEESM_EEEEEPS7_SP_SP_NSC_11hip_rocprim7__merge17predicate_wrapperIxxNSC_4lessIxEEEEEE10hipError_tPvRmT0_T1_T2_T3_T4_T5_mmT6_P12ihipStream_tbEUlT_E_NS1_11comp_targetILNS1_3genE3ELNS1_11target_archE908ELNS1_3gpuE7ELNS1_3repE0EEENS1_30default_config_static_selectorELNS0_4arch9wavefront6targetE0EEEvS10_
; %bb.0:
	.section	.rodata,"a",@progbits
	.p2align	6, 0x0
	.amdhsa_kernel _ZN7rocprim17ROCPRIM_400000_NS6detail17trampoline_kernelINS0_14default_configENS1_21merge_config_selectorINS0_5tupleIJxxEEENS0_10empty_typeEEEZNS1_10merge_implIS3_NS0_12zip_iteratorINS5_IJN6thrust23THRUST_200600_302600_NS6detail15normal_iteratorINSC_10device_ptrIKxEEEESI_EEEEESK_NSA_INS5_IJNSE_INSF_IxEEEESM_EEEEEPS7_SP_SP_NSC_11hip_rocprim7__merge17predicate_wrapperIxxNSC_4lessIxEEEEEE10hipError_tPvRmT0_T1_T2_T3_T4_T5_mmT6_P12ihipStream_tbEUlT_E_NS1_11comp_targetILNS1_3genE3ELNS1_11target_archE908ELNS1_3gpuE7ELNS1_3repE0EEENS1_30default_config_static_selectorELNS0_4arch9wavefront6targetE0EEEvS10_
		.amdhsa_group_segment_fixed_size 0
		.amdhsa_private_segment_fixed_size 0
		.amdhsa_kernarg_size 64
		.amdhsa_user_sgpr_count 6
		.amdhsa_user_sgpr_private_segment_buffer 1
		.amdhsa_user_sgpr_dispatch_ptr 0
		.amdhsa_user_sgpr_queue_ptr 0
		.amdhsa_user_sgpr_kernarg_segment_ptr 1
		.amdhsa_user_sgpr_dispatch_id 0
		.amdhsa_user_sgpr_flat_scratch_init 0
		.amdhsa_user_sgpr_private_segment_size 0
		.amdhsa_wavefront_size32 1
		.amdhsa_uses_dynamic_stack 0
		.amdhsa_system_sgpr_private_segment_wavefront_offset 0
		.amdhsa_system_sgpr_workgroup_id_x 1
		.amdhsa_system_sgpr_workgroup_id_y 0
		.amdhsa_system_sgpr_workgroup_id_z 0
		.amdhsa_system_sgpr_workgroup_info 0
		.amdhsa_system_vgpr_workitem_id 0
		.amdhsa_next_free_vgpr 1
		.amdhsa_next_free_sgpr 1
		.amdhsa_reserve_vcc 0
		.amdhsa_reserve_flat_scratch 0
		.amdhsa_float_round_mode_32 0
		.amdhsa_float_round_mode_16_64 0
		.amdhsa_float_denorm_mode_32 3
		.amdhsa_float_denorm_mode_16_64 3
		.amdhsa_dx10_clamp 1
		.amdhsa_ieee_mode 1
		.amdhsa_fp16_overflow 0
		.amdhsa_workgroup_processor_mode 1
		.amdhsa_memory_ordered 1
		.amdhsa_forward_progress 1
		.amdhsa_shared_vgpr_count 0
		.amdhsa_exception_fp_ieee_invalid_op 0
		.amdhsa_exception_fp_denorm_src 0
		.amdhsa_exception_fp_ieee_div_zero 0
		.amdhsa_exception_fp_ieee_overflow 0
		.amdhsa_exception_fp_ieee_underflow 0
		.amdhsa_exception_fp_ieee_inexact 0
		.amdhsa_exception_int_div_zero 0
	.end_amdhsa_kernel
	.section	.text._ZN7rocprim17ROCPRIM_400000_NS6detail17trampoline_kernelINS0_14default_configENS1_21merge_config_selectorINS0_5tupleIJxxEEENS0_10empty_typeEEEZNS1_10merge_implIS3_NS0_12zip_iteratorINS5_IJN6thrust23THRUST_200600_302600_NS6detail15normal_iteratorINSC_10device_ptrIKxEEEESI_EEEEESK_NSA_INS5_IJNSE_INSF_IxEEEESM_EEEEEPS7_SP_SP_NSC_11hip_rocprim7__merge17predicate_wrapperIxxNSC_4lessIxEEEEEE10hipError_tPvRmT0_T1_T2_T3_T4_T5_mmT6_P12ihipStream_tbEUlT_E_NS1_11comp_targetILNS1_3genE3ELNS1_11target_archE908ELNS1_3gpuE7ELNS1_3repE0EEENS1_30default_config_static_selectorELNS0_4arch9wavefront6targetE0EEEvS10_,"axG",@progbits,_ZN7rocprim17ROCPRIM_400000_NS6detail17trampoline_kernelINS0_14default_configENS1_21merge_config_selectorINS0_5tupleIJxxEEENS0_10empty_typeEEEZNS1_10merge_implIS3_NS0_12zip_iteratorINS5_IJN6thrust23THRUST_200600_302600_NS6detail15normal_iteratorINSC_10device_ptrIKxEEEESI_EEEEESK_NSA_INS5_IJNSE_INSF_IxEEEESM_EEEEEPS7_SP_SP_NSC_11hip_rocprim7__merge17predicate_wrapperIxxNSC_4lessIxEEEEEE10hipError_tPvRmT0_T1_T2_T3_T4_T5_mmT6_P12ihipStream_tbEUlT_E_NS1_11comp_targetILNS1_3genE3ELNS1_11target_archE908ELNS1_3gpuE7ELNS1_3repE0EEENS1_30default_config_static_selectorELNS0_4arch9wavefront6targetE0EEEvS10_,comdat
.Lfunc_end210:
	.size	_ZN7rocprim17ROCPRIM_400000_NS6detail17trampoline_kernelINS0_14default_configENS1_21merge_config_selectorINS0_5tupleIJxxEEENS0_10empty_typeEEEZNS1_10merge_implIS3_NS0_12zip_iteratorINS5_IJN6thrust23THRUST_200600_302600_NS6detail15normal_iteratorINSC_10device_ptrIKxEEEESI_EEEEESK_NSA_INS5_IJNSE_INSF_IxEEEESM_EEEEEPS7_SP_SP_NSC_11hip_rocprim7__merge17predicate_wrapperIxxNSC_4lessIxEEEEEE10hipError_tPvRmT0_T1_T2_T3_T4_T5_mmT6_P12ihipStream_tbEUlT_E_NS1_11comp_targetILNS1_3genE3ELNS1_11target_archE908ELNS1_3gpuE7ELNS1_3repE0EEENS1_30default_config_static_selectorELNS0_4arch9wavefront6targetE0EEEvS10_, .Lfunc_end210-_ZN7rocprim17ROCPRIM_400000_NS6detail17trampoline_kernelINS0_14default_configENS1_21merge_config_selectorINS0_5tupleIJxxEEENS0_10empty_typeEEEZNS1_10merge_implIS3_NS0_12zip_iteratorINS5_IJN6thrust23THRUST_200600_302600_NS6detail15normal_iteratorINSC_10device_ptrIKxEEEESI_EEEEESK_NSA_INS5_IJNSE_INSF_IxEEEESM_EEEEEPS7_SP_SP_NSC_11hip_rocprim7__merge17predicate_wrapperIxxNSC_4lessIxEEEEEE10hipError_tPvRmT0_T1_T2_T3_T4_T5_mmT6_P12ihipStream_tbEUlT_E_NS1_11comp_targetILNS1_3genE3ELNS1_11target_archE908ELNS1_3gpuE7ELNS1_3repE0EEENS1_30default_config_static_selectorELNS0_4arch9wavefront6targetE0EEEvS10_
                                        ; -- End function
	.set _ZN7rocprim17ROCPRIM_400000_NS6detail17trampoline_kernelINS0_14default_configENS1_21merge_config_selectorINS0_5tupleIJxxEEENS0_10empty_typeEEEZNS1_10merge_implIS3_NS0_12zip_iteratorINS5_IJN6thrust23THRUST_200600_302600_NS6detail15normal_iteratorINSC_10device_ptrIKxEEEESI_EEEEESK_NSA_INS5_IJNSE_INSF_IxEEEESM_EEEEEPS7_SP_SP_NSC_11hip_rocprim7__merge17predicate_wrapperIxxNSC_4lessIxEEEEEE10hipError_tPvRmT0_T1_T2_T3_T4_T5_mmT6_P12ihipStream_tbEUlT_E_NS1_11comp_targetILNS1_3genE3ELNS1_11target_archE908ELNS1_3gpuE7ELNS1_3repE0EEENS1_30default_config_static_selectorELNS0_4arch9wavefront6targetE0EEEvS10_.num_vgpr, 0
	.set _ZN7rocprim17ROCPRIM_400000_NS6detail17trampoline_kernelINS0_14default_configENS1_21merge_config_selectorINS0_5tupleIJxxEEENS0_10empty_typeEEEZNS1_10merge_implIS3_NS0_12zip_iteratorINS5_IJN6thrust23THRUST_200600_302600_NS6detail15normal_iteratorINSC_10device_ptrIKxEEEESI_EEEEESK_NSA_INS5_IJNSE_INSF_IxEEEESM_EEEEEPS7_SP_SP_NSC_11hip_rocprim7__merge17predicate_wrapperIxxNSC_4lessIxEEEEEE10hipError_tPvRmT0_T1_T2_T3_T4_T5_mmT6_P12ihipStream_tbEUlT_E_NS1_11comp_targetILNS1_3genE3ELNS1_11target_archE908ELNS1_3gpuE7ELNS1_3repE0EEENS1_30default_config_static_selectorELNS0_4arch9wavefront6targetE0EEEvS10_.num_agpr, 0
	.set _ZN7rocprim17ROCPRIM_400000_NS6detail17trampoline_kernelINS0_14default_configENS1_21merge_config_selectorINS0_5tupleIJxxEEENS0_10empty_typeEEEZNS1_10merge_implIS3_NS0_12zip_iteratorINS5_IJN6thrust23THRUST_200600_302600_NS6detail15normal_iteratorINSC_10device_ptrIKxEEEESI_EEEEESK_NSA_INS5_IJNSE_INSF_IxEEEESM_EEEEEPS7_SP_SP_NSC_11hip_rocprim7__merge17predicate_wrapperIxxNSC_4lessIxEEEEEE10hipError_tPvRmT0_T1_T2_T3_T4_T5_mmT6_P12ihipStream_tbEUlT_E_NS1_11comp_targetILNS1_3genE3ELNS1_11target_archE908ELNS1_3gpuE7ELNS1_3repE0EEENS1_30default_config_static_selectorELNS0_4arch9wavefront6targetE0EEEvS10_.numbered_sgpr, 0
	.set _ZN7rocprim17ROCPRIM_400000_NS6detail17trampoline_kernelINS0_14default_configENS1_21merge_config_selectorINS0_5tupleIJxxEEENS0_10empty_typeEEEZNS1_10merge_implIS3_NS0_12zip_iteratorINS5_IJN6thrust23THRUST_200600_302600_NS6detail15normal_iteratorINSC_10device_ptrIKxEEEESI_EEEEESK_NSA_INS5_IJNSE_INSF_IxEEEESM_EEEEEPS7_SP_SP_NSC_11hip_rocprim7__merge17predicate_wrapperIxxNSC_4lessIxEEEEEE10hipError_tPvRmT0_T1_T2_T3_T4_T5_mmT6_P12ihipStream_tbEUlT_E_NS1_11comp_targetILNS1_3genE3ELNS1_11target_archE908ELNS1_3gpuE7ELNS1_3repE0EEENS1_30default_config_static_selectorELNS0_4arch9wavefront6targetE0EEEvS10_.num_named_barrier, 0
	.set _ZN7rocprim17ROCPRIM_400000_NS6detail17trampoline_kernelINS0_14default_configENS1_21merge_config_selectorINS0_5tupleIJxxEEENS0_10empty_typeEEEZNS1_10merge_implIS3_NS0_12zip_iteratorINS5_IJN6thrust23THRUST_200600_302600_NS6detail15normal_iteratorINSC_10device_ptrIKxEEEESI_EEEEESK_NSA_INS5_IJNSE_INSF_IxEEEESM_EEEEEPS7_SP_SP_NSC_11hip_rocprim7__merge17predicate_wrapperIxxNSC_4lessIxEEEEEE10hipError_tPvRmT0_T1_T2_T3_T4_T5_mmT6_P12ihipStream_tbEUlT_E_NS1_11comp_targetILNS1_3genE3ELNS1_11target_archE908ELNS1_3gpuE7ELNS1_3repE0EEENS1_30default_config_static_selectorELNS0_4arch9wavefront6targetE0EEEvS10_.private_seg_size, 0
	.set _ZN7rocprim17ROCPRIM_400000_NS6detail17trampoline_kernelINS0_14default_configENS1_21merge_config_selectorINS0_5tupleIJxxEEENS0_10empty_typeEEEZNS1_10merge_implIS3_NS0_12zip_iteratorINS5_IJN6thrust23THRUST_200600_302600_NS6detail15normal_iteratorINSC_10device_ptrIKxEEEESI_EEEEESK_NSA_INS5_IJNSE_INSF_IxEEEESM_EEEEEPS7_SP_SP_NSC_11hip_rocprim7__merge17predicate_wrapperIxxNSC_4lessIxEEEEEE10hipError_tPvRmT0_T1_T2_T3_T4_T5_mmT6_P12ihipStream_tbEUlT_E_NS1_11comp_targetILNS1_3genE3ELNS1_11target_archE908ELNS1_3gpuE7ELNS1_3repE0EEENS1_30default_config_static_selectorELNS0_4arch9wavefront6targetE0EEEvS10_.uses_vcc, 0
	.set _ZN7rocprim17ROCPRIM_400000_NS6detail17trampoline_kernelINS0_14default_configENS1_21merge_config_selectorINS0_5tupleIJxxEEENS0_10empty_typeEEEZNS1_10merge_implIS3_NS0_12zip_iteratorINS5_IJN6thrust23THRUST_200600_302600_NS6detail15normal_iteratorINSC_10device_ptrIKxEEEESI_EEEEESK_NSA_INS5_IJNSE_INSF_IxEEEESM_EEEEEPS7_SP_SP_NSC_11hip_rocprim7__merge17predicate_wrapperIxxNSC_4lessIxEEEEEE10hipError_tPvRmT0_T1_T2_T3_T4_T5_mmT6_P12ihipStream_tbEUlT_E_NS1_11comp_targetILNS1_3genE3ELNS1_11target_archE908ELNS1_3gpuE7ELNS1_3repE0EEENS1_30default_config_static_selectorELNS0_4arch9wavefront6targetE0EEEvS10_.uses_flat_scratch, 0
	.set _ZN7rocprim17ROCPRIM_400000_NS6detail17trampoline_kernelINS0_14default_configENS1_21merge_config_selectorINS0_5tupleIJxxEEENS0_10empty_typeEEEZNS1_10merge_implIS3_NS0_12zip_iteratorINS5_IJN6thrust23THRUST_200600_302600_NS6detail15normal_iteratorINSC_10device_ptrIKxEEEESI_EEEEESK_NSA_INS5_IJNSE_INSF_IxEEEESM_EEEEEPS7_SP_SP_NSC_11hip_rocprim7__merge17predicate_wrapperIxxNSC_4lessIxEEEEEE10hipError_tPvRmT0_T1_T2_T3_T4_T5_mmT6_P12ihipStream_tbEUlT_E_NS1_11comp_targetILNS1_3genE3ELNS1_11target_archE908ELNS1_3gpuE7ELNS1_3repE0EEENS1_30default_config_static_selectorELNS0_4arch9wavefront6targetE0EEEvS10_.has_dyn_sized_stack, 0
	.set _ZN7rocprim17ROCPRIM_400000_NS6detail17trampoline_kernelINS0_14default_configENS1_21merge_config_selectorINS0_5tupleIJxxEEENS0_10empty_typeEEEZNS1_10merge_implIS3_NS0_12zip_iteratorINS5_IJN6thrust23THRUST_200600_302600_NS6detail15normal_iteratorINSC_10device_ptrIKxEEEESI_EEEEESK_NSA_INS5_IJNSE_INSF_IxEEEESM_EEEEEPS7_SP_SP_NSC_11hip_rocprim7__merge17predicate_wrapperIxxNSC_4lessIxEEEEEE10hipError_tPvRmT0_T1_T2_T3_T4_T5_mmT6_P12ihipStream_tbEUlT_E_NS1_11comp_targetILNS1_3genE3ELNS1_11target_archE908ELNS1_3gpuE7ELNS1_3repE0EEENS1_30default_config_static_selectorELNS0_4arch9wavefront6targetE0EEEvS10_.has_recursion, 0
	.set _ZN7rocprim17ROCPRIM_400000_NS6detail17trampoline_kernelINS0_14default_configENS1_21merge_config_selectorINS0_5tupleIJxxEEENS0_10empty_typeEEEZNS1_10merge_implIS3_NS0_12zip_iteratorINS5_IJN6thrust23THRUST_200600_302600_NS6detail15normal_iteratorINSC_10device_ptrIKxEEEESI_EEEEESK_NSA_INS5_IJNSE_INSF_IxEEEESM_EEEEEPS7_SP_SP_NSC_11hip_rocprim7__merge17predicate_wrapperIxxNSC_4lessIxEEEEEE10hipError_tPvRmT0_T1_T2_T3_T4_T5_mmT6_P12ihipStream_tbEUlT_E_NS1_11comp_targetILNS1_3genE3ELNS1_11target_archE908ELNS1_3gpuE7ELNS1_3repE0EEENS1_30default_config_static_selectorELNS0_4arch9wavefront6targetE0EEEvS10_.has_indirect_call, 0
	.section	.AMDGPU.csdata,"",@progbits
; Kernel info:
; codeLenInByte = 0
; TotalNumSgprs: 0
; NumVgprs: 0
; ScratchSize: 0
; MemoryBound: 0
; FloatMode: 240
; IeeeMode: 1
; LDSByteSize: 0 bytes/workgroup (compile time only)
; SGPRBlocks: 0
; VGPRBlocks: 0
; NumSGPRsForWavesPerEU: 1
; NumVGPRsForWavesPerEU: 1
; Occupancy: 16
; WaveLimiterHint : 0
; COMPUTE_PGM_RSRC2:SCRATCH_EN: 0
; COMPUTE_PGM_RSRC2:USER_SGPR: 6
; COMPUTE_PGM_RSRC2:TRAP_HANDLER: 0
; COMPUTE_PGM_RSRC2:TGID_X_EN: 1
; COMPUTE_PGM_RSRC2:TGID_Y_EN: 0
; COMPUTE_PGM_RSRC2:TGID_Z_EN: 0
; COMPUTE_PGM_RSRC2:TIDIG_COMP_CNT: 0
	.section	.text._ZN7rocprim17ROCPRIM_400000_NS6detail17trampoline_kernelINS0_14default_configENS1_21merge_config_selectorINS0_5tupleIJxxEEENS0_10empty_typeEEEZNS1_10merge_implIS3_NS0_12zip_iteratorINS5_IJN6thrust23THRUST_200600_302600_NS6detail15normal_iteratorINSC_10device_ptrIKxEEEESI_EEEEESK_NSA_INS5_IJNSE_INSF_IxEEEESM_EEEEEPS7_SP_SP_NSC_11hip_rocprim7__merge17predicate_wrapperIxxNSC_4lessIxEEEEEE10hipError_tPvRmT0_T1_T2_T3_T4_T5_mmT6_P12ihipStream_tbEUlT_E_NS1_11comp_targetILNS1_3genE2ELNS1_11target_archE906ELNS1_3gpuE6ELNS1_3repE0EEENS1_30default_config_static_selectorELNS0_4arch9wavefront6targetE0EEEvS10_,"axG",@progbits,_ZN7rocprim17ROCPRIM_400000_NS6detail17trampoline_kernelINS0_14default_configENS1_21merge_config_selectorINS0_5tupleIJxxEEENS0_10empty_typeEEEZNS1_10merge_implIS3_NS0_12zip_iteratorINS5_IJN6thrust23THRUST_200600_302600_NS6detail15normal_iteratorINSC_10device_ptrIKxEEEESI_EEEEESK_NSA_INS5_IJNSE_INSF_IxEEEESM_EEEEEPS7_SP_SP_NSC_11hip_rocprim7__merge17predicate_wrapperIxxNSC_4lessIxEEEEEE10hipError_tPvRmT0_T1_T2_T3_T4_T5_mmT6_P12ihipStream_tbEUlT_E_NS1_11comp_targetILNS1_3genE2ELNS1_11target_archE906ELNS1_3gpuE6ELNS1_3repE0EEENS1_30default_config_static_selectorELNS0_4arch9wavefront6targetE0EEEvS10_,comdat
	.protected	_ZN7rocprim17ROCPRIM_400000_NS6detail17trampoline_kernelINS0_14default_configENS1_21merge_config_selectorINS0_5tupleIJxxEEENS0_10empty_typeEEEZNS1_10merge_implIS3_NS0_12zip_iteratorINS5_IJN6thrust23THRUST_200600_302600_NS6detail15normal_iteratorINSC_10device_ptrIKxEEEESI_EEEEESK_NSA_INS5_IJNSE_INSF_IxEEEESM_EEEEEPS7_SP_SP_NSC_11hip_rocprim7__merge17predicate_wrapperIxxNSC_4lessIxEEEEEE10hipError_tPvRmT0_T1_T2_T3_T4_T5_mmT6_P12ihipStream_tbEUlT_E_NS1_11comp_targetILNS1_3genE2ELNS1_11target_archE906ELNS1_3gpuE6ELNS1_3repE0EEENS1_30default_config_static_selectorELNS0_4arch9wavefront6targetE0EEEvS10_ ; -- Begin function _ZN7rocprim17ROCPRIM_400000_NS6detail17trampoline_kernelINS0_14default_configENS1_21merge_config_selectorINS0_5tupleIJxxEEENS0_10empty_typeEEEZNS1_10merge_implIS3_NS0_12zip_iteratorINS5_IJN6thrust23THRUST_200600_302600_NS6detail15normal_iteratorINSC_10device_ptrIKxEEEESI_EEEEESK_NSA_INS5_IJNSE_INSF_IxEEEESM_EEEEEPS7_SP_SP_NSC_11hip_rocprim7__merge17predicate_wrapperIxxNSC_4lessIxEEEEEE10hipError_tPvRmT0_T1_T2_T3_T4_T5_mmT6_P12ihipStream_tbEUlT_E_NS1_11comp_targetILNS1_3genE2ELNS1_11target_archE906ELNS1_3gpuE6ELNS1_3repE0EEENS1_30default_config_static_selectorELNS0_4arch9wavefront6targetE0EEEvS10_
	.globl	_ZN7rocprim17ROCPRIM_400000_NS6detail17trampoline_kernelINS0_14default_configENS1_21merge_config_selectorINS0_5tupleIJxxEEENS0_10empty_typeEEEZNS1_10merge_implIS3_NS0_12zip_iteratorINS5_IJN6thrust23THRUST_200600_302600_NS6detail15normal_iteratorINSC_10device_ptrIKxEEEESI_EEEEESK_NSA_INS5_IJNSE_INSF_IxEEEESM_EEEEEPS7_SP_SP_NSC_11hip_rocprim7__merge17predicate_wrapperIxxNSC_4lessIxEEEEEE10hipError_tPvRmT0_T1_T2_T3_T4_T5_mmT6_P12ihipStream_tbEUlT_E_NS1_11comp_targetILNS1_3genE2ELNS1_11target_archE906ELNS1_3gpuE6ELNS1_3repE0EEENS1_30default_config_static_selectorELNS0_4arch9wavefront6targetE0EEEvS10_
	.p2align	8
	.type	_ZN7rocprim17ROCPRIM_400000_NS6detail17trampoline_kernelINS0_14default_configENS1_21merge_config_selectorINS0_5tupleIJxxEEENS0_10empty_typeEEEZNS1_10merge_implIS3_NS0_12zip_iteratorINS5_IJN6thrust23THRUST_200600_302600_NS6detail15normal_iteratorINSC_10device_ptrIKxEEEESI_EEEEESK_NSA_INS5_IJNSE_INSF_IxEEEESM_EEEEEPS7_SP_SP_NSC_11hip_rocprim7__merge17predicate_wrapperIxxNSC_4lessIxEEEEEE10hipError_tPvRmT0_T1_T2_T3_T4_T5_mmT6_P12ihipStream_tbEUlT_E_NS1_11comp_targetILNS1_3genE2ELNS1_11target_archE906ELNS1_3gpuE6ELNS1_3repE0EEENS1_30default_config_static_selectorELNS0_4arch9wavefront6targetE0EEEvS10_,@function
_ZN7rocprim17ROCPRIM_400000_NS6detail17trampoline_kernelINS0_14default_configENS1_21merge_config_selectorINS0_5tupleIJxxEEENS0_10empty_typeEEEZNS1_10merge_implIS3_NS0_12zip_iteratorINS5_IJN6thrust23THRUST_200600_302600_NS6detail15normal_iteratorINSC_10device_ptrIKxEEEESI_EEEEESK_NSA_INS5_IJNSE_INSF_IxEEEESM_EEEEEPS7_SP_SP_NSC_11hip_rocprim7__merge17predicate_wrapperIxxNSC_4lessIxEEEEEE10hipError_tPvRmT0_T1_T2_T3_T4_T5_mmT6_P12ihipStream_tbEUlT_E_NS1_11comp_targetILNS1_3genE2ELNS1_11target_archE906ELNS1_3gpuE6ELNS1_3repE0EEENS1_30default_config_static_selectorELNS0_4arch9wavefront6targetE0EEEvS10_: ; @_ZN7rocprim17ROCPRIM_400000_NS6detail17trampoline_kernelINS0_14default_configENS1_21merge_config_selectorINS0_5tupleIJxxEEENS0_10empty_typeEEEZNS1_10merge_implIS3_NS0_12zip_iteratorINS5_IJN6thrust23THRUST_200600_302600_NS6detail15normal_iteratorINSC_10device_ptrIKxEEEESI_EEEEESK_NSA_INS5_IJNSE_INSF_IxEEEESM_EEEEEPS7_SP_SP_NSC_11hip_rocprim7__merge17predicate_wrapperIxxNSC_4lessIxEEEEEE10hipError_tPvRmT0_T1_T2_T3_T4_T5_mmT6_P12ihipStream_tbEUlT_E_NS1_11comp_targetILNS1_3genE2ELNS1_11target_archE906ELNS1_3gpuE6ELNS1_3repE0EEENS1_30default_config_static_selectorELNS0_4arch9wavefront6targetE0EEEvS10_
; %bb.0:
	.section	.rodata,"a",@progbits
	.p2align	6, 0x0
	.amdhsa_kernel _ZN7rocprim17ROCPRIM_400000_NS6detail17trampoline_kernelINS0_14default_configENS1_21merge_config_selectorINS0_5tupleIJxxEEENS0_10empty_typeEEEZNS1_10merge_implIS3_NS0_12zip_iteratorINS5_IJN6thrust23THRUST_200600_302600_NS6detail15normal_iteratorINSC_10device_ptrIKxEEEESI_EEEEESK_NSA_INS5_IJNSE_INSF_IxEEEESM_EEEEEPS7_SP_SP_NSC_11hip_rocprim7__merge17predicate_wrapperIxxNSC_4lessIxEEEEEE10hipError_tPvRmT0_T1_T2_T3_T4_T5_mmT6_P12ihipStream_tbEUlT_E_NS1_11comp_targetILNS1_3genE2ELNS1_11target_archE906ELNS1_3gpuE6ELNS1_3repE0EEENS1_30default_config_static_selectorELNS0_4arch9wavefront6targetE0EEEvS10_
		.amdhsa_group_segment_fixed_size 0
		.amdhsa_private_segment_fixed_size 0
		.amdhsa_kernarg_size 64
		.amdhsa_user_sgpr_count 6
		.amdhsa_user_sgpr_private_segment_buffer 1
		.amdhsa_user_sgpr_dispatch_ptr 0
		.amdhsa_user_sgpr_queue_ptr 0
		.amdhsa_user_sgpr_kernarg_segment_ptr 1
		.amdhsa_user_sgpr_dispatch_id 0
		.amdhsa_user_sgpr_flat_scratch_init 0
		.amdhsa_user_sgpr_private_segment_size 0
		.amdhsa_wavefront_size32 1
		.amdhsa_uses_dynamic_stack 0
		.amdhsa_system_sgpr_private_segment_wavefront_offset 0
		.amdhsa_system_sgpr_workgroup_id_x 1
		.amdhsa_system_sgpr_workgroup_id_y 0
		.amdhsa_system_sgpr_workgroup_id_z 0
		.amdhsa_system_sgpr_workgroup_info 0
		.amdhsa_system_vgpr_workitem_id 0
		.amdhsa_next_free_vgpr 1
		.amdhsa_next_free_sgpr 1
		.amdhsa_reserve_vcc 0
		.amdhsa_reserve_flat_scratch 0
		.amdhsa_float_round_mode_32 0
		.amdhsa_float_round_mode_16_64 0
		.amdhsa_float_denorm_mode_32 3
		.amdhsa_float_denorm_mode_16_64 3
		.amdhsa_dx10_clamp 1
		.amdhsa_ieee_mode 1
		.amdhsa_fp16_overflow 0
		.amdhsa_workgroup_processor_mode 1
		.amdhsa_memory_ordered 1
		.amdhsa_forward_progress 1
		.amdhsa_shared_vgpr_count 0
		.amdhsa_exception_fp_ieee_invalid_op 0
		.amdhsa_exception_fp_denorm_src 0
		.amdhsa_exception_fp_ieee_div_zero 0
		.amdhsa_exception_fp_ieee_overflow 0
		.amdhsa_exception_fp_ieee_underflow 0
		.amdhsa_exception_fp_ieee_inexact 0
		.amdhsa_exception_int_div_zero 0
	.end_amdhsa_kernel
	.section	.text._ZN7rocprim17ROCPRIM_400000_NS6detail17trampoline_kernelINS0_14default_configENS1_21merge_config_selectorINS0_5tupleIJxxEEENS0_10empty_typeEEEZNS1_10merge_implIS3_NS0_12zip_iteratorINS5_IJN6thrust23THRUST_200600_302600_NS6detail15normal_iteratorINSC_10device_ptrIKxEEEESI_EEEEESK_NSA_INS5_IJNSE_INSF_IxEEEESM_EEEEEPS7_SP_SP_NSC_11hip_rocprim7__merge17predicate_wrapperIxxNSC_4lessIxEEEEEE10hipError_tPvRmT0_T1_T2_T3_T4_T5_mmT6_P12ihipStream_tbEUlT_E_NS1_11comp_targetILNS1_3genE2ELNS1_11target_archE906ELNS1_3gpuE6ELNS1_3repE0EEENS1_30default_config_static_selectorELNS0_4arch9wavefront6targetE0EEEvS10_,"axG",@progbits,_ZN7rocprim17ROCPRIM_400000_NS6detail17trampoline_kernelINS0_14default_configENS1_21merge_config_selectorINS0_5tupleIJxxEEENS0_10empty_typeEEEZNS1_10merge_implIS3_NS0_12zip_iteratorINS5_IJN6thrust23THRUST_200600_302600_NS6detail15normal_iteratorINSC_10device_ptrIKxEEEESI_EEEEESK_NSA_INS5_IJNSE_INSF_IxEEEESM_EEEEEPS7_SP_SP_NSC_11hip_rocprim7__merge17predicate_wrapperIxxNSC_4lessIxEEEEEE10hipError_tPvRmT0_T1_T2_T3_T4_T5_mmT6_P12ihipStream_tbEUlT_E_NS1_11comp_targetILNS1_3genE2ELNS1_11target_archE906ELNS1_3gpuE6ELNS1_3repE0EEENS1_30default_config_static_selectorELNS0_4arch9wavefront6targetE0EEEvS10_,comdat
.Lfunc_end211:
	.size	_ZN7rocprim17ROCPRIM_400000_NS6detail17trampoline_kernelINS0_14default_configENS1_21merge_config_selectorINS0_5tupleIJxxEEENS0_10empty_typeEEEZNS1_10merge_implIS3_NS0_12zip_iteratorINS5_IJN6thrust23THRUST_200600_302600_NS6detail15normal_iteratorINSC_10device_ptrIKxEEEESI_EEEEESK_NSA_INS5_IJNSE_INSF_IxEEEESM_EEEEEPS7_SP_SP_NSC_11hip_rocprim7__merge17predicate_wrapperIxxNSC_4lessIxEEEEEE10hipError_tPvRmT0_T1_T2_T3_T4_T5_mmT6_P12ihipStream_tbEUlT_E_NS1_11comp_targetILNS1_3genE2ELNS1_11target_archE906ELNS1_3gpuE6ELNS1_3repE0EEENS1_30default_config_static_selectorELNS0_4arch9wavefront6targetE0EEEvS10_, .Lfunc_end211-_ZN7rocprim17ROCPRIM_400000_NS6detail17trampoline_kernelINS0_14default_configENS1_21merge_config_selectorINS0_5tupleIJxxEEENS0_10empty_typeEEEZNS1_10merge_implIS3_NS0_12zip_iteratorINS5_IJN6thrust23THRUST_200600_302600_NS6detail15normal_iteratorINSC_10device_ptrIKxEEEESI_EEEEESK_NSA_INS5_IJNSE_INSF_IxEEEESM_EEEEEPS7_SP_SP_NSC_11hip_rocprim7__merge17predicate_wrapperIxxNSC_4lessIxEEEEEE10hipError_tPvRmT0_T1_T2_T3_T4_T5_mmT6_P12ihipStream_tbEUlT_E_NS1_11comp_targetILNS1_3genE2ELNS1_11target_archE906ELNS1_3gpuE6ELNS1_3repE0EEENS1_30default_config_static_selectorELNS0_4arch9wavefront6targetE0EEEvS10_
                                        ; -- End function
	.set _ZN7rocprim17ROCPRIM_400000_NS6detail17trampoline_kernelINS0_14default_configENS1_21merge_config_selectorINS0_5tupleIJxxEEENS0_10empty_typeEEEZNS1_10merge_implIS3_NS0_12zip_iteratorINS5_IJN6thrust23THRUST_200600_302600_NS6detail15normal_iteratorINSC_10device_ptrIKxEEEESI_EEEEESK_NSA_INS5_IJNSE_INSF_IxEEEESM_EEEEEPS7_SP_SP_NSC_11hip_rocprim7__merge17predicate_wrapperIxxNSC_4lessIxEEEEEE10hipError_tPvRmT0_T1_T2_T3_T4_T5_mmT6_P12ihipStream_tbEUlT_E_NS1_11comp_targetILNS1_3genE2ELNS1_11target_archE906ELNS1_3gpuE6ELNS1_3repE0EEENS1_30default_config_static_selectorELNS0_4arch9wavefront6targetE0EEEvS10_.num_vgpr, 0
	.set _ZN7rocprim17ROCPRIM_400000_NS6detail17trampoline_kernelINS0_14default_configENS1_21merge_config_selectorINS0_5tupleIJxxEEENS0_10empty_typeEEEZNS1_10merge_implIS3_NS0_12zip_iteratorINS5_IJN6thrust23THRUST_200600_302600_NS6detail15normal_iteratorINSC_10device_ptrIKxEEEESI_EEEEESK_NSA_INS5_IJNSE_INSF_IxEEEESM_EEEEEPS7_SP_SP_NSC_11hip_rocprim7__merge17predicate_wrapperIxxNSC_4lessIxEEEEEE10hipError_tPvRmT0_T1_T2_T3_T4_T5_mmT6_P12ihipStream_tbEUlT_E_NS1_11comp_targetILNS1_3genE2ELNS1_11target_archE906ELNS1_3gpuE6ELNS1_3repE0EEENS1_30default_config_static_selectorELNS0_4arch9wavefront6targetE0EEEvS10_.num_agpr, 0
	.set _ZN7rocprim17ROCPRIM_400000_NS6detail17trampoline_kernelINS0_14default_configENS1_21merge_config_selectorINS0_5tupleIJxxEEENS0_10empty_typeEEEZNS1_10merge_implIS3_NS0_12zip_iteratorINS5_IJN6thrust23THRUST_200600_302600_NS6detail15normal_iteratorINSC_10device_ptrIKxEEEESI_EEEEESK_NSA_INS5_IJNSE_INSF_IxEEEESM_EEEEEPS7_SP_SP_NSC_11hip_rocprim7__merge17predicate_wrapperIxxNSC_4lessIxEEEEEE10hipError_tPvRmT0_T1_T2_T3_T4_T5_mmT6_P12ihipStream_tbEUlT_E_NS1_11comp_targetILNS1_3genE2ELNS1_11target_archE906ELNS1_3gpuE6ELNS1_3repE0EEENS1_30default_config_static_selectorELNS0_4arch9wavefront6targetE0EEEvS10_.numbered_sgpr, 0
	.set _ZN7rocprim17ROCPRIM_400000_NS6detail17trampoline_kernelINS0_14default_configENS1_21merge_config_selectorINS0_5tupleIJxxEEENS0_10empty_typeEEEZNS1_10merge_implIS3_NS0_12zip_iteratorINS5_IJN6thrust23THRUST_200600_302600_NS6detail15normal_iteratorINSC_10device_ptrIKxEEEESI_EEEEESK_NSA_INS5_IJNSE_INSF_IxEEEESM_EEEEEPS7_SP_SP_NSC_11hip_rocprim7__merge17predicate_wrapperIxxNSC_4lessIxEEEEEE10hipError_tPvRmT0_T1_T2_T3_T4_T5_mmT6_P12ihipStream_tbEUlT_E_NS1_11comp_targetILNS1_3genE2ELNS1_11target_archE906ELNS1_3gpuE6ELNS1_3repE0EEENS1_30default_config_static_selectorELNS0_4arch9wavefront6targetE0EEEvS10_.num_named_barrier, 0
	.set _ZN7rocprim17ROCPRIM_400000_NS6detail17trampoline_kernelINS0_14default_configENS1_21merge_config_selectorINS0_5tupleIJxxEEENS0_10empty_typeEEEZNS1_10merge_implIS3_NS0_12zip_iteratorINS5_IJN6thrust23THRUST_200600_302600_NS6detail15normal_iteratorINSC_10device_ptrIKxEEEESI_EEEEESK_NSA_INS5_IJNSE_INSF_IxEEEESM_EEEEEPS7_SP_SP_NSC_11hip_rocprim7__merge17predicate_wrapperIxxNSC_4lessIxEEEEEE10hipError_tPvRmT0_T1_T2_T3_T4_T5_mmT6_P12ihipStream_tbEUlT_E_NS1_11comp_targetILNS1_3genE2ELNS1_11target_archE906ELNS1_3gpuE6ELNS1_3repE0EEENS1_30default_config_static_selectorELNS0_4arch9wavefront6targetE0EEEvS10_.private_seg_size, 0
	.set _ZN7rocprim17ROCPRIM_400000_NS6detail17trampoline_kernelINS0_14default_configENS1_21merge_config_selectorINS0_5tupleIJxxEEENS0_10empty_typeEEEZNS1_10merge_implIS3_NS0_12zip_iteratorINS5_IJN6thrust23THRUST_200600_302600_NS6detail15normal_iteratorINSC_10device_ptrIKxEEEESI_EEEEESK_NSA_INS5_IJNSE_INSF_IxEEEESM_EEEEEPS7_SP_SP_NSC_11hip_rocprim7__merge17predicate_wrapperIxxNSC_4lessIxEEEEEE10hipError_tPvRmT0_T1_T2_T3_T4_T5_mmT6_P12ihipStream_tbEUlT_E_NS1_11comp_targetILNS1_3genE2ELNS1_11target_archE906ELNS1_3gpuE6ELNS1_3repE0EEENS1_30default_config_static_selectorELNS0_4arch9wavefront6targetE0EEEvS10_.uses_vcc, 0
	.set _ZN7rocprim17ROCPRIM_400000_NS6detail17trampoline_kernelINS0_14default_configENS1_21merge_config_selectorINS0_5tupleIJxxEEENS0_10empty_typeEEEZNS1_10merge_implIS3_NS0_12zip_iteratorINS5_IJN6thrust23THRUST_200600_302600_NS6detail15normal_iteratorINSC_10device_ptrIKxEEEESI_EEEEESK_NSA_INS5_IJNSE_INSF_IxEEEESM_EEEEEPS7_SP_SP_NSC_11hip_rocprim7__merge17predicate_wrapperIxxNSC_4lessIxEEEEEE10hipError_tPvRmT0_T1_T2_T3_T4_T5_mmT6_P12ihipStream_tbEUlT_E_NS1_11comp_targetILNS1_3genE2ELNS1_11target_archE906ELNS1_3gpuE6ELNS1_3repE0EEENS1_30default_config_static_selectorELNS0_4arch9wavefront6targetE0EEEvS10_.uses_flat_scratch, 0
	.set _ZN7rocprim17ROCPRIM_400000_NS6detail17trampoline_kernelINS0_14default_configENS1_21merge_config_selectorINS0_5tupleIJxxEEENS0_10empty_typeEEEZNS1_10merge_implIS3_NS0_12zip_iteratorINS5_IJN6thrust23THRUST_200600_302600_NS6detail15normal_iteratorINSC_10device_ptrIKxEEEESI_EEEEESK_NSA_INS5_IJNSE_INSF_IxEEEESM_EEEEEPS7_SP_SP_NSC_11hip_rocprim7__merge17predicate_wrapperIxxNSC_4lessIxEEEEEE10hipError_tPvRmT0_T1_T2_T3_T4_T5_mmT6_P12ihipStream_tbEUlT_E_NS1_11comp_targetILNS1_3genE2ELNS1_11target_archE906ELNS1_3gpuE6ELNS1_3repE0EEENS1_30default_config_static_selectorELNS0_4arch9wavefront6targetE0EEEvS10_.has_dyn_sized_stack, 0
	.set _ZN7rocprim17ROCPRIM_400000_NS6detail17trampoline_kernelINS0_14default_configENS1_21merge_config_selectorINS0_5tupleIJxxEEENS0_10empty_typeEEEZNS1_10merge_implIS3_NS0_12zip_iteratorINS5_IJN6thrust23THRUST_200600_302600_NS6detail15normal_iteratorINSC_10device_ptrIKxEEEESI_EEEEESK_NSA_INS5_IJNSE_INSF_IxEEEESM_EEEEEPS7_SP_SP_NSC_11hip_rocprim7__merge17predicate_wrapperIxxNSC_4lessIxEEEEEE10hipError_tPvRmT0_T1_T2_T3_T4_T5_mmT6_P12ihipStream_tbEUlT_E_NS1_11comp_targetILNS1_3genE2ELNS1_11target_archE906ELNS1_3gpuE6ELNS1_3repE0EEENS1_30default_config_static_selectorELNS0_4arch9wavefront6targetE0EEEvS10_.has_recursion, 0
	.set _ZN7rocprim17ROCPRIM_400000_NS6detail17trampoline_kernelINS0_14default_configENS1_21merge_config_selectorINS0_5tupleIJxxEEENS0_10empty_typeEEEZNS1_10merge_implIS3_NS0_12zip_iteratorINS5_IJN6thrust23THRUST_200600_302600_NS6detail15normal_iteratorINSC_10device_ptrIKxEEEESI_EEEEESK_NSA_INS5_IJNSE_INSF_IxEEEESM_EEEEEPS7_SP_SP_NSC_11hip_rocprim7__merge17predicate_wrapperIxxNSC_4lessIxEEEEEE10hipError_tPvRmT0_T1_T2_T3_T4_T5_mmT6_P12ihipStream_tbEUlT_E_NS1_11comp_targetILNS1_3genE2ELNS1_11target_archE906ELNS1_3gpuE6ELNS1_3repE0EEENS1_30default_config_static_selectorELNS0_4arch9wavefront6targetE0EEEvS10_.has_indirect_call, 0
	.section	.AMDGPU.csdata,"",@progbits
; Kernel info:
; codeLenInByte = 0
; TotalNumSgprs: 0
; NumVgprs: 0
; ScratchSize: 0
; MemoryBound: 0
; FloatMode: 240
; IeeeMode: 1
; LDSByteSize: 0 bytes/workgroup (compile time only)
; SGPRBlocks: 0
; VGPRBlocks: 0
; NumSGPRsForWavesPerEU: 1
; NumVGPRsForWavesPerEU: 1
; Occupancy: 16
; WaveLimiterHint : 0
; COMPUTE_PGM_RSRC2:SCRATCH_EN: 0
; COMPUTE_PGM_RSRC2:USER_SGPR: 6
; COMPUTE_PGM_RSRC2:TRAP_HANDLER: 0
; COMPUTE_PGM_RSRC2:TGID_X_EN: 1
; COMPUTE_PGM_RSRC2:TGID_Y_EN: 0
; COMPUTE_PGM_RSRC2:TGID_Z_EN: 0
; COMPUTE_PGM_RSRC2:TIDIG_COMP_CNT: 0
	.section	.text._ZN7rocprim17ROCPRIM_400000_NS6detail17trampoline_kernelINS0_14default_configENS1_21merge_config_selectorINS0_5tupleIJxxEEENS0_10empty_typeEEEZNS1_10merge_implIS3_NS0_12zip_iteratorINS5_IJN6thrust23THRUST_200600_302600_NS6detail15normal_iteratorINSC_10device_ptrIKxEEEESI_EEEEESK_NSA_INS5_IJNSE_INSF_IxEEEESM_EEEEEPS7_SP_SP_NSC_11hip_rocprim7__merge17predicate_wrapperIxxNSC_4lessIxEEEEEE10hipError_tPvRmT0_T1_T2_T3_T4_T5_mmT6_P12ihipStream_tbEUlT_E_NS1_11comp_targetILNS1_3genE10ELNS1_11target_archE1201ELNS1_3gpuE5ELNS1_3repE0EEENS1_30default_config_static_selectorELNS0_4arch9wavefront6targetE0EEEvS10_,"axG",@progbits,_ZN7rocprim17ROCPRIM_400000_NS6detail17trampoline_kernelINS0_14default_configENS1_21merge_config_selectorINS0_5tupleIJxxEEENS0_10empty_typeEEEZNS1_10merge_implIS3_NS0_12zip_iteratorINS5_IJN6thrust23THRUST_200600_302600_NS6detail15normal_iteratorINSC_10device_ptrIKxEEEESI_EEEEESK_NSA_INS5_IJNSE_INSF_IxEEEESM_EEEEEPS7_SP_SP_NSC_11hip_rocprim7__merge17predicate_wrapperIxxNSC_4lessIxEEEEEE10hipError_tPvRmT0_T1_T2_T3_T4_T5_mmT6_P12ihipStream_tbEUlT_E_NS1_11comp_targetILNS1_3genE10ELNS1_11target_archE1201ELNS1_3gpuE5ELNS1_3repE0EEENS1_30default_config_static_selectorELNS0_4arch9wavefront6targetE0EEEvS10_,comdat
	.protected	_ZN7rocprim17ROCPRIM_400000_NS6detail17trampoline_kernelINS0_14default_configENS1_21merge_config_selectorINS0_5tupleIJxxEEENS0_10empty_typeEEEZNS1_10merge_implIS3_NS0_12zip_iteratorINS5_IJN6thrust23THRUST_200600_302600_NS6detail15normal_iteratorINSC_10device_ptrIKxEEEESI_EEEEESK_NSA_INS5_IJNSE_INSF_IxEEEESM_EEEEEPS7_SP_SP_NSC_11hip_rocprim7__merge17predicate_wrapperIxxNSC_4lessIxEEEEEE10hipError_tPvRmT0_T1_T2_T3_T4_T5_mmT6_P12ihipStream_tbEUlT_E_NS1_11comp_targetILNS1_3genE10ELNS1_11target_archE1201ELNS1_3gpuE5ELNS1_3repE0EEENS1_30default_config_static_selectorELNS0_4arch9wavefront6targetE0EEEvS10_ ; -- Begin function _ZN7rocprim17ROCPRIM_400000_NS6detail17trampoline_kernelINS0_14default_configENS1_21merge_config_selectorINS0_5tupleIJxxEEENS0_10empty_typeEEEZNS1_10merge_implIS3_NS0_12zip_iteratorINS5_IJN6thrust23THRUST_200600_302600_NS6detail15normal_iteratorINSC_10device_ptrIKxEEEESI_EEEEESK_NSA_INS5_IJNSE_INSF_IxEEEESM_EEEEEPS7_SP_SP_NSC_11hip_rocprim7__merge17predicate_wrapperIxxNSC_4lessIxEEEEEE10hipError_tPvRmT0_T1_T2_T3_T4_T5_mmT6_P12ihipStream_tbEUlT_E_NS1_11comp_targetILNS1_3genE10ELNS1_11target_archE1201ELNS1_3gpuE5ELNS1_3repE0EEENS1_30default_config_static_selectorELNS0_4arch9wavefront6targetE0EEEvS10_
	.globl	_ZN7rocprim17ROCPRIM_400000_NS6detail17trampoline_kernelINS0_14default_configENS1_21merge_config_selectorINS0_5tupleIJxxEEENS0_10empty_typeEEEZNS1_10merge_implIS3_NS0_12zip_iteratorINS5_IJN6thrust23THRUST_200600_302600_NS6detail15normal_iteratorINSC_10device_ptrIKxEEEESI_EEEEESK_NSA_INS5_IJNSE_INSF_IxEEEESM_EEEEEPS7_SP_SP_NSC_11hip_rocprim7__merge17predicate_wrapperIxxNSC_4lessIxEEEEEE10hipError_tPvRmT0_T1_T2_T3_T4_T5_mmT6_P12ihipStream_tbEUlT_E_NS1_11comp_targetILNS1_3genE10ELNS1_11target_archE1201ELNS1_3gpuE5ELNS1_3repE0EEENS1_30default_config_static_selectorELNS0_4arch9wavefront6targetE0EEEvS10_
	.p2align	8
	.type	_ZN7rocprim17ROCPRIM_400000_NS6detail17trampoline_kernelINS0_14default_configENS1_21merge_config_selectorINS0_5tupleIJxxEEENS0_10empty_typeEEEZNS1_10merge_implIS3_NS0_12zip_iteratorINS5_IJN6thrust23THRUST_200600_302600_NS6detail15normal_iteratorINSC_10device_ptrIKxEEEESI_EEEEESK_NSA_INS5_IJNSE_INSF_IxEEEESM_EEEEEPS7_SP_SP_NSC_11hip_rocprim7__merge17predicate_wrapperIxxNSC_4lessIxEEEEEE10hipError_tPvRmT0_T1_T2_T3_T4_T5_mmT6_P12ihipStream_tbEUlT_E_NS1_11comp_targetILNS1_3genE10ELNS1_11target_archE1201ELNS1_3gpuE5ELNS1_3repE0EEENS1_30default_config_static_selectorELNS0_4arch9wavefront6targetE0EEEvS10_,@function
_ZN7rocprim17ROCPRIM_400000_NS6detail17trampoline_kernelINS0_14default_configENS1_21merge_config_selectorINS0_5tupleIJxxEEENS0_10empty_typeEEEZNS1_10merge_implIS3_NS0_12zip_iteratorINS5_IJN6thrust23THRUST_200600_302600_NS6detail15normal_iteratorINSC_10device_ptrIKxEEEESI_EEEEESK_NSA_INS5_IJNSE_INSF_IxEEEESM_EEEEEPS7_SP_SP_NSC_11hip_rocprim7__merge17predicate_wrapperIxxNSC_4lessIxEEEEEE10hipError_tPvRmT0_T1_T2_T3_T4_T5_mmT6_P12ihipStream_tbEUlT_E_NS1_11comp_targetILNS1_3genE10ELNS1_11target_archE1201ELNS1_3gpuE5ELNS1_3repE0EEENS1_30default_config_static_selectorELNS0_4arch9wavefront6targetE0EEEvS10_: ; @_ZN7rocprim17ROCPRIM_400000_NS6detail17trampoline_kernelINS0_14default_configENS1_21merge_config_selectorINS0_5tupleIJxxEEENS0_10empty_typeEEEZNS1_10merge_implIS3_NS0_12zip_iteratorINS5_IJN6thrust23THRUST_200600_302600_NS6detail15normal_iteratorINSC_10device_ptrIKxEEEESI_EEEEESK_NSA_INS5_IJNSE_INSF_IxEEEESM_EEEEEPS7_SP_SP_NSC_11hip_rocprim7__merge17predicate_wrapperIxxNSC_4lessIxEEEEEE10hipError_tPvRmT0_T1_T2_T3_T4_T5_mmT6_P12ihipStream_tbEUlT_E_NS1_11comp_targetILNS1_3genE10ELNS1_11target_archE1201ELNS1_3gpuE5ELNS1_3repE0EEENS1_30default_config_static_selectorELNS0_4arch9wavefront6targetE0EEEvS10_
; %bb.0:
	.section	.rodata,"a",@progbits
	.p2align	6, 0x0
	.amdhsa_kernel _ZN7rocprim17ROCPRIM_400000_NS6detail17trampoline_kernelINS0_14default_configENS1_21merge_config_selectorINS0_5tupleIJxxEEENS0_10empty_typeEEEZNS1_10merge_implIS3_NS0_12zip_iteratorINS5_IJN6thrust23THRUST_200600_302600_NS6detail15normal_iteratorINSC_10device_ptrIKxEEEESI_EEEEESK_NSA_INS5_IJNSE_INSF_IxEEEESM_EEEEEPS7_SP_SP_NSC_11hip_rocprim7__merge17predicate_wrapperIxxNSC_4lessIxEEEEEE10hipError_tPvRmT0_T1_T2_T3_T4_T5_mmT6_P12ihipStream_tbEUlT_E_NS1_11comp_targetILNS1_3genE10ELNS1_11target_archE1201ELNS1_3gpuE5ELNS1_3repE0EEENS1_30default_config_static_selectorELNS0_4arch9wavefront6targetE0EEEvS10_
		.amdhsa_group_segment_fixed_size 0
		.amdhsa_private_segment_fixed_size 0
		.amdhsa_kernarg_size 64
		.amdhsa_user_sgpr_count 6
		.amdhsa_user_sgpr_private_segment_buffer 1
		.amdhsa_user_sgpr_dispatch_ptr 0
		.amdhsa_user_sgpr_queue_ptr 0
		.amdhsa_user_sgpr_kernarg_segment_ptr 1
		.amdhsa_user_sgpr_dispatch_id 0
		.amdhsa_user_sgpr_flat_scratch_init 0
		.amdhsa_user_sgpr_private_segment_size 0
		.amdhsa_wavefront_size32 1
		.amdhsa_uses_dynamic_stack 0
		.amdhsa_system_sgpr_private_segment_wavefront_offset 0
		.amdhsa_system_sgpr_workgroup_id_x 1
		.amdhsa_system_sgpr_workgroup_id_y 0
		.amdhsa_system_sgpr_workgroup_id_z 0
		.amdhsa_system_sgpr_workgroup_info 0
		.amdhsa_system_vgpr_workitem_id 0
		.amdhsa_next_free_vgpr 1
		.amdhsa_next_free_sgpr 1
		.amdhsa_reserve_vcc 0
		.amdhsa_reserve_flat_scratch 0
		.amdhsa_float_round_mode_32 0
		.amdhsa_float_round_mode_16_64 0
		.amdhsa_float_denorm_mode_32 3
		.amdhsa_float_denorm_mode_16_64 3
		.amdhsa_dx10_clamp 1
		.amdhsa_ieee_mode 1
		.amdhsa_fp16_overflow 0
		.amdhsa_workgroup_processor_mode 1
		.amdhsa_memory_ordered 1
		.amdhsa_forward_progress 1
		.amdhsa_shared_vgpr_count 0
		.amdhsa_exception_fp_ieee_invalid_op 0
		.amdhsa_exception_fp_denorm_src 0
		.amdhsa_exception_fp_ieee_div_zero 0
		.amdhsa_exception_fp_ieee_overflow 0
		.amdhsa_exception_fp_ieee_underflow 0
		.amdhsa_exception_fp_ieee_inexact 0
		.amdhsa_exception_int_div_zero 0
	.end_amdhsa_kernel
	.section	.text._ZN7rocprim17ROCPRIM_400000_NS6detail17trampoline_kernelINS0_14default_configENS1_21merge_config_selectorINS0_5tupleIJxxEEENS0_10empty_typeEEEZNS1_10merge_implIS3_NS0_12zip_iteratorINS5_IJN6thrust23THRUST_200600_302600_NS6detail15normal_iteratorINSC_10device_ptrIKxEEEESI_EEEEESK_NSA_INS5_IJNSE_INSF_IxEEEESM_EEEEEPS7_SP_SP_NSC_11hip_rocprim7__merge17predicate_wrapperIxxNSC_4lessIxEEEEEE10hipError_tPvRmT0_T1_T2_T3_T4_T5_mmT6_P12ihipStream_tbEUlT_E_NS1_11comp_targetILNS1_3genE10ELNS1_11target_archE1201ELNS1_3gpuE5ELNS1_3repE0EEENS1_30default_config_static_selectorELNS0_4arch9wavefront6targetE0EEEvS10_,"axG",@progbits,_ZN7rocprim17ROCPRIM_400000_NS6detail17trampoline_kernelINS0_14default_configENS1_21merge_config_selectorINS0_5tupleIJxxEEENS0_10empty_typeEEEZNS1_10merge_implIS3_NS0_12zip_iteratorINS5_IJN6thrust23THRUST_200600_302600_NS6detail15normal_iteratorINSC_10device_ptrIKxEEEESI_EEEEESK_NSA_INS5_IJNSE_INSF_IxEEEESM_EEEEEPS7_SP_SP_NSC_11hip_rocprim7__merge17predicate_wrapperIxxNSC_4lessIxEEEEEE10hipError_tPvRmT0_T1_T2_T3_T4_T5_mmT6_P12ihipStream_tbEUlT_E_NS1_11comp_targetILNS1_3genE10ELNS1_11target_archE1201ELNS1_3gpuE5ELNS1_3repE0EEENS1_30default_config_static_selectorELNS0_4arch9wavefront6targetE0EEEvS10_,comdat
.Lfunc_end212:
	.size	_ZN7rocprim17ROCPRIM_400000_NS6detail17trampoline_kernelINS0_14default_configENS1_21merge_config_selectorINS0_5tupleIJxxEEENS0_10empty_typeEEEZNS1_10merge_implIS3_NS0_12zip_iteratorINS5_IJN6thrust23THRUST_200600_302600_NS6detail15normal_iteratorINSC_10device_ptrIKxEEEESI_EEEEESK_NSA_INS5_IJNSE_INSF_IxEEEESM_EEEEEPS7_SP_SP_NSC_11hip_rocprim7__merge17predicate_wrapperIxxNSC_4lessIxEEEEEE10hipError_tPvRmT0_T1_T2_T3_T4_T5_mmT6_P12ihipStream_tbEUlT_E_NS1_11comp_targetILNS1_3genE10ELNS1_11target_archE1201ELNS1_3gpuE5ELNS1_3repE0EEENS1_30default_config_static_selectorELNS0_4arch9wavefront6targetE0EEEvS10_, .Lfunc_end212-_ZN7rocprim17ROCPRIM_400000_NS6detail17trampoline_kernelINS0_14default_configENS1_21merge_config_selectorINS0_5tupleIJxxEEENS0_10empty_typeEEEZNS1_10merge_implIS3_NS0_12zip_iteratorINS5_IJN6thrust23THRUST_200600_302600_NS6detail15normal_iteratorINSC_10device_ptrIKxEEEESI_EEEEESK_NSA_INS5_IJNSE_INSF_IxEEEESM_EEEEEPS7_SP_SP_NSC_11hip_rocprim7__merge17predicate_wrapperIxxNSC_4lessIxEEEEEE10hipError_tPvRmT0_T1_T2_T3_T4_T5_mmT6_P12ihipStream_tbEUlT_E_NS1_11comp_targetILNS1_3genE10ELNS1_11target_archE1201ELNS1_3gpuE5ELNS1_3repE0EEENS1_30default_config_static_selectorELNS0_4arch9wavefront6targetE0EEEvS10_
                                        ; -- End function
	.set _ZN7rocprim17ROCPRIM_400000_NS6detail17trampoline_kernelINS0_14default_configENS1_21merge_config_selectorINS0_5tupleIJxxEEENS0_10empty_typeEEEZNS1_10merge_implIS3_NS0_12zip_iteratorINS5_IJN6thrust23THRUST_200600_302600_NS6detail15normal_iteratorINSC_10device_ptrIKxEEEESI_EEEEESK_NSA_INS5_IJNSE_INSF_IxEEEESM_EEEEEPS7_SP_SP_NSC_11hip_rocprim7__merge17predicate_wrapperIxxNSC_4lessIxEEEEEE10hipError_tPvRmT0_T1_T2_T3_T4_T5_mmT6_P12ihipStream_tbEUlT_E_NS1_11comp_targetILNS1_3genE10ELNS1_11target_archE1201ELNS1_3gpuE5ELNS1_3repE0EEENS1_30default_config_static_selectorELNS0_4arch9wavefront6targetE0EEEvS10_.num_vgpr, 0
	.set _ZN7rocprim17ROCPRIM_400000_NS6detail17trampoline_kernelINS0_14default_configENS1_21merge_config_selectorINS0_5tupleIJxxEEENS0_10empty_typeEEEZNS1_10merge_implIS3_NS0_12zip_iteratorINS5_IJN6thrust23THRUST_200600_302600_NS6detail15normal_iteratorINSC_10device_ptrIKxEEEESI_EEEEESK_NSA_INS5_IJNSE_INSF_IxEEEESM_EEEEEPS7_SP_SP_NSC_11hip_rocprim7__merge17predicate_wrapperIxxNSC_4lessIxEEEEEE10hipError_tPvRmT0_T1_T2_T3_T4_T5_mmT6_P12ihipStream_tbEUlT_E_NS1_11comp_targetILNS1_3genE10ELNS1_11target_archE1201ELNS1_3gpuE5ELNS1_3repE0EEENS1_30default_config_static_selectorELNS0_4arch9wavefront6targetE0EEEvS10_.num_agpr, 0
	.set _ZN7rocprim17ROCPRIM_400000_NS6detail17trampoline_kernelINS0_14default_configENS1_21merge_config_selectorINS0_5tupleIJxxEEENS0_10empty_typeEEEZNS1_10merge_implIS3_NS0_12zip_iteratorINS5_IJN6thrust23THRUST_200600_302600_NS6detail15normal_iteratorINSC_10device_ptrIKxEEEESI_EEEEESK_NSA_INS5_IJNSE_INSF_IxEEEESM_EEEEEPS7_SP_SP_NSC_11hip_rocprim7__merge17predicate_wrapperIxxNSC_4lessIxEEEEEE10hipError_tPvRmT0_T1_T2_T3_T4_T5_mmT6_P12ihipStream_tbEUlT_E_NS1_11comp_targetILNS1_3genE10ELNS1_11target_archE1201ELNS1_3gpuE5ELNS1_3repE0EEENS1_30default_config_static_selectorELNS0_4arch9wavefront6targetE0EEEvS10_.numbered_sgpr, 0
	.set _ZN7rocprim17ROCPRIM_400000_NS6detail17trampoline_kernelINS0_14default_configENS1_21merge_config_selectorINS0_5tupleIJxxEEENS0_10empty_typeEEEZNS1_10merge_implIS3_NS0_12zip_iteratorINS5_IJN6thrust23THRUST_200600_302600_NS6detail15normal_iteratorINSC_10device_ptrIKxEEEESI_EEEEESK_NSA_INS5_IJNSE_INSF_IxEEEESM_EEEEEPS7_SP_SP_NSC_11hip_rocprim7__merge17predicate_wrapperIxxNSC_4lessIxEEEEEE10hipError_tPvRmT0_T1_T2_T3_T4_T5_mmT6_P12ihipStream_tbEUlT_E_NS1_11comp_targetILNS1_3genE10ELNS1_11target_archE1201ELNS1_3gpuE5ELNS1_3repE0EEENS1_30default_config_static_selectorELNS0_4arch9wavefront6targetE0EEEvS10_.num_named_barrier, 0
	.set _ZN7rocprim17ROCPRIM_400000_NS6detail17trampoline_kernelINS0_14default_configENS1_21merge_config_selectorINS0_5tupleIJxxEEENS0_10empty_typeEEEZNS1_10merge_implIS3_NS0_12zip_iteratorINS5_IJN6thrust23THRUST_200600_302600_NS6detail15normal_iteratorINSC_10device_ptrIKxEEEESI_EEEEESK_NSA_INS5_IJNSE_INSF_IxEEEESM_EEEEEPS7_SP_SP_NSC_11hip_rocprim7__merge17predicate_wrapperIxxNSC_4lessIxEEEEEE10hipError_tPvRmT0_T1_T2_T3_T4_T5_mmT6_P12ihipStream_tbEUlT_E_NS1_11comp_targetILNS1_3genE10ELNS1_11target_archE1201ELNS1_3gpuE5ELNS1_3repE0EEENS1_30default_config_static_selectorELNS0_4arch9wavefront6targetE0EEEvS10_.private_seg_size, 0
	.set _ZN7rocprim17ROCPRIM_400000_NS6detail17trampoline_kernelINS0_14default_configENS1_21merge_config_selectorINS0_5tupleIJxxEEENS0_10empty_typeEEEZNS1_10merge_implIS3_NS0_12zip_iteratorINS5_IJN6thrust23THRUST_200600_302600_NS6detail15normal_iteratorINSC_10device_ptrIKxEEEESI_EEEEESK_NSA_INS5_IJNSE_INSF_IxEEEESM_EEEEEPS7_SP_SP_NSC_11hip_rocprim7__merge17predicate_wrapperIxxNSC_4lessIxEEEEEE10hipError_tPvRmT0_T1_T2_T3_T4_T5_mmT6_P12ihipStream_tbEUlT_E_NS1_11comp_targetILNS1_3genE10ELNS1_11target_archE1201ELNS1_3gpuE5ELNS1_3repE0EEENS1_30default_config_static_selectorELNS0_4arch9wavefront6targetE0EEEvS10_.uses_vcc, 0
	.set _ZN7rocprim17ROCPRIM_400000_NS6detail17trampoline_kernelINS0_14default_configENS1_21merge_config_selectorINS0_5tupleIJxxEEENS0_10empty_typeEEEZNS1_10merge_implIS3_NS0_12zip_iteratorINS5_IJN6thrust23THRUST_200600_302600_NS6detail15normal_iteratorINSC_10device_ptrIKxEEEESI_EEEEESK_NSA_INS5_IJNSE_INSF_IxEEEESM_EEEEEPS7_SP_SP_NSC_11hip_rocprim7__merge17predicate_wrapperIxxNSC_4lessIxEEEEEE10hipError_tPvRmT0_T1_T2_T3_T4_T5_mmT6_P12ihipStream_tbEUlT_E_NS1_11comp_targetILNS1_3genE10ELNS1_11target_archE1201ELNS1_3gpuE5ELNS1_3repE0EEENS1_30default_config_static_selectorELNS0_4arch9wavefront6targetE0EEEvS10_.uses_flat_scratch, 0
	.set _ZN7rocprim17ROCPRIM_400000_NS6detail17trampoline_kernelINS0_14default_configENS1_21merge_config_selectorINS0_5tupleIJxxEEENS0_10empty_typeEEEZNS1_10merge_implIS3_NS0_12zip_iteratorINS5_IJN6thrust23THRUST_200600_302600_NS6detail15normal_iteratorINSC_10device_ptrIKxEEEESI_EEEEESK_NSA_INS5_IJNSE_INSF_IxEEEESM_EEEEEPS7_SP_SP_NSC_11hip_rocprim7__merge17predicate_wrapperIxxNSC_4lessIxEEEEEE10hipError_tPvRmT0_T1_T2_T3_T4_T5_mmT6_P12ihipStream_tbEUlT_E_NS1_11comp_targetILNS1_3genE10ELNS1_11target_archE1201ELNS1_3gpuE5ELNS1_3repE0EEENS1_30default_config_static_selectorELNS0_4arch9wavefront6targetE0EEEvS10_.has_dyn_sized_stack, 0
	.set _ZN7rocprim17ROCPRIM_400000_NS6detail17trampoline_kernelINS0_14default_configENS1_21merge_config_selectorINS0_5tupleIJxxEEENS0_10empty_typeEEEZNS1_10merge_implIS3_NS0_12zip_iteratorINS5_IJN6thrust23THRUST_200600_302600_NS6detail15normal_iteratorINSC_10device_ptrIKxEEEESI_EEEEESK_NSA_INS5_IJNSE_INSF_IxEEEESM_EEEEEPS7_SP_SP_NSC_11hip_rocprim7__merge17predicate_wrapperIxxNSC_4lessIxEEEEEE10hipError_tPvRmT0_T1_T2_T3_T4_T5_mmT6_P12ihipStream_tbEUlT_E_NS1_11comp_targetILNS1_3genE10ELNS1_11target_archE1201ELNS1_3gpuE5ELNS1_3repE0EEENS1_30default_config_static_selectorELNS0_4arch9wavefront6targetE0EEEvS10_.has_recursion, 0
	.set _ZN7rocprim17ROCPRIM_400000_NS6detail17trampoline_kernelINS0_14default_configENS1_21merge_config_selectorINS0_5tupleIJxxEEENS0_10empty_typeEEEZNS1_10merge_implIS3_NS0_12zip_iteratorINS5_IJN6thrust23THRUST_200600_302600_NS6detail15normal_iteratorINSC_10device_ptrIKxEEEESI_EEEEESK_NSA_INS5_IJNSE_INSF_IxEEEESM_EEEEEPS7_SP_SP_NSC_11hip_rocprim7__merge17predicate_wrapperIxxNSC_4lessIxEEEEEE10hipError_tPvRmT0_T1_T2_T3_T4_T5_mmT6_P12ihipStream_tbEUlT_E_NS1_11comp_targetILNS1_3genE10ELNS1_11target_archE1201ELNS1_3gpuE5ELNS1_3repE0EEENS1_30default_config_static_selectorELNS0_4arch9wavefront6targetE0EEEvS10_.has_indirect_call, 0
	.section	.AMDGPU.csdata,"",@progbits
; Kernel info:
; codeLenInByte = 0
; TotalNumSgprs: 0
; NumVgprs: 0
; ScratchSize: 0
; MemoryBound: 0
; FloatMode: 240
; IeeeMode: 1
; LDSByteSize: 0 bytes/workgroup (compile time only)
; SGPRBlocks: 0
; VGPRBlocks: 0
; NumSGPRsForWavesPerEU: 1
; NumVGPRsForWavesPerEU: 1
; Occupancy: 16
; WaveLimiterHint : 0
; COMPUTE_PGM_RSRC2:SCRATCH_EN: 0
; COMPUTE_PGM_RSRC2:USER_SGPR: 6
; COMPUTE_PGM_RSRC2:TRAP_HANDLER: 0
; COMPUTE_PGM_RSRC2:TGID_X_EN: 1
; COMPUTE_PGM_RSRC2:TGID_Y_EN: 0
; COMPUTE_PGM_RSRC2:TGID_Z_EN: 0
; COMPUTE_PGM_RSRC2:TIDIG_COMP_CNT: 0
	.section	.text._ZN7rocprim17ROCPRIM_400000_NS6detail17trampoline_kernelINS0_14default_configENS1_21merge_config_selectorINS0_5tupleIJxxEEENS0_10empty_typeEEEZNS1_10merge_implIS3_NS0_12zip_iteratorINS5_IJN6thrust23THRUST_200600_302600_NS6detail15normal_iteratorINSC_10device_ptrIKxEEEESI_EEEEESK_NSA_INS5_IJNSE_INSF_IxEEEESM_EEEEEPS7_SP_SP_NSC_11hip_rocprim7__merge17predicate_wrapperIxxNSC_4lessIxEEEEEE10hipError_tPvRmT0_T1_T2_T3_T4_T5_mmT6_P12ihipStream_tbEUlT_E_NS1_11comp_targetILNS1_3genE10ELNS1_11target_archE1200ELNS1_3gpuE4ELNS1_3repE0EEENS1_30default_config_static_selectorELNS0_4arch9wavefront6targetE0EEEvS10_,"axG",@progbits,_ZN7rocprim17ROCPRIM_400000_NS6detail17trampoline_kernelINS0_14default_configENS1_21merge_config_selectorINS0_5tupleIJxxEEENS0_10empty_typeEEEZNS1_10merge_implIS3_NS0_12zip_iteratorINS5_IJN6thrust23THRUST_200600_302600_NS6detail15normal_iteratorINSC_10device_ptrIKxEEEESI_EEEEESK_NSA_INS5_IJNSE_INSF_IxEEEESM_EEEEEPS7_SP_SP_NSC_11hip_rocprim7__merge17predicate_wrapperIxxNSC_4lessIxEEEEEE10hipError_tPvRmT0_T1_T2_T3_T4_T5_mmT6_P12ihipStream_tbEUlT_E_NS1_11comp_targetILNS1_3genE10ELNS1_11target_archE1200ELNS1_3gpuE4ELNS1_3repE0EEENS1_30default_config_static_selectorELNS0_4arch9wavefront6targetE0EEEvS10_,comdat
	.protected	_ZN7rocprim17ROCPRIM_400000_NS6detail17trampoline_kernelINS0_14default_configENS1_21merge_config_selectorINS0_5tupleIJxxEEENS0_10empty_typeEEEZNS1_10merge_implIS3_NS0_12zip_iteratorINS5_IJN6thrust23THRUST_200600_302600_NS6detail15normal_iteratorINSC_10device_ptrIKxEEEESI_EEEEESK_NSA_INS5_IJNSE_INSF_IxEEEESM_EEEEEPS7_SP_SP_NSC_11hip_rocprim7__merge17predicate_wrapperIxxNSC_4lessIxEEEEEE10hipError_tPvRmT0_T1_T2_T3_T4_T5_mmT6_P12ihipStream_tbEUlT_E_NS1_11comp_targetILNS1_3genE10ELNS1_11target_archE1200ELNS1_3gpuE4ELNS1_3repE0EEENS1_30default_config_static_selectorELNS0_4arch9wavefront6targetE0EEEvS10_ ; -- Begin function _ZN7rocprim17ROCPRIM_400000_NS6detail17trampoline_kernelINS0_14default_configENS1_21merge_config_selectorINS0_5tupleIJxxEEENS0_10empty_typeEEEZNS1_10merge_implIS3_NS0_12zip_iteratorINS5_IJN6thrust23THRUST_200600_302600_NS6detail15normal_iteratorINSC_10device_ptrIKxEEEESI_EEEEESK_NSA_INS5_IJNSE_INSF_IxEEEESM_EEEEEPS7_SP_SP_NSC_11hip_rocprim7__merge17predicate_wrapperIxxNSC_4lessIxEEEEEE10hipError_tPvRmT0_T1_T2_T3_T4_T5_mmT6_P12ihipStream_tbEUlT_E_NS1_11comp_targetILNS1_3genE10ELNS1_11target_archE1200ELNS1_3gpuE4ELNS1_3repE0EEENS1_30default_config_static_selectorELNS0_4arch9wavefront6targetE0EEEvS10_
	.globl	_ZN7rocprim17ROCPRIM_400000_NS6detail17trampoline_kernelINS0_14default_configENS1_21merge_config_selectorINS0_5tupleIJxxEEENS0_10empty_typeEEEZNS1_10merge_implIS3_NS0_12zip_iteratorINS5_IJN6thrust23THRUST_200600_302600_NS6detail15normal_iteratorINSC_10device_ptrIKxEEEESI_EEEEESK_NSA_INS5_IJNSE_INSF_IxEEEESM_EEEEEPS7_SP_SP_NSC_11hip_rocprim7__merge17predicate_wrapperIxxNSC_4lessIxEEEEEE10hipError_tPvRmT0_T1_T2_T3_T4_T5_mmT6_P12ihipStream_tbEUlT_E_NS1_11comp_targetILNS1_3genE10ELNS1_11target_archE1200ELNS1_3gpuE4ELNS1_3repE0EEENS1_30default_config_static_selectorELNS0_4arch9wavefront6targetE0EEEvS10_
	.p2align	8
	.type	_ZN7rocprim17ROCPRIM_400000_NS6detail17trampoline_kernelINS0_14default_configENS1_21merge_config_selectorINS0_5tupleIJxxEEENS0_10empty_typeEEEZNS1_10merge_implIS3_NS0_12zip_iteratorINS5_IJN6thrust23THRUST_200600_302600_NS6detail15normal_iteratorINSC_10device_ptrIKxEEEESI_EEEEESK_NSA_INS5_IJNSE_INSF_IxEEEESM_EEEEEPS7_SP_SP_NSC_11hip_rocprim7__merge17predicate_wrapperIxxNSC_4lessIxEEEEEE10hipError_tPvRmT0_T1_T2_T3_T4_T5_mmT6_P12ihipStream_tbEUlT_E_NS1_11comp_targetILNS1_3genE10ELNS1_11target_archE1200ELNS1_3gpuE4ELNS1_3repE0EEENS1_30default_config_static_selectorELNS0_4arch9wavefront6targetE0EEEvS10_,@function
_ZN7rocprim17ROCPRIM_400000_NS6detail17trampoline_kernelINS0_14default_configENS1_21merge_config_selectorINS0_5tupleIJxxEEENS0_10empty_typeEEEZNS1_10merge_implIS3_NS0_12zip_iteratorINS5_IJN6thrust23THRUST_200600_302600_NS6detail15normal_iteratorINSC_10device_ptrIKxEEEESI_EEEEESK_NSA_INS5_IJNSE_INSF_IxEEEESM_EEEEEPS7_SP_SP_NSC_11hip_rocprim7__merge17predicate_wrapperIxxNSC_4lessIxEEEEEE10hipError_tPvRmT0_T1_T2_T3_T4_T5_mmT6_P12ihipStream_tbEUlT_E_NS1_11comp_targetILNS1_3genE10ELNS1_11target_archE1200ELNS1_3gpuE4ELNS1_3repE0EEENS1_30default_config_static_selectorELNS0_4arch9wavefront6targetE0EEEvS10_: ; @_ZN7rocprim17ROCPRIM_400000_NS6detail17trampoline_kernelINS0_14default_configENS1_21merge_config_selectorINS0_5tupleIJxxEEENS0_10empty_typeEEEZNS1_10merge_implIS3_NS0_12zip_iteratorINS5_IJN6thrust23THRUST_200600_302600_NS6detail15normal_iteratorINSC_10device_ptrIKxEEEESI_EEEEESK_NSA_INS5_IJNSE_INSF_IxEEEESM_EEEEEPS7_SP_SP_NSC_11hip_rocprim7__merge17predicate_wrapperIxxNSC_4lessIxEEEEEE10hipError_tPvRmT0_T1_T2_T3_T4_T5_mmT6_P12ihipStream_tbEUlT_E_NS1_11comp_targetILNS1_3genE10ELNS1_11target_archE1200ELNS1_3gpuE4ELNS1_3repE0EEENS1_30default_config_static_selectorELNS0_4arch9wavefront6targetE0EEEvS10_
; %bb.0:
	.section	.rodata,"a",@progbits
	.p2align	6, 0x0
	.amdhsa_kernel _ZN7rocprim17ROCPRIM_400000_NS6detail17trampoline_kernelINS0_14default_configENS1_21merge_config_selectorINS0_5tupleIJxxEEENS0_10empty_typeEEEZNS1_10merge_implIS3_NS0_12zip_iteratorINS5_IJN6thrust23THRUST_200600_302600_NS6detail15normal_iteratorINSC_10device_ptrIKxEEEESI_EEEEESK_NSA_INS5_IJNSE_INSF_IxEEEESM_EEEEEPS7_SP_SP_NSC_11hip_rocprim7__merge17predicate_wrapperIxxNSC_4lessIxEEEEEE10hipError_tPvRmT0_T1_T2_T3_T4_T5_mmT6_P12ihipStream_tbEUlT_E_NS1_11comp_targetILNS1_3genE10ELNS1_11target_archE1200ELNS1_3gpuE4ELNS1_3repE0EEENS1_30default_config_static_selectorELNS0_4arch9wavefront6targetE0EEEvS10_
		.amdhsa_group_segment_fixed_size 0
		.amdhsa_private_segment_fixed_size 0
		.amdhsa_kernarg_size 64
		.amdhsa_user_sgpr_count 6
		.amdhsa_user_sgpr_private_segment_buffer 1
		.amdhsa_user_sgpr_dispatch_ptr 0
		.amdhsa_user_sgpr_queue_ptr 0
		.amdhsa_user_sgpr_kernarg_segment_ptr 1
		.amdhsa_user_sgpr_dispatch_id 0
		.amdhsa_user_sgpr_flat_scratch_init 0
		.amdhsa_user_sgpr_private_segment_size 0
		.amdhsa_wavefront_size32 1
		.amdhsa_uses_dynamic_stack 0
		.amdhsa_system_sgpr_private_segment_wavefront_offset 0
		.amdhsa_system_sgpr_workgroup_id_x 1
		.amdhsa_system_sgpr_workgroup_id_y 0
		.amdhsa_system_sgpr_workgroup_id_z 0
		.amdhsa_system_sgpr_workgroup_info 0
		.amdhsa_system_vgpr_workitem_id 0
		.amdhsa_next_free_vgpr 1
		.amdhsa_next_free_sgpr 1
		.amdhsa_reserve_vcc 0
		.amdhsa_reserve_flat_scratch 0
		.amdhsa_float_round_mode_32 0
		.amdhsa_float_round_mode_16_64 0
		.amdhsa_float_denorm_mode_32 3
		.amdhsa_float_denorm_mode_16_64 3
		.amdhsa_dx10_clamp 1
		.amdhsa_ieee_mode 1
		.amdhsa_fp16_overflow 0
		.amdhsa_workgroup_processor_mode 1
		.amdhsa_memory_ordered 1
		.amdhsa_forward_progress 1
		.amdhsa_shared_vgpr_count 0
		.amdhsa_exception_fp_ieee_invalid_op 0
		.amdhsa_exception_fp_denorm_src 0
		.amdhsa_exception_fp_ieee_div_zero 0
		.amdhsa_exception_fp_ieee_overflow 0
		.amdhsa_exception_fp_ieee_underflow 0
		.amdhsa_exception_fp_ieee_inexact 0
		.amdhsa_exception_int_div_zero 0
	.end_amdhsa_kernel
	.section	.text._ZN7rocprim17ROCPRIM_400000_NS6detail17trampoline_kernelINS0_14default_configENS1_21merge_config_selectorINS0_5tupleIJxxEEENS0_10empty_typeEEEZNS1_10merge_implIS3_NS0_12zip_iteratorINS5_IJN6thrust23THRUST_200600_302600_NS6detail15normal_iteratorINSC_10device_ptrIKxEEEESI_EEEEESK_NSA_INS5_IJNSE_INSF_IxEEEESM_EEEEEPS7_SP_SP_NSC_11hip_rocprim7__merge17predicate_wrapperIxxNSC_4lessIxEEEEEE10hipError_tPvRmT0_T1_T2_T3_T4_T5_mmT6_P12ihipStream_tbEUlT_E_NS1_11comp_targetILNS1_3genE10ELNS1_11target_archE1200ELNS1_3gpuE4ELNS1_3repE0EEENS1_30default_config_static_selectorELNS0_4arch9wavefront6targetE0EEEvS10_,"axG",@progbits,_ZN7rocprim17ROCPRIM_400000_NS6detail17trampoline_kernelINS0_14default_configENS1_21merge_config_selectorINS0_5tupleIJxxEEENS0_10empty_typeEEEZNS1_10merge_implIS3_NS0_12zip_iteratorINS5_IJN6thrust23THRUST_200600_302600_NS6detail15normal_iteratorINSC_10device_ptrIKxEEEESI_EEEEESK_NSA_INS5_IJNSE_INSF_IxEEEESM_EEEEEPS7_SP_SP_NSC_11hip_rocprim7__merge17predicate_wrapperIxxNSC_4lessIxEEEEEE10hipError_tPvRmT0_T1_T2_T3_T4_T5_mmT6_P12ihipStream_tbEUlT_E_NS1_11comp_targetILNS1_3genE10ELNS1_11target_archE1200ELNS1_3gpuE4ELNS1_3repE0EEENS1_30default_config_static_selectorELNS0_4arch9wavefront6targetE0EEEvS10_,comdat
.Lfunc_end213:
	.size	_ZN7rocprim17ROCPRIM_400000_NS6detail17trampoline_kernelINS0_14default_configENS1_21merge_config_selectorINS0_5tupleIJxxEEENS0_10empty_typeEEEZNS1_10merge_implIS3_NS0_12zip_iteratorINS5_IJN6thrust23THRUST_200600_302600_NS6detail15normal_iteratorINSC_10device_ptrIKxEEEESI_EEEEESK_NSA_INS5_IJNSE_INSF_IxEEEESM_EEEEEPS7_SP_SP_NSC_11hip_rocprim7__merge17predicate_wrapperIxxNSC_4lessIxEEEEEE10hipError_tPvRmT0_T1_T2_T3_T4_T5_mmT6_P12ihipStream_tbEUlT_E_NS1_11comp_targetILNS1_3genE10ELNS1_11target_archE1200ELNS1_3gpuE4ELNS1_3repE0EEENS1_30default_config_static_selectorELNS0_4arch9wavefront6targetE0EEEvS10_, .Lfunc_end213-_ZN7rocprim17ROCPRIM_400000_NS6detail17trampoline_kernelINS0_14default_configENS1_21merge_config_selectorINS0_5tupleIJxxEEENS0_10empty_typeEEEZNS1_10merge_implIS3_NS0_12zip_iteratorINS5_IJN6thrust23THRUST_200600_302600_NS6detail15normal_iteratorINSC_10device_ptrIKxEEEESI_EEEEESK_NSA_INS5_IJNSE_INSF_IxEEEESM_EEEEEPS7_SP_SP_NSC_11hip_rocprim7__merge17predicate_wrapperIxxNSC_4lessIxEEEEEE10hipError_tPvRmT0_T1_T2_T3_T4_T5_mmT6_P12ihipStream_tbEUlT_E_NS1_11comp_targetILNS1_3genE10ELNS1_11target_archE1200ELNS1_3gpuE4ELNS1_3repE0EEENS1_30default_config_static_selectorELNS0_4arch9wavefront6targetE0EEEvS10_
                                        ; -- End function
	.set _ZN7rocprim17ROCPRIM_400000_NS6detail17trampoline_kernelINS0_14default_configENS1_21merge_config_selectorINS0_5tupleIJxxEEENS0_10empty_typeEEEZNS1_10merge_implIS3_NS0_12zip_iteratorINS5_IJN6thrust23THRUST_200600_302600_NS6detail15normal_iteratorINSC_10device_ptrIKxEEEESI_EEEEESK_NSA_INS5_IJNSE_INSF_IxEEEESM_EEEEEPS7_SP_SP_NSC_11hip_rocprim7__merge17predicate_wrapperIxxNSC_4lessIxEEEEEE10hipError_tPvRmT0_T1_T2_T3_T4_T5_mmT6_P12ihipStream_tbEUlT_E_NS1_11comp_targetILNS1_3genE10ELNS1_11target_archE1200ELNS1_3gpuE4ELNS1_3repE0EEENS1_30default_config_static_selectorELNS0_4arch9wavefront6targetE0EEEvS10_.num_vgpr, 0
	.set _ZN7rocprim17ROCPRIM_400000_NS6detail17trampoline_kernelINS0_14default_configENS1_21merge_config_selectorINS0_5tupleIJxxEEENS0_10empty_typeEEEZNS1_10merge_implIS3_NS0_12zip_iteratorINS5_IJN6thrust23THRUST_200600_302600_NS6detail15normal_iteratorINSC_10device_ptrIKxEEEESI_EEEEESK_NSA_INS5_IJNSE_INSF_IxEEEESM_EEEEEPS7_SP_SP_NSC_11hip_rocprim7__merge17predicate_wrapperIxxNSC_4lessIxEEEEEE10hipError_tPvRmT0_T1_T2_T3_T4_T5_mmT6_P12ihipStream_tbEUlT_E_NS1_11comp_targetILNS1_3genE10ELNS1_11target_archE1200ELNS1_3gpuE4ELNS1_3repE0EEENS1_30default_config_static_selectorELNS0_4arch9wavefront6targetE0EEEvS10_.num_agpr, 0
	.set _ZN7rocprim17ROCPRIM_400000_NS6detail17trampoline_kernelINS0_14default_configENS1_21merge_config_selectorINS0_5tupleIJxxEEENS0_10empty_typeEEEZNS1_10merge_implIS3_NS0_12zip_iteratorINS5_IJN6thrust23THRUST_200600_302600_NS6detail15normal_iteratorINSC_10device_ptrIKxEEEESI_EEEEESK_NSA_INS5_IJNSE_INSF_IxEEEESM_EEEEEPS7_SP_SP_NSC_11hip_rocprim7__merge17predicate_wrapperIxxNSC_4lessIxEEEEEE10hipError_tPvRmT0_T1_T2_T3_T4_T5_mmT6_P12ihipStream_tbEUlT_E_NS1_11comp_targetILNS1_3genE10ELNS1_11target_archE1200ELNS1_3gpuE4ELNS1_3repE0EEENS1_30default_config_static_selectorELNS0_4arch9wavefront6targetE0EEEvS10_.numbered_sgpr, 0
	.set _ZN7rocprim17ROCPRIM_400000_NS6detail17trampoline_kernelINS0_14default_configENS1_21merge_config_selectorINS0_5tupleIJxxEEENS0_10empty_typeEEEZNS1_10merge_implIS3_NS0_12zip_iteratorINS5_IJN6thrust23THRUST_200600_302600_NS6detail15normal_iteratorINSC_10device_ptrIKxEEEESI_EEEEESK_NSA_INS5_IJNSE_INSF_IxEEEESM_EEEEEPS7_SP_SP_NSC_11hip_rocprim7__merge17predicate_wrapperIxxNSC_4lessIxEEEEEE10hipError_tPvRmT0_T1_T2_T3_T4_T5_mmT6_P12ihipStream_tbEUlT_E_NS1_11comp_targetILNS1_3genE10ELNS1_11target_archE1200ELNS1_3gpuE4ELNS1_3repE0EEENS1_30default_config_static_selectorELNS0_4arch9wavefront6targetE0EEEvS10_.num_named_barrier, 0
	.set _ZN7rocprim17ROCPRIM_400000_NS6detail17trampoline_kernelINS0_14default_configENS1_21merge_config_selectorINS0_5tupleIJxxEEENS0_10empty_typeEEEZNS1_10merge_implIS3_NS0_12zip_iteratorINS5_IJN6thrust23THRUST_200600_302600_NS6detail15normal_iteratorINSC_10device_ptrIKxEEEESI_EEEEESK_NSA_INS5_IJNSE_INSF_IxEEEESM_EEEEEPS7_SP_SP_NSC_11hip_rocprim7__merge17predicate_wrapperIxxNSC_4lessIxEEEEEE10hipError_tPvRmT0_T1_T2_T3_T4_T5_mmT6_P12ihipStream_tbEUlT_E_NS1_11comp_targetILNS1_3genE10ELNS1_11target_archE1200ELNS1_3gpuE4ELNS1_3repE0EEENS1_30default_config_static_selectorELNS0_4arch9wavefront6targetE0EEEvS10_.private_seg_size, 0
	.set _ZN7rocprim17ROCPRIM_400000_NS6detail17trampoline_kernelINS0_14default_configENS1_21merge_config_selectorINS0_5tupleIJxxEEENS0_10empty_typeEEEZNS1_10merge_implIS3_NS0_12zip_iteratorINS5_IJN6thrust23THRUST_200600_302600_NS6detail15normal_iteratorINSC_10device_ptrIKxEEEESI_EEEEESK_NSA_INS5_IJNSE_INSF_IxEEEESM_EEEEEPS7_SP_SP_NSC_11hip_rocprim7__merge17predicate_wrapperIxxNSC_4lessIxEEEEEE10hipError_tPvRmT0_T1_T2_T3_T4_T5_mmT6_P12ihipStream_tbEUlT_E_NS1_11comp_targetILNS1_3genE10ELNS1_11target_archE1200ELNS1_3gpuE4ELNS1_3repE0EEENS1_30default_config_static_selectorELNS0_4arch9wavefront6targetE0EEEvS10_.uses_vcc, 0
	.set _ZN7rocprim17ROCPRIM_400000_NS6detail17trampoline_kernelINS0_14default_configENS1_21merge_config_selectorINS0_5tupleIJxxEEENS0_10empty_typeEEEZNS1_10merge_implIS3_NS0_12zip_iteratorINS5_IJN6thrust23THRUST_200600_302600_NS6detail15normal_iteratorINSC_10device_ptrIKxEEEESI_EEEEESK_NSA_INS5_IJNSE_INSF_IxEEEESM_EEEEEPS7_SP_SP_NSC_11hip_rocprim7__merge17predicate_wrapperIxxNSC_4lessIxEEEEEE10hipError_tPvRmT0_T1_T2_T3_T4_T5_mmT6_P12ihipStream_tbEUlT_E_NS1_11comp_targetILNS1_3genE10ELNS1_11target_archE1200ELNS1_3gpuE4ELNS1_3repE0EEENS1_30default_config_static_selectorELNS0_4arch9wavefront6targetE0EEEvS10_.uses_flat_scratch, 0
	.set _ZN7rocprim17ROCPRIM_400000_NS6detail17trampoline_kernelINS0_14default_configENS1_21merge_config_selectorINS0_5tupleIJxxEEENS0_10empty_typeEEEZNS1_10merge_implIS3_NS0_12zip_iteratorINS5_IJN6thrust23THRUST_200600_302600_NS6detail15normal_iteratorINSC_10device_ptrIKxEEEESI_EEEEESK_NSA_INS5_IJNSE_INSF_IxEEEESM_EEEEEPS7_SP_SP_NSC_11hip_rocprim7__merge17predicate_wrapperIxxNSC_4lessIxEEEEEE10hipError_tPvRmT0_T1_T2_T3_T4_T5_mmT6_P12ihipStream_tbEUlT_E_NS1_11comp_targetILNS1_3genE10ELNS1_11target_archE1200ELNS1_3gpuE4ELNS1_3repE0EEENS1_30default_config_static_selectorELNS0_4arch9wavefront6targetE0EEEvS10_.has_dyn_sized_stack, 0
	.set _ZN7rocprim17ROCPRIM_400000_NS6detail17trampoline_kernelINS0_14default_configENS1_21merge_config_selectorINS0_5tupleIJxxEEENS0_10empty_typeEEEZNS1_10merge_implIS3_NS0_12zip_iteratorINS5_IJN6thrust23THRUST_200600_302600_NS6detail15normal_iteratorINSC_10device_ptrIKxEEEESI_EEEEESK_NSA_INS5_IJNSE_INSF_IxEEEESM_EEEEEPS7_SP_SP_NSC_11hip_rocprim7__merge17predicate_wrapperIxxNSC_4lessIxEEEEEE10hipError_tPvRmT0_T1_T2_T3_T4_T5_mmT6_P12ihipStream_tbEUlT_E_NS1_11comp_targetILNS1_3genE10ELNS1_11target_archE1200ELNS1_3gpuE4ELNS1_3repE0EEENS1_30default_config_static_selectorELNS0_4arch9wavefront6targetE0EEEvS10_.has_recursion, 0
	.set _ZN7rocprim17ROCPRIM_400000_NS6detail17trampoline_kernelINS0_14default_configENS1_21merge_config_selectorINS0_5tupleIJxxEEENS0_10empty_typeEEEZNS1_10merge_implIS3_NS0_12zip_iteratorINS5_IJN6thrust23THRUST_200600_302600_NS6detail15normal_iteratorINSC_10device_ptrIKxEEEESI_EEEEESK_NSA_INS5_IJNSE_INSF_IxEEEESM_EEEEEPS7_SP_SP_NSC_11hip_rocprim7__merge17predicate_wrapperIxxNSC_4lessIxEEEEEE10hipError_tPvRmT0_T1_T2_T3_T4_T5_mmT6_P12ihipStream_tbEUlT_E_NS1_11comp_targetILNS1_3genE10ELNS1_11target_archE1200ELNS1_3gpuE4ELNS1_3repE0EEENS1_30default_config_static_selectorELNS0_4arch9wavefront6targetE0EEEvS10_.has_indirect_call, 0
	.section	.AMDGPU.csdata,"",@progbits
; Kernel info:
; codeLenInByte = 0
; TotalNumSgprs: 0
; NumVgprs: 0
; ScratchSize: 0
; MemoryBound: 0
; FloatMode: 240
; IeeeMode: 1
; LDSByteSize: 0 bytes/workgroup (compile time only)
; SGPRBlocks: 0
; VGPRBlocks: 0
; NumSGPRsForWavesPerEU: 1
; NumVGPRsForWavesPerEU: 1
; Occupancy: 16
; WaveLimiterHint : 0
; COMPUTE_PGM_RSRC2:SCRATCH_EN: 0
; COMPUTE_PGM_RSRC2:USER_SGPR: 6
; COMPUTE_PGM_RSRC2:TRAP_HANDLER: 0
; COMPUTE_PGM_RSRC2:TGID_X_EN: 1
; COMPUTE_PGM_RSRC2:TGID_Y_EN: 0
; COMPUTE_PGM_RSRC2:TGID_Z_EN: 0
; COMPUTE_PGM_RSRC2:TIDIG_COMP_CNT: 0
	.section	.text._ZN7rocprim17ROCPRIM_400000_NS6detail17trampoline_kernelINS0_14default_configENS1_21merge_config_selectorINS0_5tupleIJxxEEENS0_10empty_typeEEEZNS1_10merge_implIS3_NS0_12zip_iteratorINS5_IJN6thrust23THRUST_200600_302600_NS6detail15normal_iteratorINSC_10device_ptrIKxEEEESI_EEEEESK_NSA_INS5_IJNSE_INSF_IxEEEESM_EEEEEPS7_SP_SP_NSC_11hip_rocprim7__merge17predicate_wrapperIxxNSC_4lessIxEEEEEE10hipError_tPvRmT0_T1_T2_T3_T4_T5_mmT6_P12ihipStream_tbEUlT_E_NS1_11comp_targetILNS1_3genE9ELNS1_11target_archE1100ELNS1_3gpuE3ELNS1_3repE0EEENS1_30default_config_static_selectorELNS0_4arch9wavefront6targetE0EEEvS10_,"axG",@progbits,_ZN7rocprim17ROCPRIM_400000_NS6detail17trampoline_kernelINS0_14default_configENS1_21merge_config_selectorINS0_5tupleIJxxEEENS0_10empty_typeEEEZNS1_10merge_implIS3_NS0_12zip_iteratorINS5_IJN6thrust23THRUST_200600_302600_NS6detail15normal_iteratorINSC_10device_ptrIKxEEEESI_EEEEESK_NSA_INS5_IJNSE_INSF_IxEEEESM_EEEEEPS7_SP_SP_NSC_11hip_rocprim7__merge17predicate_wrapperIxxNSC_4lessIxEEEEEE10hipError_tPvRmT0_T1_T2_T3_T4_T5_mmT6_P12ihipStream_tbEUlT_E_NS1_11comp_targetILNS1_3genE9ELNS1_11target_archE1100ELNS1_3gpuE3ELNS1_3repE0EEENS1_30default_config_static_selectorELNS0_4arch9wavefront6targetE0EEEvS10_,comdat
	.protected	_ZN7rocprim17ROCPRIM_400000_NS6detail17trampoline_kernelINS0_14default_configENS1_21merge_config_selectorINS0_5tupleIJxxEEENS0_10empty_typeEEEZNS1_10merge_implIS3_NS0_12zip_iteratorINS5_IJN6thrust23THRUST_200600_302600_NS6detail15normal_iteratorINSC_10device_ptrIKxEEEESI_EEEEESK_NSA_INS5_IJNSE_INSF_IxEEEESM_EEEEEPS7_SP_SP_NSC_11hip_rocprim7__merge17predicate_wrapperIxxNSC_4lessIxEEEEEE10hipError_tPvRmT0_T1_T2_T3_T4_T5_mmT6_P12ihipStream_tbEUlT_E_NS1_11comp_targetILNS1_3genE9ELNS1_11target_archE1100ELNS1_3gpuE3ELNS1_3repE0EEENS1_30default_config_static_selectorELNS0_4arch9wavefront6targetE0EEEvS10_ ; -- Begin function _ZN7rocprim17ROCPRIM_400000_NS6detail17trampoline_kernelINS0_14default_configENS1_21merge_config_selectorINS0_5tupleIJxxEEENS0_10empty_typeEEEZNS1_10merge_implIS3_NS0_12zip_iteratorINS5_IJN6thrust23THRUST_200600_302600_NS6detail15normal_iteratorINSC_10device_ptrIKxEEEESI_EEEEESK_NSA_INS5_IJNSE_INSF_IxEEEESM_EEEEEPS7_SP_SP_NSC_11hip_rocprim7__merge17predicate_wrapperIxxNSC_4lessIxEEEEEE10hipError_tPvRmT0_T1_T2_T3_T4_T5_mmT6_P12ihipStream_tbEUlT_E_NS1_11comp_targetILNS1_3genE9ELNS1_11target_archE1100ELNS1_3gpuE3ELNS1_3repE0EEENS1_30default_config_static_selectorELNS0_4arch9wavefront6targetE0EEEvS10_
	.globl	_ZN7rocprim17ROCPRIM_400000_NS6detail17trampoline_kernelINS0_14default_configENS1_21merge_config_selectorINS0_5tupleIJxxEEENS0_10empty_typeEEEZNS1_10merge_implIS3_NS0_12zip_iteratorINS5_IJN6thrust23THRUST_200600_302600_NS6detail15normal_iteratorINSC_10device_ptrIKxEEEESI_EEEEESK_NSA_INS5_IJNSE_INSF_IxEEEESM_EEEEEPS7_SP_SP_NSC_11hip_rocprim7__merge17predicate_wrapperIxxNSC_4lessIxEEEEEE10hipError_tPvRmT0_T1_T2_T3_T4_T5_mmT6_P12ihipStream_tbEUlT_E_NS1_11comp_targetILNS1_3genE9ELNS1_11target_archE1100ELNS1_3gpuE3ELNS1_3repE0EEENS1_30default_config_static_selectorELNS0_4arch9wavefront6targetE0EEEvS10_
	.p2align	8
	.type	_ZN7rocprim17ROCPRIM_400000_NS6detail17trampoline_kernelINS0_14default_configENS1_21merge_config_selectorINS0_5tupleIJxxEEENS0_10empty_typeEEEZNS1_10merge_implIS3_NS0_12zip_iteratorINS5_IJN6thrust23THRUST_200600_302600_NS6detail15normal_iteratorINSC_10device_ptrIKxEEEESI_EEEEESK_NSA_INS5_IJNSE_INSF_IxEEEESM_EEEEEPS7_SP_SP_NSC_11hip_rocprim7__merge17predicate_wrapperIxxNSC_4lessIxEEEEEE10hipError_tPvRmT0_T1_T2_T3_T4_T5_mmT6_P12ihipStream_tbEUlT_E_NS1_11comp_targetILNS1_3genE9ELNS1_11target_archE1100ELNS1_3gpuE3ELNS1_3repE0EEENS1_30default_config_static_selectorELNS0_4arch9wavefront6targetE0EEEvS10_,@function
_ZN7rocprim17ROCPRIM_400000_NS6detail17trampoline_kernelINS0_14default_configENS1_21merge_config_selectorINS0_5tupleIJxxEEENS0_10empty_typeEEEZNS1_10merge_implIS3_NS0_12zip_iteratorINS5_IJN6thrust23THRUST_200600_302600_NS6detail15normal_iteratorINSC_10device_ptrIKxEEEESI_EEEEESK_NSA_INS5_IJNSE_INSF_IxEEEESM_EEEEEPS7_SP_SP_NSC_11hip_rocprim7__merge17predicate_wrapperIxxNSC_4lessIxEEEEEE10hipError_tPvRmT0_T1_T2_T3_T4_T5_mmT6_P12ihipStream_tbEUlT_E_NS1_11comp_targetILNS1_3genE9ELNS1_11target_archE1100ELNS1_3gpuE3ELNS1_3repE0EEENS1_30default_config_static_selectorELNS0_4arch9wavefront6targetE0EEEvS10_: ; @_ZN7rocprim17ROCPRIM_400000_NS6detail17trampoline_kernelINS0_14default_configENS1_21merge_config_selectorINS0_5tupleIJxxEEENS0_10empty_typeEEEZNS1_10merge_implIS3_NS0_12zip_iteratorINS5_IJN6thrust23THRUST_200600_302600_NS6detail15normal_iteratorINSC_10device_ptrIKxEEEESI_EEEEESK_NSA_INS5_IJNSE_INSF_IxEEEESM_EEEEEPS7_SP_SP_NSC_11hip_rocprim7__merge17predicate_wrapperIxxNSC_4lessIxEEEEEE10hipError_tPvRmT0_T1_T2_T3_T4_T5_mmT6_P12ihipStream_tbEUlT_E_NS1_11comp_targetILNS1_3genE9ELNS1_11target_archE1100ELNS1_3gpuE3ELNS1_3repE0EEENS1_30default_config_static_selectorELNS0_4arch9wavefront6targetE0EEEvS10_
; %bb.0:
	.section	.rodata,"a",@progbits
	.p2align	6, 0x0
	.amdhsa_kernel _ZN7rocprim17ROCPRIM_400000_NS6detail17trampoline_kernelINS0_14default_configENS1_21merge_config_selectorINS0_5tupleIJxxEEENS0_10empty_typeEEEZNS1_10merge_implIS3_NS0_12zip_iteratorINS5_IJN6thrust23THRUST_200600_302600_NS6detail15normal_iteratorINSC_10device_ptrIKxEEEESI_EEEEESK_NSA_INS5_IJNSE_INSF_IxEEEESM_EEEEEPS7_SP_SP_NSC_11hip_rocprim7__merge17predicate_wrapperIxxNSC_4lessIxEEEEEE10hipError_tPvRmT0_T1_T2_T3_T4_T5_mmT6_P12ihipStream_tbEUlT_E_NS1_11comp_targetILNS1_3genE9ELNS1_11target_archE1100ELNS1_3gpuE3ELNS1_3repE0EEENS1_30default_config_static_selectorELNS0_4arch9wavefront6targetE0EEEvS10_
		.amdhsa_group_segment_fixed_size 0
		.amdhsa_private_segment_fixed_size 0
		.amdhsa_kernarg_size 64
		.amdhsa_user_sgpr_count 6
		.amdhsa_user_sgpr_private_segment_buffer 1
		.amdhsa_user_sgpr_dispatch_ptr 0
		.amdhsa_user_sgpr_queue_ptr 0
		.amdhsa_user_sgpr_kernarg_segment_ptr 1
		.amdhsa_user_sgpr_dispatch_id 0
		.amdhsa_user_sgpr_flat_scratch_init 0
		.amdhsa_user_sgpr_private_segment_size 0
		.amdhsa_wavefront_size32 1
		.amdhsa_uses_dynamic_stack 0
		.amdhsa_system_sgpr_private_segment_wavefront_offset 0
		.amdhsa_system_sgpr_workgroup_id_x 1
		.amdhsa_system_sgpr_workgroup_id_y 0
		.amdhsa_system_sgpr_workgroup_id_z 0
		.amdhsa_system_sgpr_workgroup_info 0
		.amdhsa_system_vgpr_workitem_id 0
		.amdhsa_next_free_vgpr 1
		.amdhsa_next_free_sgpr 1
		.amdhsa_reserve_vcc 0
		.amdhsa_reserve_flat_scratch 0
		.amdhsa_float_round_mode_32 0
		.amdhsa_float_round_mode_16_64 0
		.amdhsa_float_denorm_mode_32 3
		.amdhsa_float_denorm_mode_16_64 3
		.amdhsa_dx10_clamp 1
		.amdhsa_ieee_mode 1
		.amdhsa_fp16_overflow 0
		.amdhsa_workgroup_processor_mode 1
		.amdhsa_memory_ordered 1
		.amdhsa_forward_progress 1
		.amdhsa_shared_vgpr_count 0
		.amdhsa_exception_fp_ieee_invalid_op 0
		.amdhsa_exception_fp_denorm_src 0
		.amdhsa_exception_fp_ieee_div_zero 0
		.amdhsa_exception_fp_ieee_overflow 0
		.amdhsa_exception_fp_ieee_underflow 0
		.amdhsa_exception_fp_ieee_inexact 0
		.amdhsa_exception_int_div_zero 0
	.end_amdhsa_kernel
	.section	.text._ZN7rocprim17ROCPRIM_400000_NS6detail17trampoline_kernelINS0_14default_configENS1_21merge_config_selectorINS0_5tupleIJxxEEENS0_10empty_typeEEEZNS1_10merge_implIS3_NS0_12zip_iteratorINS5_IJN6thrust23THRUST_200600_302600_NS6detail15normal_iteratorINSC_10device_ptrIKxEEEESI_EEEEESK_NSA_INS5_IJNSE_INSF_IxEEEESM_EEEEEPS7_SP_SP_NSC_11hip_rocprim7__merge17predicate_wrapperIxxNSC_4lessIxEEEEEE10hipError_tPvRmT0_T1_T2_T3_T4_T5_mmT6_P12ihipStream_tbEUlT_E_NS1_11comp_targetILNS1_3genE9ELNS1_11target_archE1100ELNS1_3gpuE3ELNS1_3repE0EEENS1_30default_config_static_selectorELNS0_4arch9wavefront6targetE0EEEvS10_,"axG",@progbits,_ZN7rocprim17ROCPRIM_400000_NS6detail17trampoline_kernelINS0_14default_configENS1_21merge_config_selectorINS0_5tupleIJxxEEENS0_10empty_typeEEEZNS1_10merge_implIS3_NS0_12zip_iteratorINS5_IJN6thrust23THRUST_200600_302600_NS6detail15normal_iteratorINSC_10device_ptrIKxEEEESI_EEEEESK_NSA_INS5_IJNSE_INSF_IxEEEESM_EEEEEPS7_SP_SP_NSC_11hip_rocprim7__merge17predicate_wrapperIxxNSC_4lessIxEEEEEE10hipError_tPvRmT0_T1_T2_T3_T4_T5_mmT6_P12ihipStream_tbEUlT_E_NS1_11comp_targetILNS1_3genE9ELNS1_11target_archE1100ELNS1_3gpuE3ELNS1_3repE0EEENS1_30default_config_static_selectorELNS0_4arch9wavefront6targetE0EEEvS10_,comdat
.Lfunc_end214:
	.size	_ZN7rocprim17ROCPRIM_400000_NS6detail17trampoline_kernelINS0_14default_configENS1_21merge_config_selectorINS0_5tupleIJxxEEENS0_10empty_typeEEEZNS1_10merge_implIS3_NS0_12zip_iteratorINS5_IJN6thrust23THRUST_200600_302600_NS6detail15normal_iteratorINSC_10device_ptrIKxEEEESI_EEEEESK_NSA_INS5_IJNSE_INSF_IxEEEESM_EEEEEPS7_SP_SP_NSC_11hip_rocprim7__merge17predicate_wrapperIxxNSC_4lessIxEEEEEE10hipError_tPvRmT0_T1_T2_T3_T4_T5_mmT6_P12ihipStream_tbEUlT_E_NS1_11comp_targetILNS1_3genE9ELNS1_11target_archE1100ELNS1_3gpuE3ELNS1_3repE0EEENS1_30default_config_static_selectorELNS0_4arch9wavefront6targetE0EEEvS10_, .Lfunc_end214-_ZN7rocprim17ROCPRIM_400000_NS6detail17trampoline_kernelINS0_14default_configENS1_21merge_config_selectorINS0_5tupleIJxxEEENS0_10empty_typeEEEZNS1_10merge_implIS3_NS0_12zip_iteratorINS5_IJN6thrust23THRUST_200600_302600_NS6detail15normal_iteratorINSC_10device_ptrIKxEEEESI_EEEEESK_NSA_INS5_IJNSE_INSF_IxEEEESM_EEEEEPS7_SP_SP_NSC_11hip_rocprim7__merge17predicate_wrapperIxxNSC_4lessIxEEEEEE10hipError_tPvRmT0_T1_T2_T3_T4_T5_mmT6_P12ihipStream_tbEUlT_E_NS1_11comp_targetILNS1_3genE9ELNS1_11target_archE1100ELNS1_3gpuE3ELNS1_3repE0EEENS1_30default_config_static_selectorELNS0_4arch9wavefront6targetE0EEEvS10_
                                        ; -- End function
	.set _ZN7rocprim17ROCPRIM_400000_NS6detail17trampoline_kernelINS0_14default_configENS1_21merge_config_selectorINS0_5tupleIJxxEEENS0_10empty_typeEEEZNS1_10merge_implIS3_NS0_12zip_iteratorINS5_IJN6thrust23THRUST_200600_302600_NS6detail15normal_iteratorINSC_10device_ptrIKxEEEESI_EEEEESK_NSA_INS5_IJNSE_INSF_IxEEEESM_EEEEEPS7_SP_SP_NSC_11hip_rocprim7__merge17predicate_wrapperIxxNSC_4lessIxEEEEEE10hipError_tPvRmT0_T1_T2_T3_T4_T5_mmT6_P12ihipStream_tbEUlT_E_NS1_11comp_targetILNS1_3genE9ELNS1_11target_archE1100ELNS1_3gpuE3ELNS1_3repE0EEENS1_30default_config_static_selectorELNS0_4arch9wavefront6targetE0EEEvS10_.num_vgpr, 0
	.set _ZN7rocprim17ROCPRIM_400000_NS6detail17trampoline_kernelINS0_14default_configENS1_21merge_config_selectorINS0_5tupleIJxxEEENS0_10empty_typeEEEZNS1_10merge_implIS3_NS0_12zip_iteratorINS5_IJN6thrust23THRUST_200600_302600_NS6detail15normal_iteratorINSC_10device_ptrIKxEEEESI_EEEEESK_NSA_INS5_IJNSE_INSF_IxEEEESM_EEEEEPS7_SP_SP_NSC_11hip_rocprim7__merge17predicate_wrapperIxxNSC_4lessIxEEEEEE10hipError_tPvRmT0_T1_T2_T3_T4_T5_mmT6_P12ihipStream_tbEUlT_E_NS1_11comp_targetILNS1_3genE9ELNS1_11target_archE1100ELNS1_3gpuE3ELNS1_3repE0EEENS1_30default_config_static_selectorELNS0_4arch9wavefront6targetE0EEEvS10_.num_agpr, 0
	.set _ZN7rocprim17ROCPRIM_400000_NS6detail17trampoline_kernelINS0_14default_configENS1_21merge_config_selectorINS0_5tupleIJxxEEENS0_10empty_typeEEEZNS1_10merge_implIS3_NS0_12zip_iteratorINS5_IJN6thrust23THRUST_200600_302600_NS6detail15normal_iteratorINSC_10device_ptrIKxEEEESI_EEEEESK_NSA_INS5_IJNSE_INSF_IxEEEESM_EEEEEPS7_SP_SP_NSC_11hip_rocprim7__merge17predicate_wrapperIxxNSC_4lessIxEEEEEE10hipError_tPvRmT0_T1_T2_T3_T4_T5_mmT6_P12ihipStream_tbEUlT_E_NS1_11comp_targetILNS1_3genE9ELNS1_11target_archE1100ELNS1_3gpuE3ELNS1_3repE0EEENS1_30default_config_static_selectorELNS0_4arch9wavefront6targetE0EEEvS10_.numbered_sgpr, 0
	.set _ZN7rocprim17ROCPRIM_400000_NS6detail17trampoline_kernelINS0_14default_configENS1_21merge_config_selectorINS0_5tupleIJxxEEENS0_10empty_typeEEEZNS1_10merge_implIS3_NS0_12zip_iteratorINS5_IJN6thrust23THRUST_200600_302600_NS6detail15normal_iteratorINSC_10device_ptrIKxEEEESI_EEEEESK_NSA_INS5_IJNSE_INSF_IxEEEESM_EEEEEPS7_SP_SP_NSC_11hip_rocprim7__merge17predicate_wrapperIxxNSC_4lessIxEEEEEE10hipError_tPvRmT0_T1_T2_T3_T4_T5_mmT6_P12ihipStream_tbEUlT_E_NS1_11comp_targetILNS1_3genE9ELNS1_11target_archE1100ELNS1_3gpuE3ELNS1_3repE0EEENS1_30default_config_static_selectorELNS0_4arch9wavefront6targetE0EEEvS10_.num_named_barrier, 0
	.set _ZN7rocprim17ROCPRIM_400000_NS6detail17trampoline_kernelINS0_14default_configENS1_21merge_config_selectorINS0_5tupleIJxxEEENS0_10empty_typeEEEZNS1_10merge_implIS3_NS0_12zip_iteratorINS5_IJN6thrust23THRUST_200600_302600_NS6detail15normal_iteratorINSC_10device_ptrIKxEEEESI_EEEEESK_NSA_INS5_IJNSE_INSF_IxEEEESM_EEEEEPS7_SP_SP_NSC_11hip_rocprim7__merge17predicate_wrapperIxxNSC_4lessIxEEEEEE10hipError_tPvRmT0_T1_T2_T3_T4_T5_mmT6_P12ihipStream_tbEUlT_E_NS1_11comp_targetILNS1_3genE9ELNS1_11target_archE1100ELNS1_3gpuE3ELNS1_3repE0EEENS1_30default_config_static_selectorELNS0_4arch9wavefront6targetE0EEEvS10_.private_seg_size, 0
	.set _ZN7rocprim17ROCPRIM_400000_NS6detail17trampoline_kernelINS0_14default_configENS1_21merge_config_selectorINS0_5tupleIJxxEEENS0_10empty_typeEEEZNS1_10merge_implIS3_NS0_12zip_iteratorINS5_IJN6thrust23THRUST_200600_302600_NS6detail15normal_iteratorINSC_10device_ptrIKxEEEESI_EEEEESK_NSA_INS5_IJNSE_INSF_IxEEEESM_EEEEEPS7_SP_SP_NSC_11hip_rocprim7__merge17predicate_wrapperIxxNSC_4lessIxEEEEEE10hipError_tPvRmT0_T1_T2_T3_T4_T5_mmT6_P12ihipStream_tbEUlT_E_NS1_11comp_targetILNS1_3genE9ELNS1_11target_archE1100ELNS1_3gpuE3ELNS1_3repE0EEENS1_30default_config_static_selectorELNS0_4arch9wavefront6targetE0EEEvS10_.uses_vcc, 0
	.set _ZN7rocprim17ROCPRIM_400000_NS6detail17trampoline_kernelINS0_14default_configENS1_21merge_config_selectorINS0_5tupleIJxxEEENS0_10empty_typeEEEZNS1_10merge_implIS3_NS0_12zip_iteratorINS5_IJN6thrust23THRUST_200600_302600_NS6detail15normal_iteratorINSC_10device_ptrIKxEEEESI_EEEEESK_NSA_INS5_IJNSE_INSF_IxEEEESM_EEEEEPS7_SP_SP_NSC_11hip_rocprim7__merge17predicate_wrapperIxxNSC_4lessIxEEEEEE10hipError_tPvRmT0_T1_T2_T3_T4_T5_mmT6_P12ihipStream_tbEUlT_E_NS1_11comp_targetILNS1_3genE9ELNS1_11target_archE1100ELNS1_3gpuE3ELNS1_3repE0EEENS1_30default_config_static_selectorELNS0_4arch9wavefront6targetE0EEEvS10_.uses_flat_scratch, 0
	.set _ZN7rocprim17ROCPRIM_400000_NS6detail17trampoline_kernelINS0_14default_configENS1_21merge_config_selectorINS0_5tupleIJxxEEENS0_10empty_typeEEEZNS1_10merge_implIS3_NS0_12zip_iteratorINS5_IJN6thrust23THRUST_200600_302600_NS6detail15normal_iteratorINSC_10device_ptrIKxEEEESI_EEEEESK_NSA_INS5_IJNSE_INSF_IxEEEESM_EEEEEPS7_SP_SP_NSC_11hip_rocprim7__merge17predicate_wrapperIxxNSC_4lessIxEEEEEE10hipError_tPvRmT0_T1_T2_T3_T4_T5_mmT6_P12ihipStream_tbEUlT_E_NS1_11comp_targetILNS1_3genE9ELNS1_11target_archE1100ELNS1_3gpuE3ELNS1_3repE0EEENS1_30default_config_static_selectorELNS0_4arch9wavefront6targetE0EEEvS10_.has_dyn_sized_stack, 0
	.set _ZN7rocprim17ROCPRIM_400000_NS6detail17trampoline_kernelINS0_14default_configENS1_21merge_config_selectorINS0_5tupleIJxxEEENS0_10empty_typeEEEZNS1_10merge_implIS3_NS0_12zip_iteratorINS5_IJN6thrust23THRUST_200600_302600_NS6detail15normal_iteratorINSC_10device_ptrIKxEEEESI_EEEEESK_NSA_INS5_IJNSE_INSF_IxEEEESM_EEEEEPS7_SP_SP_NSC_11hip_rocprim7__merge17predicate_wrapperIxxNSC_4lessIxEEEEEE10hipError_tPvRmT0_T1_T2_T3_T4_T5_mmT6_P12ihipStream_tbEUlT_E_NS1_11comp_targetILNS1_3genE9ELNS1_11target_archE1100ELNS1_3gpuE3ELNS1_3repE0EEENS1_30default_config_static_selectorELNS0_4arch9wavefront6targetE0EEEvS10_.has_recursion, 0
	.set _ZN7rocprim17ROCPRIM_400000_NS6detail17trampoline_kernelINS0_14default_configENS1_21merge_config_selectorINS0_5tupleIJxxEEENS0_10empty_typeEEEZNS1_10merge_implIS3_NS0_12zip_iteratorINS5_IJN6thrust23THRUST_200600_302600_NS6detail15normal_iteratorINSC_10device_ptrIKxEEEESI_EEEEESK_NSA_INS5_IJNSE_INSF_IxEEEESM_EEEEEPS7_SP_SP_NSC_11hip_rocprim7__merge17predicate_wrapperIxxNSC_4lessIxEEEEEE10hipError_tPvRmT0_T1_T2_T3_T4_T5_mmT6_P12ihipStream_tbEUlT_E_NS1_11comp_targetILNS1_3genE9ELNS1_11target_archE1100ELNS1_3gpuE3ELNS1_3repE0EEENS1_30default_config_static_selectorELNS0_4arch9wavefront6targetE0EEEvS10_.has_indirect_call, 0
	.section	.AMDGPU.csdata,"",@progbits
; Kernel info:
; codeLenInByte = 0
; TotalNumSgprs: 0
; NumVgprs: 0
; ScratchSize: 0
; MemoryBound: 0
; FloatMode: 240
; IeeeMode: 1
; LDSByteSize: 0 bytes/workgroup (compile time only)
; SGPRBlocks: 0
; VGPRBlocks: 0
; NumSGPRsForWavesPerEU: 1
; NumVGPRsForWavesPerEU: 1
; Occupancy: 16
; WaveLimiterHint : 0
; COMPUTE_PGM_RSRC2:SCRATCH_EN: 0
; COMPUTE_PGM_RSRC2:USER_SGPR: 6
; COMPUTE_PGM_RSRC2:TRAP_HANDLER: 0
; COMPUTE_PGM_RSRC2:TGID_X_EN: 1
; COMPUTE_PGM_RSRC2:TGID_Y_EN: 0
; COMPUTE_PGM_RSRC2:TGID_Z_EN: 0
; COMPUTE_PGM_RSRC2:TIDIG_COMP_CNT: 0
	.section	.text._ZN7rocprim17ROCPRIM_400000_NS6detail17trampoline_kernelINS0_14default_configENS1_21merge_config_selectorINS0_5tupleIJxxEEENS0_10empty_typeEEEZNS1_10merge_implIS3_NS0_12zip_iteratorINS5_IJN6thrust23THRUST_200600_302600_NS6detail15normal_iteratorINSC_10device_ptrIKxEEEESI_EEEEESK_NSA_INS5_IJNSE_INSF_IxEEEESM_EEEEEPS7_SP_SP_NSC_11hip_rocprim7__merge17predicate_wrapperIxxNSC_4lessIxEEEEEE10hipError_tPvRmT0_T1_T2_T3_T4_T5_mmT6_P12ihipStream_tbEUlT_E_NS1_11comp_targetILNS1_3genE8ELNS1_11target_archE1030ELNS1_3gpuE2ELNS1_3repE0EEENS1_30default_config_static_selectorELNS0_4arch9wavefront6targetE0EEEvS10_,"axG",@progbits,_ZN7rocprim17ROCPRIM_400000_NS6detail17trampoline_kernelINS0_14default_configENS1_21merge_config_selectorINS0_5tupleIJxxEEENS0_10empty_typeEEEZNS1_10merge_implIS3_NS0_12zip_iteratorINS5_IJN6thrust23THRUST_200600_302600_NS6detail15normal_iteratorINSC_10device_ptrIKxEEEESI_EEEEESK_NSA_INS5_IJNSE_INSF_IxEEEESM_EEEEEPS7_SP_SP_NSC_11hip_rocprim7__merge17predicate_wrapperIxxNSC_4lessIxEEEEEE10hipError_tPvRmT0_T1_T2_T3_T4_T5_mmT6_P12ihipStream_tbEUlT_E_NS1_11comp_targetILNS1_3genE8ELNS1_11target_archE1030ELNS1_3gpuE2ELNS1_3repE0EEENS1_30default_config_static_selectorELNS0_4arch9wavefront6targetE0EEEvS10_,comdat
	.protected	_ZN7rocprim17ROCPRIM_400000_NS6detail17trampoline_kernelINS0_14default_configENS1_21merge_config_selectorINS0_5tupleIJxxEEENS0_10empty_typeEEEZNS1_10merge_implIS3_NS0_12zip_iteratorINS5_IJN6thrust23THRUST_200600_302600_NS6detail15normal_iteratorINSC_10device_ptrIKxEEEESI_EEEEESK_NSA_INS5_IJNSE_INSF_IxEEEESM_EEEEEPS7_SP_SP_NSC_11hip_rocprim7__merge17predicate_wrapperIxxNSC_4lessIxEEEEEE10hipError_tPvRmT0_T1_T2_T3_T4_T5_mmT6_P12ihipStream_tbEUlT_E_NS1_11comp_targetILNS1_3genE8ELNS1_11target_archE1030ELNS1_3gpuE2ELNS1_3repE0EEENS1_30default_config_static_selectorELNS0_4arch9wavefront6targetE0EEEvS10_ ; -- Begin function _ZN7rocprim17ROCPRIM_400000_NS6detail17trampoline_kernelINS0_14default_configENS1_21merge_config_selectorINS0_5tupleIJxxEEENS0_10empty_typeEEEZNS1_10merge_implIS3_NS0_12zip_iteratorINS5_IJN6thrust23THRUST_200600_302600_NS6detail15normal_iteratorINSC_10device_ptrIKxEEEESI_EEEEESK_NSA_INS5_IJNSE_INSF_IxEEEESM_EEEEEPS7_SP_SP_NSC_11hip_rocprim7__merge17predicate_wrapperIxxNSC_4lessIxEEEEEE10hipError_tPvRmT0_T1_T2_T3_T4_T5_mmT6_P12ihipStream_tbEUlT_E_NS1_11comp_targetILNS1_3genE8ELNS1_11target_archE1030ELNS1_3gpuE2ELNS1_3repE0EEENS1_30default_config_static_selectorELNS0_4arch9wavefront6targetE0EEEvS10_
	.globl	_ZN7rocprim17ROCPRIM_400000_NS6detail17trampoline_kernelINS0_14default_configENS1_21merge_config_selectorINS0_5tupleIJxxEEENS0_10empty_typeEEEZNS1_10merge_implIS3_NS0_12zip_iteratorINS5_IJN6thrust23THRUST_200600_302600_NS6detail15normal_iteratorINSC_10device_ptrIKxEEEESI_EEEEESK_NSA_INS5_IJNSE_INSF_IxEEEESM_EEEEEPS7_SP_SP_NSC_11hip_rocprim7__merge17predicate_wrapperIxxNSC_4lessIxEEEEEE10hipError_tPvRmT0_T1_T2_T3_T4_T5_mmT6_P12ihipStream_tbEUlT_E_NS1_11comp_targetILNS1_3genE8ELNS1_11target_archE1030ELNS1_3gpuE2ELNS1_3repE0EEENS1_30default_config_static_selectorELNS0_4arch9wavefront6targetE0EEEvS10_
	.p2align	8
	.type	_ZN7rocprim17ROCPRIM_400000_NS6detail17trampoline_kernelINS0_14default_configENS1_21merge_config_selectorINS0_5tupleIJxxEEENS0_10empty_typeEEEZNS1_10merge_implIS3_NS0_12zip_iteratorINS5_IJN6thrust23THRUST_200600_302600_NS6detail15normal_iteratorINSC_10device_ptrIKxEEEESI_EEEEESK_NSA_INS5_IJNSE_INSF_IxEEEESM_EEEEEPS7_SP_SP_NSC_11hip_rocprim7__merge17predicate_wrapperIxxNSC_4lessIxEEEEEE10hipError_tPvRmT0_T1_T2_T3_T4_T5_mmT6_P12ihipStream_tbEUlT_E_NS1_11comp_targetILNS1_3genE8ELNS1_11target_archE1030ELNS1_3gpuE2ELNS1_3repE0EEENS1_30default_config_static_selectorELNS0_4arch9wavefront6targetE0EEEvS10_,@function
_ZN7rocprim17ROCPRIM_400000_NS6detail17trampoline_kernelINS0_14default_configENS1_21merge_config_selectorINS0_5tupleIJxxEEENS0_10empty_typeEEEZNS1_10merge_implIS3_NS0_12zip_iteratorINS5_IJN6thrust23THRUST_200600_302600_NS6detail15normal_iteratorINSC_10device_ptrIKxEEEESI_EEEEESK_NSA_INS5_IJNSE_INSF_IxEEEESM_EEEEEPS7_SP_SP_NSC_11hip_rocprim7__merge17predicate_wrapperIxxNSC_4lessIxEEEEEE10hipError_tPvRmT0_T1_T2_T3_T4_T5_mmT6_P12ihipStream_tbEUlT_E_NS1_11comp_targetILNS1_3genE8ELNS1_11target_archE1030ELNS1_3gpuE2ELNS1_3repE0EEENS1_30default_config_static_selectorELNS0_4arch9wavefront6targetE0EEEvS10_: ; @_ZN7rocprim17ROCPRIM_400000_NS6detail17trampoline_kernelINS0_14default_configENS1_21merge_config_selectorINS0_5tupleIJxxEEENS0_10empty_typeEEEZNS1_10merge_implIS3_NS0_12zip_iteratorINS5_IJN6thrust23THRUST_200600_302600_NS6detail15normal_iteratorINSC_10device_ptrIKxEEEESI_EEEEESK_NSA_INS5_IJNSE_INSF_IxEEEESM_EEEEEPS7_SP_SP_NSC_11hip_rocprim7__merge17predicate_wrapperIxxNSC_4lessIxEEEEEE10hipError_tPvRmT0_T1_T2_T3_T4_T5_mmT6_P12ihipStream_tbEUlT_E_NS1_11comp_targetILNS1_3genE8ELNS1_11target_archE1030ELNS1_3gpuE2ELNS1_3repE0EEENS1_30default_config_static_selectorELNS0_4arch9wavefront6targetE0EEEvS10_
; %bb.0:
	s_clause 0x2
	s_load_dword s2, s[4:5], 0x38
	s_load_dword s0, s[4:5], 0x4c
	s_load_dwordx4 s[12:15], s[4:5], 0x28
	s_waitcnt lgkmcnt(0)
	v_cvt_f32_u32_e32 v1, s2
	s_and_b32 s3, s0, 0xffff
	s_add_u32 s0, s14, s12
	s_addc_u32 s1, s15, s13
	s_sub_i32 s8, 0, s2
	v_rcp_iflag_f32_e32 v1, v1
	s_add_i32 s9, s2, s0
	s_add_i32 s9, s9, -1
	v_mul_f32_e32 v1, 0x4f7ffffe, v1
	v_cvt_u32_f32_e32 v1, v1
	v_readfirstlane_b32 s7, v1
	v_mad_u64_u32 v[0:1], null, s6, s3, v[0:1]
	s_mul_i32 s8, s8, s7
	s_mul_hi_u32 s8, s7, s8
	s_add_i32 s7, s7, s8
	s_mul_hi_u32 s7, s9, s7
	s_mul_i32 s8, s7, s2
	s_sub_i32 s8, s9, s8
	s_add_i32 s9, s7, 1
	s_sub_i32 s10, s8, s2
	s_cmp_ge_u32 s8, s2
	s_cselect_b32 s3, s9, s7
	s_cselect_b32 s6, s10, s8
	s_add_i32 s7, s3, 1
	s_cmp_ge_u32 s6, s2
	s_cselect_b32 s3, s7, s3
	v_cmp_ge_u32_e32 vcc_lo, s3, v0
	s_and_saveexec_b32 s3, vcc_lo
	s_cbranch_execz .LBB215_6
; %bb.1:
	v_mul_lo_u32 v1, v0, s2
	v_mov_b32_e32 v2, 0
	s_load_dwordx4 s[8:11], s[4:5], 0x0
	v_cmp_gt_u64_e32 vcc_lo, s[0:1], v[1:2]
	v_cndmask_b32_e32 v6, s0, v1, vcc_lo
	v_cndmask_b32_e64 v7, s1, 0, vcc_lo
	s_mov_b32 s1, exec_lo
	v_sub_co_u32 v1, vcc_lo, v6, s14
	v_subrev_co_ci_u32_e64 v2, null, s15, v7, vcc_lo
	v_cmp_gt_u64_e64 s0, s[12:13], v[6:7]
	v_cmp_gt_u64_e32 vcc_lo, v[1:2], v[6:7]
	v_cndmask_b32_e64 v5, s13, v7, s0
	v_cndmask_b32_e64 v4, s12, v6, s0
	v_cndmask_b32_e64 v3, v2, 0, vcc_lo
	v_cndmask_b32_e64 v2, v1, 0, vcc_lo
	v_cmpx_lt_u64_e64 v[2:3], v[4:5]
	s_cbranch_execz .LBB215_5
; %bb.2:
	s_load_dwordx2 s[2:3], s[4:5], 0x18
	v_lshlrev_b64 v[6:7], 3, v[6:7]
	s_waitcnt lgkmcnt(0)
	v_add_co_u32 v1, vcc_lo, s2, v6
	v_add_co_ci_u32_e64 v6, null, s3, v7, vcc_lo
	s_mov_b32 s2, 0
	s_inst_prefetch 0x1
	.p2align	6
.LBB215_3:                              ; =>This Inner Loop Header: Depth=1
	v_add_co_u32 v7, vcc_lo, v4, v2
	v_add_co_ci_u32_e64 v8, null, v5, v3, vcc_lo
	v_lshrrev_b64 v[7:8], 1, v[7:8]
	v_lshlrev_b64 v[9:10], 3, v[7:8]
	v_xor_b32_e32 v11, -8, v9
	v_xor_b32_e32 v12, -1, v10
	v_add_co_u32 v9, vcc_lo, s10, v9
	v_add_co_ci_u32_e64 v10, null, s11, v10, vcc_lo
	v_add_co_u32 v11, vcc_lo, v1, v11
	v_add_co_ci_u32_e64 v12, null, v6, v12, vcc_lo
	v_add_co_u32 v13, vcc_lo, v7, 1
	global_load_dwordx2 v[9:10], v[9:10], off
	global_load_dwordx2 v[11:12], v[11:12], off
	s_waitcnt vmcnt(0)
	v_cmp_lt_i64_e64 s0, v[11:12], v[9:10]
	v_add_co_ci_u32_e64 v9, null, 0, v8, vcc_lo
	v_cndmask_b32_e64 v5, v5, v8, s0
	v_cndmask_b32_e64 v4, v4, v7, s0
	v_cndmask_b32_e64 v3, v9, v3, s0
	v_cndmask_b32_e64 v2, v13, v2, s0
	v_cmp_ge_u64_e32 vcc_lo, v[2:3], v[4:5]
	s_or_b32 s2, vcc_lo, s2
	s_andn2_b32 exec_lo, exec_lo, s2
	s_cbranch_execnz .LBB215_3
; %bb.4:
	s_inst_prefetch 0x2
	s_or_b32 exec_lo, exec_lo, s2
.LBB215_5:
	s_or_b32 exec_lo, exec_lo, s1
	v_mov_b32_e32 v1, 0
	v_lshlrev_b64 v[0:1], 2, v[0:1]
	s_waitcnt lgkmcnt(0)
	v_add_co_u32 v0, vcc_lo, s8, v0
	v_add_co_ci_u32_e64 v1, null, s9, v1, vcc_lo
	global_store_dword v[0:1], v2, off
.LBB215_6:
	s_endpgm
	.section	.rodata,"a",@progbits
	.p2align	6, 0x0
	.amdhsa_kernel _ZN7rocprim17ROCPRIM_400000_NS6detail17trampoline_kernelINS0_14default_configENS1_21merge_config_selectorINS0_5tupleIJxxEEENS0_10empty_typeEEEZNS1_10merge_implIS3_NS0_12zip_iteratorINS5_IJN6thrust23THRUST_200600_302600_NS6detail15normal_iteratorINSC_10device_ptrIKxEEEESI_EEEEESK_NSA_INS5_IJNSE_INSF_IxEEEESM_EEEEEPS7_SP_SP_NSC_11hip_rocprim7__merge17predicate_wrapperIxxNSC_4lessIxEEEEEE10hipError_tPvRmT0_T1_T2_T3_T4_T5_mmT6_P12ihipStream_tbEUlT_E_NS1_11comp_targetILNS1_3genE8ELNS1_11target_archE1030ELNS1_3gpuE2ELNS1_3repE0EEENS1_30default_config_static_selectorELNS0_4arch9wavefront6targetE0EEEvS10_
		.amdhsa_group_segment_fixed_size 0
		.amdhsa_private_segment_fixed_size 0
		.amdhsa_kernarg_size 320
		.amdhsa_user_sgpr_count 6
		.amdhsa_user_sgpr_private_segment_buffer 1
		.amdhsa_user_sgpr_dispatch_ptr 0
		.amdhsa_user_sgpr_queue_ptr 0
		.amdhsa_user_sgpr_kernarg_segment_ptr 1
		.amdhsa_user_sgpr_dispatch_id 0
		.amdhsa_user_sgpr_flat_scratch_init 0
		.amdhsa_user_sgpr_private_segment_size 0
		.amdhsa_wavefront_size32 1
		.amdhsa_uses_dynamic_stack 0
		.amdhsa_system_sgpr_private_segment_wavefront_offset 0
		.amdhsa_system_sgpr_workgroup_id_x 1
		.amdhsa_system_sgpr_workgroup_id_y 0
		.amdhsa_system_sgpr_workgroup_id_z 0
		.amdhsa_system_sgpr_workgroup_info 0
		.amdhsa_system_vgpr_workitem_id 0
		.amdhsa_next_free_vgpr 14
		.amdhsa_next_free_sgpr 16
		.amdhsa_reserve_vcc 1
		.amdhsa_reserve_flat_scratch 0
		.amdhsa_float_round_mode_32 0
		.amdhsa_float_round_mode_16_64 0
		.amdhsa_float_denorm_mode_32 3
		.amdhsa_float_denorm_mode_16_64 3
		.amdhsa_dx10_clamp 1
		.amdhsa_ieee_mode 1
		.amdhsa_fp16_overflow 0
		.amdhsa_workgroup_processor_mode 1
		.amdhsa_memory_ordered 1
		.amdhsa_forward_progress 1
		.amdhsa_shared_vgpr_count 0
		.amdhsa_exception_fp_ieee_invalid_op 0
		.amdhsa_exception_fp_denorm_src 0
		.amdhsa_exception_fp_ieee_div_zero 0
		.amdhsa_exception_fp_ieee_overflow 0
		.amdhsa_exception_fp_ieee_underflow 0
		.amdhsa_exception_fp_ieee_inexact 0
		.amdhsa_exception_int_div_zero 0
	.end_amdhsa_kernel
	.section	.text._ZN7rocprim17ROCPRIM_400000_NS6detail17trampoline_kernelINS0_14default_configENS1_21merge_config_selectorINS0_5tupleIJxxEEENS0_10empty_typeEEEZNS1_10merge_implIS3_NS0_12zip_iteratorINS5_IJN6thrust23THRUST_200600_302600_NS6detail15normal_iteratorINSC_10device_ptrIKxEEEESI_EEEEESK_NSA_INS5_IJNSE_INSF_IxEEEESM_EEEEEPS7_SP_SP_NSC_11hip_rocprim7__merge17predicate_wrapperIxxNSC_4lessIxEEEEEE10hipError_tPvRmT0_T1_T2_T3_T4_T5_mmT6_P12ihipStream_tbEUlT_E_NS1_11comp_targetILNS1_3genE8ELNS1_11target_archE1030ELNS1_3gpuE2ELNS1_3repE0EEENS1_30default_config_static_selectorELNS0_4arch9wavefront6targetE0EEEvS10_,"axG",@progbits,_ZN7rocprim17ROCPRIM_400000_NS6detail17trampoline_kernelINS0_14default_configENS1_21merge_config_selectorINS0_5tupleIJxxEEENS0_10empty_typeEEEZNS1_10merge_implIS3_NS0_12zip_iteratorINS5_IJN6thrust23THRUST_200600_302600_NS6detail15normal_iteratorINSC_10device_ptrIKxEEEESI_EEEEESK_NSA_INS5_IJNSE_INSF_IxEEEESM_EEEEEPS7_SP_SP_NSC_11hip_rocprim7__merge17predicate_wrapperIxxNSC_4lessIxEEEEEE10hipError_tPvRmT0_T1_T2_T3_T4_T5_mmT6_P12ihipStream_tbEUlT_E_NS1_11comp_targetILNS1_3genE8ELNS1_11target_archE1030ELNS1_3gpuE2ELNS1_3repE0EEENS1_30default_config_static_selectorELNS0_4arch9wavefront6targetE0EEEvS10_,comdat
.Lfunc_end215:
	.size	_ZN7rocprim17ROCPRIM_400000_NS6detail17trampoline_kernelINS0_14default_configENS1_21merge_config_selectorINS0_5tupleIJxxEEENS0_10empty_typeEEEZNS1_10merge_implIS3_NS0_12zip_iteratorINS5_IJN6thrust23THRUST_200600_302600_NS6detail15normal_iteratorINSC_10device_ptrIKxEEEESI_EEEEESK_NSA_INS5_IJNSE_INSF_IxEEEESM_EEEEEPS7_SP_SP_NSC_11hip_rocprim7__merge17predicate_wrapperIxxNSC_4lessIxEEEEEE10hipError_tPvRmT0_T1_T2_T3_T4_T5_mmT6_P12ihipStream_tbEUlT_E_NS1_11comp_targetILNS1_3genE8ELNS1_11target_archE1030ELNS1_3gpuE2ELNS1_3repE0EEENS1_30default_config_static_selectorELNS0_4arch9wavefront6targetE0EEEvS10_, .Lfunc_end215-_ZN7rocprim17ROCPRIM_400000_NS6detail17trampoline_kernelINS0_14default_configENS1_21merge_config_selectorINS0_5tupleIJxxEEENS0_10empty_typeEEEZNS1_10merge_implIS3_NS0_12zip_iteratorINS5_IJN6thrust23THRUST_200600_302600_NS6detail15normal_iteratorINSC_10device_ptrIKxEEEESI_EEEEESK_NSA_INS5_IJNSE_INSF_IxEEEESM_EEEEEPS7_SP_SP_NSC_11hip_rocprim7__merge17predicate_wrapperIxxNSC_4lessIxEEEEEE10hipError_tPvRmT0_T1_T2_T3_T4_T5_mmT6_P12ihipStream_tbEUlT_E_NS1_11comp_targetILNS1_3genE8ELNS1_11target_archE1030ELNS1_3gpuE2ELNS1_3repE0EEENS1_30default_config_static_selectorELNS0_4arch9wavefront6targetE0EEEvS10_
                                        ; -- End function
	.set _ZN7rocprim17ROCPRIM_400000_NS6detail17trampoline_kernelINS0_14default_configENS1_21merge_config_selectorINS0_5tupleIJxxEEENS0_10empty_typeEEEZNS1_10merge_implIS3_NS0_12zip_iteratorINS5_IJN6thrust23THRUST_200600_302600_NS6detail15normal_iteratorINSC_10device_ptrIKxEEEESI_EEEEESK_NSA_INS5_IJNSE_INSF_IxEEEESM_EEEEEPS7_SP_SP_NSC_11hip_rocprim7__merge17predicate_wrapperIxxNSC_4lessIxEEEEEE10hipError_tPvRmT0_T1_T2_T3_T4_T5_mmT6_P12ihipStream_tbEUlT_E_NS1_11comp_targetILNS1_3genE8ELNS1_11target_archE1030ELNS1_3gpuE2ELNS1_3repE0EEENS1_30default_config_static_selectorELNS0_4arch9wavefront6targetE0EEEvS10_.num_vgpr, 14
	.set _ZN7rocprim17ROCPRIM_400000_NS6detail17trampoline_kernelINS0_14default_configENS1_21merge_config_selectorINS0_5tupleIJxxEEENS0_10empty_typeEEEZNS1_10merge_implIS3_NS0_12zip_iteratorINS5_IJN6thrust23THRUST_200600_302600_NS6detail15normal_iteratorINSC_10device_ptrIKxEEEESI_EEEEESK_NSA_INS5_IJNSE_INSF_IxEEEESM_EEEEEPS7_SP_SP_NSC_11hip_rocprim7__merge17predicate_wrapperIxxNSC_4lessIxEEEEEE10hipError_tPvRmT0_T1_T2_T3_T4_T5_mmT6_P12ihipStream_tbEUlT_E_NS1_11comp_targetILNS1_3genE8ELNS1_11target_archE1030ELNS1_3gpuE2ELNS1_3repE0EEENS1_30default_config_static_selectorELNS0_4arch9wavefront6targetE0EEEvS10_.num_agpr, 0
	.set _ZN7rocprim17ROCPRIM_400000_NS6detail17trampoline_kernelINS0_14default_configENS1_21merge_config_selectorINS0_5tupleIJxxEEENS0_10empty_typeEEEZNS1_10merge_implIS3_NS0_12zip_iteratorINS5_IJN6thrust23THRUST_200600_302600_NS6detail15normal_iteratorINSC_10device_ptrIKxEEEESI_EEEEESK_NSA_INS5_IJNSE_INSF_IxEEEESM_EEEEEPS7_SP_SP_NSC_11hip_rocprim7__merge17predicate_wrapperIxxNSC_4lessIxEEEEEE10hipError_tPvRmT0_T1_T2_T3_T4_T5_mmT6_P12ihipStream_tbEUlT_E_NS1_11comp_targetILNS1_3genE8ELNS1_11target_archE1030ELNS1_3gpuE2ELNS1_3repE0EEENS1_30default_config_static_selectorELNS0_4arch9wavefront6targetE0EEEvS10_.numbered_sgpr, 16
	.set _ZN7rocprim17ROCPRIM_400000_NS6detail17trampoline_kernelINS0_14default_configENS1_21merge_config_selectorINS0_5tupleIJxxEEENS0_10empty_typeEEEZNS1_10merge_implIS3_NS0_12zip_iteratorINS5_IJN6thrust23THRUST_200600_302600_NS6detail15normal_iteratorINSC_10device_ptrIKxEEEESI_EEEEESK_NSA_INS5_IJNSE_INSF_IxEEEESM_EEEEEPS7_SP_SP_NSC_11hip_rocprim7__merge17predicate_wrapperIxxNSC_4lessIxEEEEEE10hipError_tPvRmT0_T1_T2_T3_T4_T5_mmT6_P12ihipStream_tbEUlT_E_NS1_11comp_targetILNS1_3genE8ELNS1_11target_archE1030ELNS1_3gpuE2ELNS1_3repE0EEENS1_30default_config_static_selectorELNS0_4arch9wavefront6targetE0EEEvS10_.num_named_barrier, 0
	.set _ZN7rocprim17ROCPRIM_400000_NS6detail17trampoline_kernelINS0_14default_configENS1_21merge_config_selectorINS0_5tupleIJxxEEENS0_10empty_typeEEEZNS1_10merge_implIS3_NS0_12zip_iteratorINS5_IJN6thrust23THRUST_200600_302600_NS6detail15normal_iteratorINSC_10device_ptrIKxEEEESI_EEEEESK_NSA_INS5_IJNSE_INSF_IxEEEESM_EEEEEPS7_SP_SP_NSC_11hip_rocprim7__merge17predicate_wrapperIxxNSC_4lessIxEEEEEE10hipError_tPvRmT0_T1_T2_T3_T4_T5_mmT6_P12ihipStream_tbEUlT_E_NS1_11comp_targetILNS1_3genE8ELNS1_11target_archE1030ELNS1_3gpuE2ELNS1_3repE0EEENS1_30default_config_static_selectorELNS0_4arch9wavefront6targetE0EEEvS10_.private_seg_size, 0
	.set _ZN7rocprim17ROCPRIM_400000_NS6detail17trampoline_kernelINS0_14default_configENS1_21merge_config_selectorINS0_5tupleIJxxEEENS0_10empty_typeEEEZNS1_10merge_implIS3_NS0_12zip_iteratorINS5_IJN6thrust23THRUST_200600_302600_NS6detail15normal_iteratorINSC_10device_ptrIKxEEEESI_EEEEESK_NSA_INS5_IJNSE_INSF_IxEEEESM_EEEEEPS7_SP_SP_NSC_11hip_rocprim7__merge17predicate_wrapperIxxNSC_4lessIxEEEEEE10hipError_tPvRmT0_T1_T2_T3_T4_T5_mmT6_P12ihipStream_tbEUlT_E_NS1_11comp_targetILNS1_3genE8ELNS1_11target_archE1030ELNS1_3gpuE2ELNS1_3repE0EEENS1_30default_config_static_selectorELNS0_4arch9wavefront6targetE0EEEvS10_.uses_vcc, 1
	.set _ZN7rocprim17ROCPRIM_400000_NS6detail17trampoline_kernelINS0_14default_configENS1_21merge_config_selectorINS0_5tupleIJxxEEENS0_10empty_typeEEEZNS1_10merge_implIS3_NS0_12zip_iteratorINS5_IJN6thrust23THRUST_200600_302600_NS6detail15normal_iteratorINSC_10device_ptrIKxEEEESI_EEEEESK_NSA_INS5_IJNSE_INSF_IxEEEESM_EEEEEPS7_SP_SP_NSC_11hip_rocprim7__merge17predicate_wrapperIxxNSC_4lessIxEEEEEE10hipError_tPvRmT0_T1_T2_T3_T4_T5_mmT6_P12ihipStream_tbEUlT_E_NS1_11comp_targetILNS1_3genE8ELNS1_11target_archE1030ELNS1_3gpuE2ELNS1_3repE0EEENS1_30default_config_static_selectorELNS0_4arch9wavefront6targetE0EEEvS10_.uses_flat_scratch, 0
	.set _ZN7rocprim17ROCPRIM_400000_NS6detail17trampoline_kernelINS0_14default_configENS1_21merge_config_selectorINS0_5tupleIJxxEEENS0_10empty_typeEEEZNS1_10merge_implIS3_NS0_12zip_iteratorINS5_IJN6thrust23THRUST_200600_302600_NS6detail15normal_iteratorINSC_10device_ptrIKxEEEESI_EEEEESK_NSA_INS5_IJNSE_INSF_IxEEEESM_EEEEEPS7_SP_SP_NSC_11hip_rocprim7__merge17predicate_wrapperIxxNSC_4lessIxEEEEEE10hipError_tPvRmT0_T1_T2_T3_T4_T5_mmT6_P12ihipStream_tbEUlT_E_NS1_11comp_targetILNS1_3genE8ELNS1_11target_archE1030ELNS1_3gpuE2ELNS1_3repE0EEENS1_30default_config_static_selectorELNS0_4arch9wavefront6targetE0EEEvS10_.has_dyn_sized_stack, 0
	.set _ZN7rocprim17ROCPRIM_400000_NS6detail17trampoline_kernelINS0_14default_configENS1_21merge_config_selectorINS0_5tupleIJxxEEENS0_10empty_typeEEEZNS1_10merge_implIS3_NS0_12zip_iteratorINS5_IJN6thrust23THRUST_200600_302600_NS6detail15normal_iteratorINSC_10device_ptrIKxEEEESI_EEEEESK_NSA_INS5_IJNSE_INSF_IxEEEESM_EEEEEPS7_SP_SP_NSC_11hip_rocprim7__merge17predicate_wrapperIxxNSC_4lessIxEEEEEE10hipError_tPvRmT0_T1_T2_T3_T4_T5_mmT6_P12ihipStream_tbEUlT_E_NS1_11comp_targetILNS1_3genE8ELNS1_11target_archE1030ELNS1_3gpuE2ELNS1_3repE0EEENS1_30default_config_static_selectorELNS0_4arch9wavefront6targetE0EEEvS10_.has_recursion, 0
	.set _ZN7rocprim17ROCPRIM_400000_NS6detail17trampoline_kernelINS0_14default_configENS1_21merge_config_selectorINS0_5tupleIJxxEEENS0_10empty_typeEEEZNS1_10merge_implIS3_NS0_12zip_iteratorINS5_IJN6thrust23THRUST_200600_302600_NS6detail15normal_iteratorINSC_10device_ptrIKxEEEESI_EEEEESK_NSA_INS5_IJNSE_INSF_IxEEEESM_EEEEEPS7_SP_SP_NSC_11hip_rocprim7__merge17predicate_wrapperIxxNSC_4lessIxEEEEEE10hipError_tPvRmT0_T1_T2_T3_T4_T5_mmT6_P12ihipStream_tbEUlT_E_NS1_11comp_targetILNS1_3genE8ELNS1_11target_archE1030ELNS1_3gpuE2ELNS1_3repE0EEENS1_30default_config_static_selectorELNS0_4arch9wavefront6targetE0EEEvS10_.has_indirect_call, 0
	.section	.AMDGPU.csdata,"",@progbits
; Kernel info:
; codeLenInByte = 540
; TotalNumSgprs: 18
; NumVgprs: 14
; ScratchSize: 0
; MemoryBound: 0
; FloatMode: 240
; IeeeMode: 1
; LDSByteSize: 0 bytes/workgroup (compile time only)
; SGPRBlocks: 0
; VGPRBlocks: 1
; NumSGPRsForWavesPerEU: 18
; NumVGPRsForWavesPerEU: 14
; Occupancy: 16
; WaveLimiterHint : 0
; COMPUTE_PGM_RSRC2:SCRATCH_EN: 0
; COMPUTE_PGM_RSRC2:USER_SGPR: 6
; COMPUTE_PGM_RSRC2:TRAP_HANDLER: 0
; COMPUTE_PGM_RSRC2:TGID_X_EN: 1
; COMPUTE_PGM_RSRC2:TGID_Y_EN: 0
; COMPUTE_PGM_RSRC2:TGID_Z_EN: 0
; COMPUTE_PGM_RSRC2:TIDIG_COMP_CNT: 0
	.section	.text._ZN7rocprim17ROCPRIM_400000_NS6detail17trampoline_kernelINS0_14default_configENS1_21merge_config_selectorINS0_5tupleIJxxEEENS0_10empty_typeEEEZNS1_10merge_implIS3_NS0_12zip_iteratorINS5_IJN6thrust23THRUST_200600_302600_NS6detail15normal_iteratorINSC_10device_ptrIKxEEEESI_EEEEESK_NSA_INS5_IJNSE_INSF_IxEEEESM_EEEEEPS7_SP_SP_NSC_11hip_rocprim7__merge17predicate_wrapperIxxNSC_4lessIxEEEEEE10hipError_tPvRmT0_T1_T2_T3_T4_T5_mmT6_P12ihipStream_tbEUlT_E0_NS1_11comp_targetILNS1_3genE0ELNS1_11target_archE4294967295ELNS1_3gpuE0ELNS1_3repE0EEENS1_30default_config_static_selectorELNS0_4arch9wavefront6targetE0EEEvS10_,"axG",@progbits,_ZN7rocprim17ROCPRIM_400000_NS6detail17trampoline_kernelINS0_14default_configENS1_21merge_config_selectorINS0_5tupleIJxxEEENS0_10empty_typeEEEZNS1_10merge_implIS3_NS0_12zip_iteratorINS5_IJN6thrust23THRUST_200600_302600_NS6detail15normal_iteratorINSC_10device_ptrIKxEEEESI_EEEEESK_NSA_INS5_IJNSE_INSF_IxEEEESM_EEEEEPS7_SP_SP_NSC_11hip_rocprim7__merge17predicate_wrapperIxxNSC_4lessIxEEEEEE10hipError_tPvRmT0_T1_T2_T3_T4_T5_mmT6_P12ihipStream_tbEUlT_E0_NS1_11comp_targetILNS1_3genE0ELNS1_11target_archE4294967295ELNS1_3gpuE0ELNS1_3repE0EEENS1_30default_config_static_selectorELNS0_4arch9wavefront6targetE0EEEvS10_,comdat
	.protected	_ZN7rocprim17ROCPRIM_400000_NS6detail17trampoline_kernelINS0_14default_configENS1_21merge_config_selectorINS0_5tupleIJxxEEENS0_10empty_typeEEEZNS1_10merge_implIS3_NS0_12zip_iteratorINS5_IJN6thrust23THRUST_200600_302600_NS6detail15normal_iteratorINSC_10device_ptrIKxEEEESI_EEEEESK_NSA_INS5_IJNSE_INSF_IxEEEESM_EEEEEPS7_SP_SP_NSC_11hip_rocprim7__merge17predicate_wrapperIxxNSC_4lessIxEEEEEE10hipError_tPvRmT0_T1_T2_T3_T4_T5_mmT6_P12ihipStream_tbEUlT_E0_NS1_11comp_targetILNS1_3genE0ELNS1_11target_archE4294967295ELNS1_3gpuE0ELNS1_3repE0EEENS1_30default_config_static_selectorELNS0_4arch9wavefront6targetE0EEEvS10_ ; -- Begin function _ZN7rocprim17ROCPRIM_400000_NS6detail17trampoline_kernelINS0_14default_configENS1_21merge_config_selectorINS0_5tupleIJxxEEENS0_10empty_typeEEEZNS1_10merge_implIS3_NS0_12zip_iteratorINS5_IJN6thrust23THRUST_200600_302600_NS6detail15normal_iteratorINSC_10device_ptrIKxEEEESI_EEEEESK_NSA_INS5_IJNSE_INSF_IxEEEESM_EEEEEPS7_SP_SP_NSC_11hip_rocprim7__merge17predicate_wrapperIxxNSC_4lessIxEEEEEE10hipError_tPvRmT0_T1_T2_T3_T4_T5_mmT6_P12ihipStream_tbEUlT_E0_NS1_11comp_targetILNS1_3genE0ELNS1_11target_archE4294967295ELNS1_3gpuE0ELNS1_3repE0EEENS1_30default_config_static_selectorELNS0_4arch9wavefront6targetE0EEEvS10_
	.globl	_ZN7rocprim17ROCPRIM_400000_NS6detail17trampoline_kernelINS0_14default_configENS1_21merge_config_selectorINS0_5tupleIJxxEEENS0_10empty_typeEEEZNS1_10merge_implIS3_NS0_12zip_iteratorINS5_IJN6thrust23THRUST_200600_302600_NS6detail15normal_iteratorINSC_10device_ptrIKxEEEESI_EEEEESK_NSA_INS5_IJNSE_INSF_IxEEEESM_EEEEEPS7_SP_SP_NSC_11hip_rocprim7__merge17predicate_wrapperIxxNSC_4lessIxEEEEEE10hipError_tPvRmT0_T1_T2_T3_T4_T5_mmT6_P12ihipStream_tbEUlT_E0_NS1_11comp_targetILNS1_3genE0ELNS1_11target_archE4294967295ELNS1_3gpuE0ELNS1_3repE0EEENS1_30default_config_static_selectorELNS0_4arch9wavefront6targetE0EEEvS10_
	.p2align	8
	.type	_ZN7rocprim17ROCPRIM_400000_NS6detail17trampoline_kernelINS0_14default_configENS1_21merge_config_selectorINS0_5tupleIJxxEEENS0_10empty_typeEEEZNS1_10merge_implIS3_NS0_12zip_iteratorINS5_IJN6thrust23THRUST_200600_302600_NS6detail15normal_iteratorINSC_10device_ptrIKxEEEESI_EEEEESK_NSA_INS5_IJNSE_INSF_IxEEEESM_EEEEEPS7_SP_SP_NSC_11hip_rocprim7__merge17predicate_wrapperIxxNSC_4lessIxEEEEEE10hipError_tPvRmT0_T1_T2_T3_T4_T5_mmT6_P12ihipStream_tbEUlT_E0_NS1_11comp_targetILNS1_3genE0ELNS1_11target_archE4294967295ELNS1_3gpuE0ELNS1_3repE0EEENS1_30default_config_static_selectorELNS0_4arch9wavefront6targetE0EEEvS10_,@function
_ZN7rocprim17ROCPRIM_400000_NS6detail17trampoline_kernelINS0_14default_configENS1_21merge_config_selectorINS0_5tupleIJxxEEENS0_10empty_typeEEEZNS1_10merge_implIS3_NS0_12zip_iteratorINS5_IJN6thrust23THRUST_200600_302600_NS6detail15normal_iteratorINSC_10device_ptrIKxEEEESI_EEEEESK_NSA_INS5_IJNSE_INSF_IxEEEESM_EEEEEPS7_SP_SP_NSC_11hip_rocprim7__merge17predicate_wrapperIxxNSC_4lessIxEEEEEE10hipError_tPvRmT0_T1_T2_T3_T4_T5_mmT6_P12ihipStream_tbEUlT_E0_NS1_11comp_targetILNS1_3genE0ELNS1_11target_archE4294967295ELNS1_3gpuE0ELNS1_3repE0EEENS1_30default_config_static_selectorELNS0_4arch9wavefront6targetE0EEEvS10_: ; @_ZN7rocprim17ROCPRIM_400000_NS6detail17trampoline_kernelINS0_14default_configENS1_21merge_config_selectorINS0_5tupleIJxxEEENS0_10empty_typeEEEZNS1_10merge_implIS3_NS0_12zip_iteratorINS5_IJN6thrust23THRUST_200600_302600_NS6detail15normal_iteratorINSC_10device_ptrIKxEEEESI_EEEEESK_NSA_INS5_IJNSE_INSF_IxEEEESM_EEEEEPS7_SP_SP_NSC_11hip_rocprim7__merge17predicate_wrapperIxxNSC_4lessIxEEEEEE10hipError_tPvRmT0_T1_T2_T3_T4_T5_mmT6_P12ihipStream_tbEUlT_E0_NS1_11comp_targetILNS1_3genE0ELNS1_11target_archE4294967295ELNS1_3gpuE0ELNS1_3repE0EEENS1_30default_config_static_selectorELNS0_4arch9wavefront6targetE0EEEvS10_
; %bb.0:
	.section	.rodata,"a",@progbits
	.p2align	6, 0x0
	.amdhsa_kernel _ZN7rocprim17ROCPRIM_400000_NS6detail17trampoline_kernelINS0_14default_configENS1_21merge_config_selectorINS0_5tupleIJxxEEENS0_10empty_typeEEEZNS1_10merge_implIS3_NS0_12zip_iteratorINS5_IJN6thrust23THRUST_200600_302600_NS6detail15normal_iteratorINSC_10device_ptrIKxEEEESI_EEEEESK_NSA_INS5_IJNSE_INSF_IxEEEESM_EEEEEPS7_SP_SP_NSC_11hip_rocprim7__merge17predicate_wrapperIxxNSC_4lessIxEEEEEE10hipError_tPvRmT0_T1_T2_T3_T4_T5_mmT6_P12ihipStream_tbEUlT_E0_NS1_11comp_targetILNS1_3genE0ELNS1_11target_archE4294967295ELNS1_3gpuE0ELNS1_3repE0EEENS1_30default_config_static_selectorELNS0_4arch9wavefront6targetE0EEEvS10_
		.amdhsa_group_segment_fixed_size 0
		.amdhsa_private_segment_fixed_size 0
		.amdhsa_kernarg_size 112
		.amdhsa_user_sgpr_count 6
		.amdhsa_user_sgpr_private_segment_buffer 1
		.amdhsa_user_sgpr_dispatch_ptr 0
		.amdhsa_user_sgpr_queue_ptr 0
		.amdhsa_user_sgpr_kernarg_segment_ptr 1
		.amdhsa_user_sgpr_dispatch_id 0
		.amdhsa_user_sgpr_flat_scratch_init 0
		.amdhsa_user_sgpr_private_segment_size 0
		.amdhsa_wavefront_size32 1
		.amdhsa_uses_dynamic_stack 0
		.amdhsa_system_sgpr_private_segment_wavefront_offset 0
		.amdhsa_system_sgpr_workgroup_id_x 1
		.amdhsa_system_sgpr_workgroup_id_y 0
		.amdhsa_system_sgpr_workgroup_id_z 0
		.amdhsa_system_sgpr_workgroup_info 0
		.amdhsa_system_vgpr_workitem_id 0
		.amdhsa_next_free_vgpr 1
		.amdhsa_next_free_sgpr 1
		.amdhsa_reserve_vcc 0
		.amdhsa_reserve_flat_scratch 0
		.amdhsa_float_round_mode_32 0
		.amdhsa_float_round_mode_16_64 0
		.amdhsa_float_denorm_mode_32 3
		.amdhsa_float_denorm_mode_16_64 3
		.amdhsa_dx10_clamp 1
		.amdhsa_ieee_mode 1
		.amdhsa_fp16_overflow 0
		.amdhsa_workgroup_processor_mode 1
		.amdhsa_memory_ordered 1
		.amdhsa_forward_progress 1
		.amdhsa_shared_vgpr_count 0
		.amdhsa_exception_fp_ieee_invalid_op 0
		.amdhsa_exception_fp_denorm_src 0
		.amdhsa_exception_fp_ieee_div_zero 0
		.amdhsa_exception_fp_ieee_overflow 0
		.amdhsa_exception_fp_ieee_underflow 0
		.amdhsa_exception_fp_ieee_inexact 0
		.amdhsa_exception_int_div_zero 0
	.end_amdhsa_kernel
	.section	.text._ZN7rocprim17ROCPRIM_400000_NS6detail17trampoline_kernelINS0_14default_configENS1_21merge_config_selectorINS0_5tupleIJxxEEENS0_10empty_typeEEEZNS1_10merge_implIS3_NS0_12zip_iteratorINS5_IJN6thrust23THRUST_200600_302600_NS6detail15normal_iteratorINSC_10device_ptrIKxEEEESI_EEEEESK_NSA_INS5_IJNSE_INSF_IxEEEESM_EEEEEPS7_SP_SP_NSC_11hip_rocprim7__merge17predicate_wrapperIxxNSC_4lessIxEEEEEE10hipError_tPvRmT0_T1_T2_T3_T4_T5_mmT6_P12ihipStream_tbEUlT_E0_NS1_11comp_targetILNS1_3genE0ELNS1_11target_archE4294967295ELNS1_3gpuE0ELNS1_3repE0EEENS1_30default_config_static_selectorELNS0_4arch9wavefront6targetE0EEEvS10_,"axG",@progbits,_ZN7rocprim17ROCPRIM_400000_NS6detail17trampoline_kernelINS0_14default_configENS1_21merge_config_selectorINS0_5tupleIJxxEEENS0_10empty_typeEEEZNS1_10merge_implIS3_NS0_12zip_iteratorINS5_IJN6thrust23THRUST_200600_302600_NS6detail15normal_iteratorINSC_10device_ptrIKxEEEESI_EEEEESK_NSA_INS5_IJNSE_INSF_IxEEEESM_EEEEEPS7_SP_SP_NSC_11hip_rocprim7__merge17predicate_wrapperIxxNSC_4lessIxEEEEEE10hipError_tPvRmT0_T1_T2_T3_T4_T5_mmT6_P12ihipStream_tbEUlT_E0_NS1_11comp_targetILNS1_3genE0ELNS1_11target_archE4294967295ELNS1_3gpuE0ELNS1_3repE0EEENS1_30default_config_static_selectorELNS0_4arch9wavefront6targetE0EEEvS10_,comdat
.Lfunc_end216:
	.size	_ZN7rocprim17ROCPRIM_400000_NS6detail17trampoline_kernelINS0_14default_configENS1_21merge_config_selectorINS0_5tupleIJxxEEENS0_10empty_typeEEEZNS1_10merge_implIS3_NS0_12zip_iteratorINS5_IJN6thrust23THRUST_200600_302600_NS6detail15normal_iteratorINSC_10device_ptrIKxEEEESI_EEEEESK_NSA_INS5_IJNSE_INSF_IxEEEESM_EEEEEPS7_SP_SP_NSC_11hip_rocprim7__merge17predicate_wrapperIxxNSC_4lessIxEEEEEE10hipError_tPvRmT0_T1_T2_T3_T4_T5_mmT6_P12ihipStream_tbEUlT_E0_NS1_11comp_targetILNS1_3genE0ELNS1_11target_archE4294967295ELNS1_3gpuE0ELNS1_3repE0EEENS1_30default_config_static_selectorELNS0_4arch9wavefront6targetE0EEEvS10_, .Lfunc_end216-_ZN7rocprim17ROCPRIM_400000_NS6detail17trampoline_kernelINS0_14default_configENS1_21merge_config_selectorINS0_5tupleIJxxEEENS0_10empty_typeEEEZNS1_10merge_implIS3_NS0_12zip_iteratorINS5_IJN6thrust23THRUST_200600_302600_NS6detail15normal_iteratorINSC_10device_ptrIKxEEEESI_EEEEESK_NSA_INS5_IJNSE_INSF_IxEEEESM_EEEEEPS7_SP_SP_NSC_11hip_rocprim7__merge17predicate_wrapperIxxNSC_4lessIxEEEEEE10hipError_tPvRmT0_T1_T2_T3_T4_T5_mmT6_P12ihipStream_tbEUlT_E0_NS1_11comp_targetILNS1_3genE0ELNS1_11target_archE4294967295ELNS1_3gpuE0ELNS1_3repE0EEENS1_30default_config_static_selectorELNS0_4arch9wavefront6targetE0EEEvS10_
                                        ; -- End function
	.set _ZN7rocprim17ROCPRIM_400000_NS6detail17trampoline_kernelINS0_14default_configENS1_21merge_config_selectorINS0_5tupleIJxxEEENS0_10empty_typeEEEZNS1_10merge_implIS3_NS0_12zip_iteratorINS5_IJN6thrust23THRUST_200600_302600_NS6detail15normal_iteratorINSC_10device_ptrIKxEEEESI_EEEEESK_NSA_INS5_IJNSE_INSF_IxEEEESM_EEEEEPS7_SP_SP_NSC_11hip_rocprim7__merge17predicate_wrapperIxxNSC_4lessIxEEEEEE10hipError_tPvRmT0_T1_T2_T3_T4_T5_mmT6_P12ihipStream_tbEUlT_E0_NS1_11comp_targetILNS1_3genE0ELNS1_11target_archE4294967295ELNS1_3gpuE0ELNS1_3repE0EEENS1_30default_config_static_selectorELNS0_4arch9wavefront6targetE0EEEvS10_.num_vgpr, 0
	.set _ZN7rocprim17ROCPRIM_400000_NS6detail17trampoline_kernelINS0_14default_configENS1_21merge_config_selectorINS0_5tupleIJxxEEENS0_10empty_typeEEEZNS1_10merge_implIS3_NS0_12zip_iteratorINS5_IJN6thrust23THRUST_200600_302600_NS6detail15normal_iteratorINSC_10device_ptrIKxEEEESI_EEEEESK_NSA_INS5_IJNSE_INSF_IxEEEESM_EEEEEPS7_SP_SP_NSC_11hip_rocprim7__merge17predicate_wrapperIxxNSC_4lessIxEEEEEE10hipError_tPvRmT0_T1_T2_T3_T4_T5_mmT6_P12ihipStream_tbEUlT_E0_NS1_11comp_targetILNS1_3genE0ELNS1_11target_archE4294967295ELNS1_3gpuE0ELNS1_3repE0EEENS1_30default_config_static_selectorELNS0_4arch9wavefront6targetE0EEEvS10_.num_agpr, 0
	.set _ZN7rocprim17ROCPRIM_400000_NS6detail17trampoline_kernelINS0_14default_configENS1_21merge_config_selectorINS0_5tupleIJxxEEENS0_10empty_typeEEEZNS1_10merge_implIS3_NS0_12zip_iteratorINS5_IJN6thrust23THRUST_200600_302600_NS6detail15normal_iteratorINSC_10device_ptrIKxEEEESI_EEEEESK_NSA_INS5_IJNSE_INSF_IxEEEESM_EEEEEPS7_SP_SP_NSC_11hip_rocprim7__merge17predicate_wrapperIxxNSC_4lessIxEEEEEE10hipError_tPvRmT0_T1_T2_T3_T4_T5_mmT6_P12ihipStream_tbEUlT_E0_NS1_11comp_targetILNS1_3genE0ELNS1_11target_archE4294967295ELNS1_3gpuE0ELNS1_3repE0EEENS1_30default_config_static_selectorELNS0_4arch9wavefront6targetE0EEEvS10_.numbered_sgpr, 0
	.set _ZN7rocprim17ROCPRIM_400000_NS6detail17trampoline_kernelINS0_14default_configENS1_21merge_config_selectorINS0_5tupleIJxxEEENS0_10empty_typeEEEZNS1_10merge_implIS3_NS0_12zip_iteratorINS5_IJN6thrust23THRUST_200600_302600_NS6detail15normal_iteratorINSC_10device_ptrIKxEEEESI_EEEEESK_NSA_INS5_IJNSE_INSF_IxEEEESM_EEEEEPS7_SP_SP_NSC_11hip_rocprim7__merge17predicate_wrapperIxxNSC_4lessIxEEEEEE10hipError_tPvRmT0_T1_T2_T3_T4_T5_mmT6_P12ihipStream_tbEUlT_E0_NS1_11comp_targetILNS1_3genE0ELNS1_11target_archE4294967295ELNS1_3gpuE0ELNS1_3repE0EEENS1_30default_config_static_selectorELNS0_4arch9wavefront6targetE0EEEvS10_.num_named_barrier, 0
	.set _ZN7rocprim17ROCPRIM_400000_NS6detail17trampoline_kernelINS0_14default_configENS1_21merge_config_selectorINS0_5tupleIJxxEEENS0_10empty_typeEEEZNS1_10merge_implIS3_NS0_12zip_iteratorINS5_IJN6thrust23THRUST_200600_302600_NS6detail15normal_iteratorINSC_10device_ptrIKxEEEESI_EEEEESK_NSA_INS5_IJNSE_INSF_IxEEEESM_EEEEEPS7_SP_SP_NSC_11hip_rocprim7__merge17predicate_wrapperIxxNSC_4lessIxEEEEEE10hipError_tPvRmT0_T1_T2_T3_T4_T5_mmT6_P12ihipStream_tbEUlT_E0_NS1_11comp_targetILNS1_3genE0ELNS1_11target_archE4294967295ELNS1_3gpuE0ELNS1_3repE0EEENS1_30default_config_static_selectorELNS0_4arch9wavefront6targetE0EEEvS10_.private_seg_size, 0
	.set _ZN7rocprim17ROCPRIM_400000_NS6detail17trampoline_kernelINS0_14default_configENS1_21merge_config_selectorINS0_5tupleIJxxEEENS0_10empty_typeEEEZNS1_10merge_implIS3_NS0_12zip_iteratorINS5_IJN6thrust23THRUST_200600_302600_NS6detail15normal_iteratorINSC_10device_ptrIKxEEEESI_EEEEESK_NSA_INS5_IJNSE_INSF_IxEEEESM_EEEEEPS7_SP_SP_NSC_11hip_rocprim7__merge17predicate_wrapperIxxNSC_4lessIxEEEEEE10hipError_tPvRmT0_T1_T2_T3_T4_T5_mmT6_P12ihipStream_tbEUlT_E0_NS1_11comp_targetILNS1_3genE0ELNS1_11target_archE4294967295ELNS1_3gpuE0ELNS1_3repE0EEENS1_30default_config_static_selectorELNS0_4arch9wavefront6targetE0EEEvS10_.uses_vcc, 0
	.set _ZN7rocprim17ROCPRIM_400000_NS6detail17trampoline_kernelINS0_14default_configENS1_21merge_config_selectorINS0_5tupleIJxxEEENS0_10empty_typeEEEZNS1_10merge_implIS3_NS0_12zip_iteratorINS5_IJN6thrust23THRUST_200600_302600_NS6detail15normal_iteratorINSC_10device_ptrIKxEEEESI_EEEEESK_NSA_INS5_IJNSE_INSF_IxEEEESM_EEEEEPS7_SP_SP_NSC_11hip_rocprim7__merge17predicate_wrapperIxxNSC_4lessIxEEEEEE10hipError_tPvRmT0_T1_T2_T3_T4_T5_mmT6_P12ihipStream_tbEUlT_E0_NS1_11comp_targetILNS1_3genE0ELNS1_11target_archE4294967295ELNS1_3gpuE0ELNS1_3repE0EEENS1_30default_config_static_selectorELNS0_4arch9wavefront6targetE0EEEvS10_.uses_flat_scratch, 0
	.set _ZN7rocprim17ROCPRIM_400000_NS6detail17trampoline_kernelINS0_14default_configENS1_21merge_config_selectorINS0_5tupleIJxxEEENS0_10empty_typeEEEZNS1_10merge_implIS3_NS0_12zip_iteratorINS5_IJN6thrust23THRUST_200600_302600_NS6detail15normal_iteratorINSC_10device_ptrIKxEEEESI_EEEEESK_NSA_INS5_IJNSE_INSF_IxEEEESM_EEEEEPS7_SP_SP_NSC_11hip_rocprim7__merge17predicate_wrapperIxxNSC_4lessIxEEEEEE10hipError_tPvRmT0_T1_T2_T3_T4_T5_mmT6_P12ihipStream_tbEUlT_E0_NS1_11comp_targetILNS1_3genE0ELNS1_11target_archE4294967295ELNS1_3gpuE0ELNS1_3repE0EEENS1_30default_config_static_selectorELNS0_4arch9wavefront6targetE0EEEvS10_.has_dyn_sized_stack, 0
	.set _ZN7rocprim17ROCPRIM_400000_NS6detail17trampoline_kernelINS0_14default_configENS1_21merge_config_selectorINS0_5tupleIJxxEEENS0_10empty_typeEEEZNS1_10merge_implIS3_NS0_12zip_iteratorINS5_IJN6thrust23THRUST_200600_302600_NS6detail15normal_iteratorINSC_10device_ptrIKxEEEESI_EEEEESK_NSA_INS5_IJNSE_INSF_IxEEEESM_EEEEEPS7_SP_SP_NSC_11hip_rocprim7__merge17predicate_wrapperIxxNSC_4lessIxEEEEEE10hipError_tPvRmT0_T1_T2_T3_T4_T5_mmT6_P12ihipStream_tbEUlT_E0_NS1_11comp_targetILNS1_3genE0ELNS1_11target_archE4294967295ELNS1_3gpuE0ELNS1_3repE0EEENS1_30default_config_static_selectorELNS0_4arch9wavefront6targetE0EEEvS10_.has_recursion, 0
	.set _ZN7rocprim17ROCPRIM_400000_NS6detail17trampoline_kernelINS0_14default_configENS1_21merge_config_selectorINS0_5tupleIJxxEEENS0_10empty_typeEEEZNS1_10merge_implIS3_NS0_12zip_iteratorINS5_IJN6thrust23THRUST_200600_302600_NS6detail15normal_iteratorINSC_10device_ptrIKxEEEESI_EEEEESK_NSA_INS5_IJNSE_INSF_IxEEEESM_EEEEEPS7_SP_SP_NSC_11hip_rocprim7__merge17predicate_wrapperIxxNSC_4lessIxEEEEEE10hipError_tPvRmT0_T1_T2_T3_T4_T5_mmT6_P12ihipStream_tbEUlT_E0_NS1_11comp_targetILNS1_3genE0ELNS1_11target_archE4294967295ELNS1_3gpuE0ELNS1_3repE0EEENS1_30default_config_static_selectorELNS0_4arch9wavefront6targetE0EEEvS10_.has_indirect_call, 0
	.section	.AMDGPU.csdata,"",@progbits
; Kernel info:
; codeLenInByte = 0
; TotalNumSgprs: 0
; NumVgprs: 0
; ScratchSize: 0
; MemoryBound: 0
; FloatMode: 240
; IeeeMode: 1
; LDSByteSize: 0 bytes/workgroup (compile time only)
; SGPRBlocks: 0
; VGPRBlocks: 0
; NumSGPRsForWavesPerEU: 1
; NumVGPRsForWavesPerEU: 1
; Occupancy: 16
; WaveLimiterHint : 0
; COMPUTE_PGM_RSRC2:SCRATCH_EN: 0
; COMPUTE_PGM_RSRC2:USER_SGPR: 6
; COMPUTE_PGM_RSRC2:TRAP_HANDLER: 0
; COMPUTE_PGM_RSRC2:TGID_X_EN: 1
; COMPUTE_PGM_RSRC2:TGID_Y_EN: 0
; COMPUTE_PGM_RSRC2:TGID_Z_EN: 0
; COMPUTE_PGM_RSRC2:TIDIG_COMP_CNT: 0
	.section	.text._ZN7rocprim17ROCPRIM_400000_NS6detail17trampoline_kernelINS0_14default_configENS1_21merge_config_selectorINS0_5tupleIJxxEEENS0_10empty_typeEEEZNS1_10merge_implIS3_NS0_12zip_iteratorINS5_IJN6thrust23THRUST_200600_302600_NS6detail15normal_iteratorINSC_10device_ptrIKxEEEESI_EEEEESK_NSA_INS5_IJNSE_INSF_IxEEEESM_EEEEEPS7_SP_SP_NSC_11hip_rocprim7__merge17predicate_wrapperIxxNSC_4lessIxEEEEEE10hipError_tPvRmT0_T1_T2_T3_T4_T5_mmT6_P12ihipStream_tbEUlT_E0_NS1_11comp_targetILNS1_3genE5ELNS1_11target_archE942ELNS1_3gpuE9ELNS1_3repE0EEENS1_30default_config_static_selectorELNS0_4arch9wavefront6targetE0EEEvS10_,"axG",@progbits,_ZN7rocprim17ROCPRIM_400000_NS6detail17trampoline_kernelINS0_14default_configENS1_21merge_config_selectorINS0_5tupleIJxxEEENS0_10empty_typeEEEZNS1_10merge_implIS3_NS0_12zip_iteratorINS5_IJN6thrust23THRUST_200600_302600_NS6detail15normal_iteratorINSC_10device_ptrIKxEEEESI_EEEEESK_NSA_INS5_IJNSE_INSF_IxEEEESM_EEEEEPS7_SP_SP_NSC_11hip_rocprim7__merge17predicate_wrapperIxxNSC_4lessIxEEEEEE10hipError_tPvRmT0_T1_T2_T3_T4_T5_mmT6_P12ihipStream_tbEUlT_E0_NS1_11comp_targetILNS1_3genE5ELNS1_11target_archE942ELNS1_3gpuE9ELNS1_3repE0EEENS1_30default_config_static_selectorELNS0_4arch9wavefront6targetE0EEEvS10_,comdat
	.protected	_ZN7rocprim17ROCPRIM_400000_NS6detail17trampoline_kernelINS0_14default_configENS1_21merge_config_selectorINS0_5tupleIJxxEEENS0_10empty_typeEEEZNS1_10merge_implIS3_NS0_12zip_iteratorINS5_IJN6thrust23THRUST_200600_302600_NS6detail15normal_iteratorINSC_10device_ptrIKxEEEESI_EEEEESK_NSA_INS5_IJNSE_INSF_IxEEEESM_EEEEEPS7_SP_SP_NSC_11hip_rocprim7__merge17predicate_wrapperIxxNSC_4lessIxEEEEEE10hipError_tPvRmT0_T1_T2_T3_T4_T5_mmT6_P12ihipStream_tbEUlT_E0_NS1_11comp_targetILNS1_3genE5ELNS1_11target_archE942ELNS1_3gpuE9ELNS1_3repE0EEENS1_30default_config_static_selectorELNS0_4arch9wavefront6targetE0EEEvS10_ ; -- Begin function _ZN7rocprim17ROCPRIM_400000_NS6detail17trampoline_kernelINS0_14default_configENS1_21merge_config_selectorINS0_5tupleIJxxEEENS0_10empty_typeEEEZNS1_10merge_implIS3_NS0_12zip_iteratorINS5_IJN6thrust23THRUST_200600_302600_NS6detail15normal_iteratorINSC_10device_ptrIKxEEEESI_EEEEESK_NSA_INS5_IJNSE_INSF_IxEEEESM_EEEEEPS7_SP_SP_NSC_11hip_rocprim7__merge17predicate_wrapperIxxNSC_4lessIxEEEEEE10hipError_tPvRmT0_T1_T2_T3_T4_T5_mmT6_P12ihipStream_tbEUlT_E0_NS1_11comp_targetILNS1_3genE5ELNS1_11target_archE942ELNS1_3gpuE9ELNS1_3repE0EEENS1_30default_config_static_selectorELNS0_4arch9wavefront6targetE0EEEvS10_
	.globl	_ZN7rocprim17ROCPRIM_400000_NS6detail17trampoline_kernelINS0_14default_configENS1_21merge_config_selectorINS0_5tupleIJxxEEENS0_10empty_typeEEEZNS1_10merge_implIS3_NS0_12zip_iteratorINS5_IJN6thrust23THRUST_200600_302600_NS6detail15normal_iteratorINSC_10device_ptrIKxEEEESI_EEEEESK_NSA_INS5_IJNSE_INSF_IxEEEESM_EEEEEPS7_SP_SP_NSC_11hip_rocprim7__merge17predicate_wrapperIxxNSC_4lessIxEEEEEE10hipError_tPvRmT0_T1_T2_T3_T4_T5_mmT6_P12ihipStream_tbEUlT_E0_NS1_11comp_targetILNS1_3genE5ELNS1_11target_archE942ELNS1_3gpuE9ELNS1_3repE0EEENS1_30default_config_static_selectorELNS0_4arch9wavefront6targetE0EEEvS10_
	.p2align	8
	.type	_ZN7rocprim17ROCPRIM_400000_NS6detail17trampoline_kernelINS0_14default_configENS1_21merge_config_selectorINS0_5tupleIJxxEEENS0_10empty_typeEEEZNS1_10merge_implIS3_NS0_12zip_iteratorINS5_IJN6thrust23THRUST_200600_302600_NS6detail15normal_iteratorINSC_10device_ptrIKxEEEESI_EEEEESK_NSA_INS5_IJNSE_INSF_IxEEEESM_EEEEEPS7_SP_SP_NSC_11hip_rocprim7__merge17predicate_wrapperIxxNSC_4lessIxEEEEEE10hipError_tPvRmT0_T1_T2_T3_T4_T5_mmT6_P12ihipStream_tbEUlT_E0_NS1_11comp_targetILNS1_3genE5ELNS1_11target_archE942ELNS1_3gpuE9ELNS1_3repE0EEENS1_30default_config_static_selectorELNS0_4arch9wavefront6targetE0EEEvS10_,@function
_ZN7rocprim17ROCPRIM_400000_NS6detail17trampoline_kernelINS0_14default_configENS1_21merge_config_selectorINS0_5tupleIJxxEEENS0_10empty_typeEEEZNS1_10merge_implIS3_NS0_12zip_iteratorINS5_IJN6thrust23THRUST_200600_302600_NS6detail15normal_iteratorINSC_10device_ptrIKxEEEESI_EEEEESK_NSA_INS5_IJNSE_INSF_IxEEEESM_EEEEEPS7_SP_SP_NSC_11hip_rocprim7__merge17predicate_wrapperIxxNSC_4lessIxEEEEEE10hipError_tPvRmT0_T1_T2_T3_T4_T5_mmT6_P12ihipStream_tbEUlT_E0_NS1_11comp_targetILNS1_3genE5ELNS1_11target_archE942ELNS1_3gpuE9ELNS1_3repE0EEENS1_30default_config_static_selectorELNS0_4arch9wavefront6targetE0EEEvS10_: ; @_ZN7rocprim17ROCPRIM_400000_NS6detail17trampoline_kernelINS0_14default_configENS1_21merge_config_selectorINS0_5tupleIJxxEEENS0_10empty_typeEEEZNS1_10merge_implIS3_NS0_12zip_iteratorINS5_IJN6thrust23THRUST_200600_302600_NS6detail15normal_iteratorINSC_10device_ptrIKxEEEESI_EEEEESK_NSA_INS5_IJNSE_INSF_IxEEEESM_EEEEEPS7_SP_SP_NSC_11hip_rocprim7__merge17predicate_wrapperIxxNSC_4lessIxEEEEEE10hipError_tPvRmT0_T1_T2_T3_T4_T5_mmT6_P12ihipStream_tbEUlT_E0_NS1_11comp_targetILNS1_3genE5ELNS1_11target_archE942ELNS1_3gpuE9ELNS1_3repE0EEENS1_30default_config_static_selectorELNS0_4arch9wavefront6targetE0EEEvS10_
; %bb.0:
	.section	.rodata,"a",@progbits
	.p2align	6, 0x0
	.amdhsa_kernel _ZN7rocprim17ROCPRIM_400000_NS6detail17trampoline_kernelINS0_14default_configENS1_21merge_config_selectorINS0_5tupleIJxxEEENS0_10empty_typeEEEZNS1_10merge_implIS3_NS0_12zip_iteratorINS5_IJN6thrust23THRUST_200600_302600_NS6detail15normal_iteratorINSC_10device_ptrIKxEEEESI_EEEEESK_NSA_INS5_IJNSE_INSF_IxEEEESM_EEEEEPS7_SP_SP_NSC_11hip_rocprim7__merge17predicate_wrapperIxxNSC_4lessIxEEEEEE10hipError_tPvRmT0_T1_T2_T3_T4_T5_mmT6_P12ihipStream_tbEUlT_E0_NS1_11comp_targetILNS1_3genE5ELNS1_11target_archE942ELNS1_3gpuE9ELNS1_3repE0EEENS1_30default_config_static_selectorELNS0_4arch9wavefront6targetE0EEEvS10_
		.amdhsa_group_segment_fixed_size 0
		.amdhsa_private_segment_fixed_size 0
		.amdhsa_kernarg_size 112
		.amdhsa_user_sgpr_count 6
		.amdhsa_user_sgpr_private_segment_buffer 1
		.amdhsa_user_sgpr_dispatch_ptr 0
		.amdhsa_user_sgpr_queue_ptr 0
		.amdhsa_user_sgpr_kernarg_segment_ptr 1
		.amdhsa_user_sgpr_dispatch_id 0
		.amdhsa_user_sgpr_flat_scratch_init 0
		.amdhsa_user_sgpr_private_segment_size 0
		.amdhsa_wavefront_size32 1
		.amdhsa_uses_dynamic_stack 0
		.amdhsa_system_sgpr_private_segment_wavefront_offset 0
		.amdhsa_system_sgpr_workgroup_id_x 1
		.amdhsa_system_sgpr_workgroup_id_y 0
		.amdhsa_system_sgpr_workgroup_id_z 0
		.amdhsa_system_sgpr_workgroup_info 0
		.amdhsa_system_vgpr_workitem_id 0
		.amdhsa_next_free_vgpr 1
		.amdhsa_next_free_sgpr 1
		.amdhsa_reserve_vcc 0
		.amdhsa_reserve_flat_scratch 0
		.amdhsa_float_round_mode_32 0
		.amdhsa_float_round_mode_16_64 0
		.amdhsa_float_denorm_mode_32 3
		.amdhsa_float_denorm_mode_16_64 3
		.amdhsa_dx10_clamp 1
		.amdhsa_ieee_mode 1
		.amdhsa_fp16_overflow 0
		.amdhsa_workgroup_processor_mode 1
		.amdhsa_memory_ordered 1
		.amdhsa_forward_progress 1
		.amdhsa_shared_vgpr_count 0
		.amdhsa_exception_fp_ieee_invalid_op 0
		.amdhsa_exception_fp_denorm_src 0
		.amdhsa_exception_fp_ieee_div_zero 0
		.amdhsa_exception_fp_ieee_overflow 0
		.amdhsa_exception_fp_ieee_underflow 0
		.amdhsa_exception_fp_ieee_inexact 0
		.amdhsa_exception_int_div_zero 0
	.end_amdhsa_kernel
	.section	.text._ZN7rocprim17ROCPRIM_400000_NS6detail17trampoline_kernelINS0_14default_configENS1_21merge_config_selectorINS0_5tupleIJxxEEENS0_10empty_typeEEEZNS1_10merge_implIS3_NS0_12zip_iteratorINS5_IJN6thrust23THRUST_200600_302600_NS6detail15normal_iteratorINSC_10device_ptrIKxEEEESI_EEEEESK_NSA_INS5_IJNSE_INSF_IxEEEESM_EEEEEPS7_SP_SP_NSC_11hip_rocprim7__merge17predicate_wrapperIxxNSC_4lessIxEEEEEE10hipError_tPvRmT0_T1_T2_T3_T4_T5_mmT6_P12ihipStream_tbEUlT_E0_NS1_11comp_targetILNS1_3genE5ELNS1_11target_archE942ELNS1_3gpuE9ELNS1_3repE0EEENS1_30default_config_static_selectorELNS0_4arch9wavefront6targetE0EEEvS10_,"axG",@progbits,_ZN7rocprim17ROCPRIM_400000_NS6detail17trampoline_kernelINS0_14default_configENS1_21merge_config_selectorINS0_5tupleIJxxEEENS0_10empty_typeEEEZNS1_10merge_implIS3_NS0_12zip_iteratorINS5_IJN6thrust23THRUST_200600_302600_NS6detail15normal_iteratorINSC_10device_ptrIKxEEEESI_EEEEESK_NSA_INS5_IJNSE_INSF_IxEEEESM_EEEEEPS7_SP_SP_NSC_11hip_rocprim7__merge17predicate_wrapperIxxNSC_4lessIxEEEEEE10hipError_tPvRmT0_T1_T2_T3_T4_T5_mmT6_P12ihipStream_tbEUlT_E0_NS1_11comp_targetILNS1_3genE5ELNS1_11target_archE942ELNS1_3gpuE9ELNS1_3repE0EEENS1_30default_config_static_selectorELNS0_4arch9wavefront6targetE0EEEvS10_,comdat
.Lfunc_end217:
	.size	_ZN7rocprim17ROCPRIM_400000_NS6detail17trampoline_kernelINS0_14default_configENS1_21merge_config_selectorINS0_5tupleIJxxEEENS0_10empty_typeEEEZNS1_10merge_implIS3_NS0_12zip_iteratorINS5_IJN6thrust23THRUST_200600_302600_NS6detail15normal_iteratorINSC_10device_ptrIKxEEEESI_EEEEESK_NSA_INS5_IJNSE_INSF_IxEEEESM_EEEEEPS7_SP_SP_NSC_11hip_rocprim7__merge17predicate_wrapperIxxNSC_4lessIxEEEEEE10hipError_tPvRmT0_T1_T2_T3_T4_T5_mmT6_P12ihipStream_tbEUlT_E0_NS1_11comp_targetILNS1_3genE5ELNS1_11target_archE942ELNS1_3gpuE9ELNS1_3repE0EEENS1_30default_config_static_selectorELNS0_4arch9wavefront6targetE0EEEvS10_, .Lfunc_end217-_ZN7rocprim17ROCPRIM_400000_NS6detail17trampoline_kernelINS0_14default_configENS1_21merge_config_selectorINS0_5tupleIJxxEEENS0_10empty_typeEEEZNS1_10merge_implIS3_NS0_12zip_iteratorINS5_IJN6thrust23THRUST_200600_302600_NS6detail15normal_iteratorINSC_10device_ptrIKxEEEESI_EEEEESK_NSA_INS5_IJNSE_INSF_IxEEEESM_EEEEEPS7_SP_SP_NSC_11hip_rocprim7__merge17predicate_wrapperIxxNSC_4lessIxEEEEEE10hipError_tPvRmT0_T1_T2_T3_T4_T5_mmT6_P12ihipStream_tbEUlT_E0_NS1_11comp_targetILNS1_3genE5ELNS1_11target_archE942ELNS1_3gpuE9ELNS1_3repE0EEENS1_30default_config_static_selectorELNS0_4arch9wavefront6targetE0EEEvS10_
                                        ; -- End function
	.set _ZN7rocprim17ROCPRIM_400000_NS6detail17trampoline_kernelINS0_14default_configENS1_21merge_config_selectorINS0_5tupleIJxxEEENS0_10empty_typeEEEZNS1_10merge_implIS3_NS0_12zip_iteratorINS5_IJN6thrust23THRUST_200600_302600_NS6detail15normal_iteratorINSC_10device_ptrIKxEEEESI_EEEEESK_NSA_INS5_IJNSE_INSF_IxEEEESM_EEEEEPS7_SP_SP_NSC_11hip_rocprim7__merge17predicate_wrapperIxxNSC_4lessIxEEEEEE10hipError_tPvRmT0_T1_T2_T3_T4_T5_mmT6_P12ihipStream_tbEUlT_E0_NS1_11comp_targetILNS1_3genE5ELNS1_11target_archE942ELNS1_3gpuE9ELNS1_3repE0EEENS1_30default_config_static_selectorELNS0_4arch9wavefront6targetE0EEEvS10_.num_vgpr, 0
	.set _ZN7rocprim17ROCPRIM_400000_NS6detail17trampoline_kernelINS0_14default_configENS1_21merge_config_selectorINS0_5tupleIJxxEEENS0_10empty_typeEEEZNS1_10merge_implIS3_NS0_12zip_iteratorINS5_IJN6thrust23THRUST_200600_302600_NS6detail15normal_iteratorINSC_10device_ptrIKxEEEESI_EEEEESK_NSA_INS5_IJNSE_INSF_IxEEEESM_EEEEEPS7_SP_SP_NSC_11hip_rocprim7__merge17predicate_wrapperIxxNSC_4lessIxEEEEEE10hipError_tPvRmT0_T1_T2_T3_T4_T5_mmT6_P12ihipStream_tbEUlT_E0_NS1_11comp_targetILNS1_3genE5ELNS1_11target_archE942ELNS1_3gpuE9ELNS1_3repE0EEENS1_30default_config_static_selectorELNS0_4arch9wavefront6targetE0EEEvS10_.num_agpr, 0
	.set _ZN7rocprim17ROCPRIM_400000_NS6detail17trampoline_kernelINS0_14default_configENS1_21merge_config_selectorINS0_5tupleIJxxEEENS0_10empty_typeEEEZNS1_10merge_implIS3_NS0_12zip_iteratorINS5_IJN6thrust23THRUST_200600_302600_NS6detail15normal_iteratorINSC_10device_ptrIKxEEEESI_EEEEESK_NSA_INS5_IJNSE_INSF_IxEEEESM_EEEEEPS7_SP_SP_NSC_11hip_rocprim7__merge17predicate_wrapperIxxNSC_4lessIxEEEEEE10hipError_tPvRmT0_T1_T2_T3_T4_T5_mmT6_P12ihipStream_tbEUlT_E0_NS1_11comp_targetILNS1_3genE5ELNS1_11target_archE942ELNS1_3gpuE9ELNS1_3repE0EEENS1_30default_config_static_selectorELNS0_4arch9wavefront6targetE0EEEvS10_.numbered_sgpr, 0
	.set _ZN7rocprim17ROCPRIM_400000_NS6detail17trampoline_kernelINS0_14default_configENS1_21merge_config_selectorINS0_5tupleIJxxEEENS0_10empty_typeEEEZNS1_10merge_implIS3_NS0_12zip_iteratorINS5_IJN6thrust23THRUST_200600_302600_NS6detail15normal_iteratorINSC_10device_ptrIKxEEEESI_EEEEESK_NSA_INS5_IJNSE_INSF_IxEEEESM_EEEEEPS7_SP_SP_NSC_11hip_rocprim7__merge17predicate_wrapperIxxNSC_4lessIxEEEEEE10hipError_tPvRmT0_T1_T2_T3_T4_T5_mmT6_P12ihipStream_tbEUlT_E0_NS1_11comp_targetILNS1_3genE5ELNS1_11target_archE942ELNS1_3gpuE9ELNS1_3repE0EEENS1_30default_config_static_selectorELNS0_4arch9wavefront6targetE0EEEvS10_.num_named_barrier, 0
	.set _ZN7rocprim17ROCPRIM_400000_NS6detail17trampoline_kernelINS0_14default_configENS1_21merge_config_selectorINS0_5tupleIJxxEEENS0_10empty_typeEEEZNS1_10merge_implIS3_NS0_12zip_iteratorINS5_IJN6thrust23THRUST_200600_302600_NS6detail15normal_iteratorINSC_10device_ptrIKxEEEESI_EEEEESK_NSA_INS5_IJNSE_INSF_IxEEEESM_EEEEEPS7_SP_SP_NSC_11hip_rocprim7__merge17predicate_wrapperIxxNSC_4lessIxEEEEEE10hipError_tPvRmT0_T1_T2_T3_T4_T5_mmT6_P12ihipStream_tbEUlT_E0_NS1_11comp_targetILNS1_3genE5ELNS1_11target_archE942ELNS1_3gpuE9ELNS1_3repE0EEENS1_30default_config_static_selectorELNS0_4arch9wavefront6targetE0EEEvS10_.private_seg_size, 0
	.set _ZN7rocprim17ROCPRIM_400000_NS6detail17trampoline_kernelINS0_14default_configENS1_21merge_config_selectorINS0_5tupleIJxxEEENS0_10empty_typeEEEZNS1_10merge_implIS3_NS0_12zip_iteratorINS5_IJN6thrust23THRUST_200600_302600_NS6detail15normal_iteratorINSC_10device_ptrIKxEEEESI_EEEEESK_NSA_INS5_IJNSE_INSF_IxEEEESM_EEEEEPS7_SP_SP_NSC_11hip_rocprim7__merge17predicate_wrapperIxxNSC_4lessIxEEEEEE10hipError_tPvRmT0_T1_T2_T3_T4_T5_mmT6_P12ihipStream_tbEUlT_E0_NS1_11comp_targetILNS1_3genE5ELNS1_11target_archE942ELNS1_3gpuE9ELNS1_3repE0EEENS1_30default_config_static_selectorELNS0_4arch9wavefront6targetE0EEEvS10_.uses_vcc, 0
	.set _ZN7rocprim17ROCPRIM_400000_NS6detail17trampoline_kernelINS0_14default_configENS1_21merge_config_selectorINS0_5tupleIJxxEEENS0_10empty_typeEEEZNS1_10merge_implIS3_NS0_12zip_iteratorINS5_IJN6thrust23THRUST_200600_302600_NS6detail15normal_iteratorINSC_10device_ptrIKxEEEESI_EEEEESK_NSA_INS5_IJNSE_INSF_IxEEEESM_EEEEEPS7_SP_SP_NSC_11hip_rocprim7__merge17predicate_wrapperIxxNSC_4lessIxEEEEEE10hipError_tPvRmT0_T1_T2_T3_T4_T5_mmT6_P12ihipStream_tbEUlT_E0_NS1_11comp_targetILNS1_3genE5ELNS1_11target_archE942ELNS1_3gpuE9ELNS1_3repE0EEENS1_30default_config_static_selectorELNS0_4arch9wavefront6targetE0EEEvS10_.uses_flat_scratch, 0
	.set _ZN7rocprim17ROCPRIM_400000_NS6detail17trampoline_kernelINS0_14default_configENS1_21merge_config_selectorINS0_5tupleIJxxEEENS0_10empty_typeEEEZNS1_10merge_implIS3_NS0_12zip_iteratorINS5_IJN6thrust23THRUST_200600_302600_NS6detail15normal_iteratorINSC_10device_ptrIKxEEEESI_EEEEESK_NSA_INS5_IJNSE_INSF_IxEEEESM_EEEEEPS7_SP_SP_NSC_11hip_rocprim7__merge17predicate_wrapperIxxNSC_4lessIxEEEEEE10hipError_tPvRmT0_T1_T2_T3_T4_T5_mmT6_P12ihipStream_tbEUlT_E0_NS1_11comp_targetILNS1_3genE5ELNS1_11target_archE942ELNS1_3gpuE9ELNS1_3repE0EEENS1_30default_config_static_selectorELNS0_4arch9wavefront6targetE0EEEvS10_.has_dyn_sized_stack, 0
	.set _ZN7rocprim17ROCPRIM_400000_NS6detail17trampoline_kernelINS0_14default_configENS1_21merge_config_selectorINS0_5tupleIJxxEEENS0_10empty_typeEEEZNS1_10merge_implIS3_NS0_12zip_iteratorINS5_IJN6thrust23THRUST_200600_302600_NS6detail15normal_iteratorINSC_10device_ptrIKxEEEESI_EEEEESK_NSA_INS5_IJNSE_INSF_IxEEEESM_EEEEEPS7_SP_SP_NSC_11hip_rocprim7__merge17predicate_wrapperIxxNSC_4lessIxEEEEEE10hipError_tPvRmT0_T1_T2_T3_T4_T5_mmT6_P12ihipStream_tbEUlT_E0_NS1_11comp_targetILNS1_3genE5ELNS1_11target_archE942ELNS1_3gpuE9ELNS1_3repE0EEENS1_30default_config_static_selectorELNS0_4arch9wavefront6targetE0EEEvS10_.has_recursion, 0
	.set _ZN7rocprim17ROCPRIM_400000_NS6detail17trampoline_kernelINS0_14default_configENS1_21merge_config_selectorINS0_5tupleIJxxEEENS0_10empty_typeEEEZNS1_10merge_implIS3_NS0_12zip_iteratorINS5_IJN6thrust23THRUST_200600_302600_NS6detail15normal_iteratorINSC_10device_ptrIKxEEEESI_EEEEESK_NSA_INS5_IJNSE_INSF_IxEEEESM_EEEEEPS7_SP_SP_NSC_11hip_rocprim7__merge17predicate_wrapperIxxNSC_4lessIxEEEEEE10hipError_tPvRmT0_T1_T2_T3_T4_T5_mmT6_P12ihipStream_tbEUlT_E0_NS1_11comp_targetILNS1_3genE5ELNS1_11target_archE942ELNS1_3gpuE9ELNS1_3repE0EEENS1_30default_config_static_selectorELNS0_4arch9wavefront6targetE0EEEvS10_.has_indirect_call, 0
	.section	.AMDGPU.csdata,"",@progbits
; Kernel info:
; codeLenInByte = 0
; TotalNumSgprs: 0
; NumVgprs: 0
; ScratchSize: 0
; MemoryBound: 0
; FloatMode: 240
; IeeeMode: 1
; LDSByteSize: 0 bytes/workgroup (compile time only)
; SGPRBlocks: 0
; VGPRBlocks: 0
; NumSGPRsForWavesPerEU: 1
; NumVGPRsForWavesPerEU: 1
; Occupancy: 16
; WaveLimiterHint : 0
; COMPUTE_PGM_RSRC2:SCRATCH_EN: 0
; COMPUTE_PGM_RSRC2:USER_SGPR: 6
; COMPUTE_PGM_RSRC2:TRAP_HANDLER: 0
; COMPUTE_PGM_RSRC2:TGID_X_EN: 1
; COMPUTE_PGM_RSRC2:TGID_Y_EN: 0
; COMPUTE_PGM_RSRC2:TGID_Z_EN: 0
; COMPUTE_PGM_RSRC2:TIDIG_COMP_CNT: 0
	.section	.text._ZN7rocprim17ROCPRIM_400000_NS6detail17trampoline_kernelINS0_14default_configENS1_21merge_config_selectorINS0_5tupleIJxxEEENS0_10empty_typeEEEZNS1_10merge_implIS3_NS0_12zip_iteratorINS5_IJN6thrust23THRUST_200600_302600_NS6detail15normal_iteratorINSC_10device_ptrIKxEEEESI_EEEEESK_NSA_INS5_IJNSE_INSF_IxEEEESM_EEEEEPS7_SP_SP_NSC_11hip_rocprim7__merge17predicate_wrapperIxxNSC_4lessIxEEEEEE10hipError_tPvRmT0_T1_T2_T3_T4_T5_mmT6_P12ihipStream_tbEUlT_E0_NS1_11comp_targetILNS1_3genE4ELNS1_11target_archE910ELNS1_3gpuE8ELNS1_3repE0EEENS1_30default_config_static_selectorELNS0_4arch9wavefront6targetE0EEEvS10_,"axG",@progbits,_ZN7rocprim17ROCPRIM_400000_NS6detail17trampoline_kernelINS0_14default_configENS1_21merge_config_selectorINS0_5tupleIJxxEEENS0_10empty_typeEEEZNS1_10merge_implIS3_NS0_12zip_iteratorINS5_IJN6thrust23THRUST_200600_302600_NS6detail15normal_iteratorINSC_10device_ptrIKxEEEESI_EEEEESK_NSA_INS5_IJNSE_INSF_IxEEEESM_EEEEEPS7_SP_SP_NSC_11hip_rocprim7__merge17predicate_wrapperIxxNSC_4lessIxEEEEEE10hipError_tPvRmT0_T1_T2_T3_T4_T5_mmT6_P12ihipStream_tbEUlT_E0_NS1_11comp_targetILNS1_3genE4ELNS1_11target_archE910ELNS1_3gpuE8ELNS1_3repE0EEENS1_30default_config_static_selectorELNS0_4arch9wavefront6targetE0EEEvS10_,comdat
	.protected	_ZN7rocprim17ROCPRIM_400000_NS6detail17trampoline_kernelINS0_14default_configENS1_21merge_config_selectorINS0_5tupleIJxxEEENS0_10empty_typeEEEZNS1_10merge_implIS3_NS0_12zip_iteratorINS5_IJN6thrust23THRUST_200600_302600_NS6detail15normal_iteratorINSC_10device_ptrIKxEEEESI_EEEEESK_NSA_INS5_IJNSE_INSF_IxEEEESM_EEEEEPS7_SP_SP_NSC_11hip_rocprim7__merge17predicate_wrapperIxxNSC_4lessIxEEEEEE10hipError_tPvRmT0_T1_T2_T3_T4_T5_mmT6_P12ihipStream_tbEUlT_E0_NS1_11comp_targetILNS1_3genE4ELNS1_11target_archE910ELNS1_3gpuE8ELNS1_3repE0EEENS1_30default_config_static_selectorELNS0_4arch9wavefront6targetE0EEEvS10_ ; -- Begin function _ZN7rocprim17ROCPRIM_400000_NS6detail17trampoline_kernelINS0_14default_configENS1_21merge_config_selectorINS0_5tupleIJxxEEENS0_10empty_typeEEEZNS1_10merge_implIS3_NS0_12zip_iteratorINS5_IJN6thrust23THRUST_200600_302600_NS6detail15normal_iteratorINSC_10device_ptrIKxEEEESI_EEEEESK_NSA_INS5_IJNSE_INSF_IxEEEESM_EEEEEPS7_SP_SP_NSC_11hip_rocprim7__merge17predicate_wrapperIxxNSC_4lessIxEEEEEE10hipError_tPvRmT0_T1_T2_T3_T4_T5_mmT6_P12ihipStream_tbEUlT_E0_NS1_11comp_targetILNS1_3genE4ELNS1_11target_archE910ELNS1_3gpuE8ELNS1_3repE0EEENS1_30default_config_static_selectorELNS0_4arch9wavefront6targetE0EEEvS10_
	.globl	_ZN7rocprim17ROCPRIM_400000_NS6detail17trampoline_kernelINS0_14default_configENS1_21merge_config_selectorINS0_5tupleIJxxEEENS0_10empty_typeEEEZNS1_10merge_implIS3_NS0_12zip_iteratorINS5_IJN6thrust23THRUST_200600_302600_NS6detail15normal_iteratorINSC_10device_ptrIKxEEEESI_EEEEESK_NSA_INS5_IJNSE_INSF_IxEEEESM_EEEEEPS7_SP_SP_NSC_11hip_rocprim7__merge17predicate_wrapperIxxNSC_4lessIxEEEEEE10hipError_tPvRmT0_T1_T2_T3_T4_T5_mmT6_P12ihipStream_tbEUlT_E0_NS1_11comp_targetILNS1_3genE4ELNS1_11target_archE910ELNS1_3gpuE8ELNS1_3repE0EEENS1_30default_config_static_selectorELNS0_4arch9wavefront6targetE0EEEvS10_
	.p2align	8
	.type	_ZN7rocprim17ROCPRIM_400000_NS6detail17trampoline_kernelINS0_14default_configENS1_21merge_config_selectorINS0_5tupleIJxxEEENS0_10empty_typeEEEZNS1_10merge_implIS3_NS0_12zip_iteratorINS5_IJN6thrust23THRUST_200600_302600_NS6detail15normal_iteratorINSC_10device_ptrIKxEEEESI_EEEEESK_NSA_INS5_IJNSE_INSF_IxEEEESM_EEEEEPS7_SP_SP_NSC_11hip_rocprim7__merge17predicate_wrapperIxxNSC_4lessIxEEEEEE10hipError_tPvRmT0_T1_T2_T3_T4_T5_mmT6_P12ihipStream_tbEUlT_E0_NS1_11comp_targetILNS1_3genE4ELNS1_11target_archE910ELNS1_3gpuE8ELNS1_3repE0EEENS1_30default_config_static_selectorELNS0_4arch9wavefront6targetE0EEEvS10_,@function
_ZN7rocprim17ROCPRIM_400000_NS6detail17trampoline_kernelINS0_14default_configENS1_21merge_config_selectorINS0_5tupleIJxxEEENS0_10empty_typeEEEZNS1_10merge_implIS3_NS0_12zip_iteratorINS5_IJN6thrust23THRUST_200600_302600_NS6detail15normal_iteratorINSC_10device_ptrIKxEEEESI_EEEEESK_NSA_INS5_IJNSE_INSF_IxEEEESM_EEEEEPS7_SP_SP_NSC_11hip_rocprim7__merge17predicate_wrapperIxxNSC_4lessIxEEEEEE10hipError_tPvRmT0_T1_T2_T3_T4_T5_mmT6_P12ihipStream_tbEUlT_E0_NS1_11comp_targetILNS1_3genE4ELNS1_11target_archE910ELNS1_3gpuE8ELNS1_3repE0EEENS1_30default_config_static_selectorELNS0_4arch9wavefront6targetE0EEEvS10_: ; @_ZN7rocprim17ROCPRIM_400000_NS6detail17trampoline_kernelINS0_14default_configENS1_21merge_config_selectorINS0_5tupleIJxxEEENS0_10empty_typeEEEZNS1_10merge_implIS3_NS0_12zip_iteratorINS5_IJN6thrust23THRUST_200600_302600_NS6detail15normal_iteratorINSC_10device_ptrIKxEEEESI_EEEEESK_NSA_INS5_IJNSE_INSF_IxEEEESM_EEEEEPS7_SP_SP_NSC_11hip_rocprim7__merge17predicate_wrapperIxxNSC_4lessIxEEEEEE10hipError_tPvRmT0_T1_T2_T3_T4_T5_mmT6_P12ihipStream_tbEUlT_E0_NS1_11comp_targetILNS1_3genE4ELNS1_11target_archE910ELNS1_3gpuE8ELNS1_3repE0EEENS1_30default_config_static_selectorELNS0_4arch9wavefront6targetE0EEEvS10_
; %bb.0:
	.section	.rodata,"a",@progbits
	.p2align	6, 0x0
	.amdhsa_kernel _ZN7rocprim17ROCPRIM_400000_NS6detail17trampoline_kernelINS0_14default_configENS1_21merge_config_selectorINS0_5tupleIJxxEEENS0_10empty_typeEEEZNS1_10merge_implIS3_NS0_12zip_iteratorINS5_IJN6thrust23THRUST_200600_302600_NS6detail15normal_iteratorINSC_10device_ptrIKxEEEESI_EEEEESK_NSA_INS5_IJNSE_INSF_IxEEEESM_EEEEEPS7_SP_SP_NSC_11hip_rocprim7__merge17predicate_wrapperIxxNSC_4lessIxEEEEEE10hipError_tPvRmT0_T1_T2_T3_T4_T5_mmT6_P12ihipStream_tbEUlT_E0_NS1_11comp_targetILNS1_3genE4ELNS1_11target_archE910ELNS1_3gpuE8ELNS1_3repE0EEENS1_30default_config_static_selectorELNS0_4arch9wavefront6targetE0EEEvS10_
		.amdhsa_group_segment_fixed_size 0
		.amdhsa_private_segment_fixed_size 0
		.amdhsa_kernarg_size 112
		.amdhsa_user_sgpr_count 6
		.amdhsa_user_sgpr_private_segment_buffer 1
		.amdhsa_user_sgpr_dispatch_ptr 0
		.amdhsa_user_sgpr_queue_ptr 0
		.amdhsa_user_sgpr_kernarg_segment_ptr 1
		.amdhsa_user_sgpr_dispatch_id 0
		.amdhsa_user_sgpr_flat_scratch_init 0
		.amdhsa_user_sgpr_private_segment_size 0
		.amdhsa_wavefront_size32 1
		.amdhsa_uses_dynamic_stack 0
		.amdhsa_system_sgpr_private_segment_wavefront_offset 0
		.amdhsa_system_sgpr_workgroup_id_x 1
		.amdhsa_system_sgpr_workgroup_id_y 0
		.amdhsa_system_sgpr_workgroup_id_z 0
		.amdhsa_system_sgpr_workgroup_info 0
		.amdhsa_system_vgpr_workitem_id 0
		.amdhsa_next_free_vgpr 1
		.amdhsa_next_free_sgpr 1
		.amdhsa_reserve_vcc 0
		.amdhsa_reserve_flat_scratch 0
		.amdhsa_float_round_mode_32 0
		.amdhsa_float_round_mode_16_64 0
		.amdhsa_float_denorm_mode_32 3
		.amdhsa_float_denorm_mode_16_64 3
		.amdhsa_dx10_clamp 1
		.amdhsa_ieee_mode 1
		.amdhsa_fp16_overflow 0
		.amdhsa_workgroup_processor_mode 1
		.amdhsa_memory_ordered 1
		.amdhsa_forward_progress 1
		.amdhsa_shared_vgpr_count 0
		.amdhsa_exception_fp_ieee_invalid_op 0
		.amdhsa_exception_fp_denorm_src 0
		.amdhsa_exception_fp_ieee_div_zero 0
		.amdhsa_exception_fp_ieee_overflow 0
		.amdhsa_exception_fp_ieee_underflow 0
		.amdhsa_exception_fp_ieee_inexact 0
		.amdhsa_exception_int_div_zero 0
	.end_amdhsa_kernel
	.section	.text._ZN7rocprim17ROCPRIM_400000_NS6detail17trampoline_kernelINS0_14default_configENS1_21merge_config_selectorINS0_5tupleIJxxEEENS0_10empty_typeEEEZNS1_10merge_implIS3_NS0_12zip_iteratorINS5_IJN6thrust23THRUST_200600_302600_NS6detail15normal_iteratorINSC_10device_ptrIKxEEEESI_EEEEESK_NSA_INS5_IJNSE_INSF_IxEEEESM_EEEEEPS7_SP_SP_NSC_11hip_rocprim7__merge17predicate_wrapperIxxNSC_4lessIxEEEEEE10hipError_tPvRmT0_T1_T2_T3_T4_T5_mmT6_P12ihipStream_tbEUlT_E0_NS1_11comp_targetILNS1_3genE4ELNS1_11target_archE910ELNS1_3gpuE8ELNS1_3repE0EEENS1_30default_config_static_selectorELNS0_4arch9wavefront6targetE0EEEvS10_,"axG",@progbits,_ZN7rocprim17ROCPRIM_400000_NS6detail17trampoline_kernelINS0_14default_configENS1_21merge_config_selectorINS0_5tupleIJxxEEENS0_10empty_typeEEEZNS1_10merge_implIS3_NS0_12zip_iteratorINS5_IJN6thrust23THRUST_200600_302600_NS6detail15normal_iteratorINSC_10device_ptrIKxEEEESI_EEEEESK_NSA_INS5_IJNSE_INSF_IxEEEESM_EEEEEPS7_SP_SP_NSC_11hip_rocprim7__merge17predicate_wrapperIxxNSC_4lessIxEEEEEE10hipError_tPvRmT0_T1_T2_T3_T4_T5_mmT6_P12ihipStream_tbEUlT_E0_NS1_11comp_targetILNS1_3genE4ELNS1_11target_archE910ELNS1_3gpuE8ELNS1_3repE0EEENS1_30default_config_static_selectorELNS0_4arch9wavefront6targetE0EEEvS10_,comdat
.Lfunc_end218:
	.size	_ZN7rocprim17ROCPRIM_400000_NS6detail17trampoline_kernelINS0_14default_configENS1_21merge_config_selectorINS0_5tupleIJxxEEENS0_10empty_typeEEEZNS1_10merge_implIS3_NS0_12zip_iteratorINS5_IJN6thrust23THRUST_200600_302600_NS6detail15normal_iteratorINSC_10device_ptrIKxEEEESI_EEEEESK_NSA_INS5_IJNSE_INSF_IxEEEESM_EEEEEPS7_SP_SP_NSC_11hip_rocprim7__merge17predicate_wrapperIxxNSC_4lessIxEEEEEE10hipError_tPvRmT0_T1_T2_T3_T4_T5_mmT6_P12ihipStream_tbEUlT_E0_NS1_11comp_targetILNS1_3genE4ELNS1_11target_archE910ELNS1_3gpuE8ELNS1_3repE0EEENS1_30default_config_static_selectorELNS0_4arch9wavefront6targetE0EEEvS10_, .Lfunc_end218-_ZN7rocprim17ROCPRIM_400000_NS6detail17trampoline_kernelINS0_14default_configENS1_21merge_config_selectorINS0_5tupleIJxxEEENS0_10empty_typeEEEZNS1_10merge_implIS3_NS0_12zip_iteratorINS5_IJN6thrust23THRUST_200600_302600_NS6detail15normal_iteratorINSC_10device_ptrIKxEEEESI_EEEEESK_NSA_INS5_IJNSE_INSF_IxEEEESM_EEEEEPS7_SP_SP_NSC_11hip_rocprim7__merge17predicate_wrapperIxxNSC_4lessIxEEEEEE10hipError_tPvRmT0_T1_T2_T3_T4_T5_mmT6_P12ihipStream_tbEUlT_E0_NS1_11comp_targetILNS1_3genE4ELNS1_11target_archE910ELNS1_3gpuE8ELNS1_3repE0EEENS1_30default_config_static_selectorELNS0_4arch9wavefront6targetE0EEEvS10_
                                        ; -- End function
	.set _ZN7rocprim17ROCPRIM_400000_NS6detail17trampoline_kernelINS0_14default_configENS1_21merge_config_selectorINS0_5tupleIJxxEEENS0_10empty_typeEEEZNS1_10merge_implIS3_NS0_12zip_iteratorINS5_IJN6thrust23THRUST_200600_302600_NS6detail15normal_iteratorINSC_10device_ptrIKxEEEESI_EEEEESK_NSA_INS5_IJNSE_INSF_IxEEEESM_EEEEEPS7_SP_SP_NSC_11hip_rocprim7__merge17predicate_wrapperIxxNSC_4lessIxEEEEEE10hipError_tPvRmT0_T1_T2_T3_T4_T5_mmT6_P12ihipStream_tbEUlT_E0_NS1_11comp_targetILNS1_3genE4ELNS1_11target_archE910ELNS1_3gpuE8ELNS1_3repE0EEENS1_30default_config_static_selectorELNS0_4arch9wavefront6targetE0EEEvS10_.num_vgpr, 0
	.set _ZN7rocprim17ROCPRIM_400000_NS6detail17trampoline_kernelINS0_14default_configENS1_21merge_config_selectorINS0_5tupleIJxxEEENS0_10empty_typeEEEZNS1_10merge_implIS3_NS0_12zip_iteratorINS5_IJN6thrust23THRUST_200600_302600_NS6detail15normal_iteratorINSC_10device_ptrIKxEEEESI_EEEEESK_NSA_INS5_IJNSE_INSF_IxEEEESM_EEEEEPS7_SP_SP_NSC_11hip_rocprim7__merge17predicate_wrapperIxxNSC_4lessIxEEEEEE10hipError_tPvRmT0_T1_T2_T3_T4_T5_mmT6_P12ihipStream_tbEUlT_E0_NS1_11comp_targetILNS1_3genE4ELNS1_11target_archE910ELNS1_3gpuE8ELNS1_3repE0EEENS1_30default_config_static_selectorELNS0_4arch9wavefront6targetE0EEEvS10_.num_agpr, 0
	.set _ZN7rocprim17ROCPRIM_400000_NS6detail17trampoline_kernelINS0_14default_configENS1_21merge_config_selectorINS0_5tupleIJxxEEENS0_10empty_typeEEEZNS1_10merge_implIS3_NS0_12zip_iteratorINS5_IJN6thrust23THRUST_200600_302600_NS6detail15normal_iteratorINSC_10device_ptrIKxEEEESI_EEEEESK_NSA_INS5_IJNSE_INSF_IxEEEESM_EEEEEPS7_SP_SP_NSC_11hip_rocprim7__merge17predicate_wrapperIxxNSC_4lessIxEEEEEE10hipError_tPvRmT0_T1_T2_T3_T4_T5_mmT6_P12ihipStream_tbEUlT_E0_NS1_11comp_targetILNS1_3genE4ELNS1_11target_archE910ELNS1_3gpuE8ELNS1_3repE0EEENS1_30default_config_static_selectorELNS0_4arch9wavefront6targetE0EEEvS10_.numbered_sgpr, 0
	.set _ZN7rocprim17ROCPRIM_400000_NS6detail17trampoline_kernelINS0_14default_configENS1_21merge_config_selectorINS0_5tupleIJxxEEENS0_10empty_typeEEEZNS1_10merge_implIS3_NS0_12zip_iteratorINS5_IJN6thrust23THRUST_200600_302600_NS6detail15normal_iteratorINSC_10device_ptrIKxEEEESI_EEEEESK_NSA_INS5_IJNSE_INSF_IxEEEESM_EEEEEPS7_SP_SP_NSC_11hip_rocprim7__merge17predicate_wrapperIxxNSC_4lessIxEEEEEE10hipError_tPvRmT0_T1_T2_T3_T4_T5_mmT6_P12ihipStream_tbEUlT_E0_NS1_11comp_targetILNS1_3genE4ELNS1_11target_archE910ELNS1_3gpuE8ELNS1_3repE0EEENS1_30default_config_static_selectorELNS0_4arch9wavefront6targetE0EEEvS10_.num_named_barrier, 0
	.set _ZN7rocprim17ROCPRIM_400000_NS6detail17trampoline_kernelINS0_14default_configENS1_21merge_config_selectorINS0_5tupleIJxxEEENS0_10empty_typeEEEZNS1_10merge_implIS3_NS0_12zip_iteratorINS5_IJN6thrust23THRUST_200600_302600_NS6detail15normal_iteratorINSC_10device_ptrIKxEEEESI_EEEEESK_NSA_INS5_IJNSE_INSF_IxEEEESM_EEEEEPS7_SP_SP_NSC_11hip_rocprim7__merge17predicate_wrapperIxxNSC_4lessIxEEEEEE10hipError_tPvRmT0_T1_T2_T3_T4_T5_mmT6_P12ihipStream_tbEUlT_E0_NS1_11comp_targetILNS1_3genE4ELNS1_11target_archE910ELNS1_3gpuE8ELNS1_3repE0EEENS1_30default_config_static_selectorELNS0_4arch9wavefront6targetE0EEEvS10_.private_seg_size, 0
	.set _ZN7rocprim17ROCPRIM_400000_NS6detail17trampoline_kernelINS0_14default_configENS1_21merge_config_selectorINS0_5tupleIJxxEEENS0_10empty_typeEEEZNS1_10merge_implIS3_NS0_12zip_iteratorINS5_IJN6thrust23THRUST_200600_302600_NS6detail15normal_iteratorINSC_10device_ptrIKxEEEESI_EEEEESK_NSA_INS5_IJNSE_INSF_IxEEEESM_EEEEEPS7_SP_SP_NSC_11hip_rocprim7__merge17predicate_wrapperIxxNSC_4lessIxEEEEEE10hipError_tPvRmT0_T1_T2_T3_T4_T5_mmT6_P12ihipStream_tbEUlT_E0_NS1_11comp_targetILNS1_3genE4ELNS1_11target_archE910ELNS1_3gpuE8ELNS1_3repE0EEENS1_30default_config_static_selectorELNS0_4arch9wavefront6targetE0EEEvS10_.uses_vcc, 0
	.set _ZN7rocprim17ROCPRIM_400000_NS6detail17trampoline_kernelINS0_14default_configENS1_21merge_config_selectorINS0_5tupleIJxxEEENS0_10empty_typeEEEZNS1_10merge_implIS3_NS0_12zip_iteratorINS5_IJN6thrust23THRUST_200600_302600_NS6detail15normal_iteratorINSC_10device_ptrIKxEEEESI_EEEEESK_NSA_INS5_IJNSE_INSF_IxEEEESM_EEEEEPS7_SP_SP_NSC_11hip_rocprim7__merge17predicate_wrapperIxxNSC_4lessIxEEEEEE10hipError_tPvRmT0_T1_T2_T3_T4_T5_mmT6_P12ihipStream_tbEUlT_E0_NS1_11comp_targetILNS1_3genE4ELNS1_11target_archE910ELNS1_3gpuE8ELNS1_3repE0EEENS1_30default_config_static_selectorELNS0_4arch9wavefront6targetE0EEEvS10_.uses_flat_scratch, 0
	.set _ZN7rocprim17ROCPRIM_400000_NS6detail17trampoline_kernelINS0_14default_configENS1_21merge_config_selectorINS0_5tupleIJxxEEENS0_10empty_typeEEEZNS1_10merge_implIS3_NS0_12zip_iteratorINS5_IJN6thrust23THRUST_200600_302600_NS6detail15normal_iteratorINSC_10device_ptrIKxEEEESI_EEEEESK_NSA_INS5_IJNSE_INSF_IxEEEESM_EEEEEPS7_SP_SP_NSC_11hip_rocprim7__merge17predicate_wrapperIxxNSC_4lessIxEEEEEE10hipError_tPvRmT0_T1_T2_T3_T4_T5_mmT6_P12ihipStream_tbEUlT_E0_NS1_11comp_targetILNS1_3genE4ELNS1_11target_archE910ELNS1_3gpuE8ELNS1_3repE0EEENS1_30default_config_static_selectorELNS0_4arch9wavefront6targetE0EEEvS10_.has_dyn_sized_stack, 0
	.set _ZN7rocprim17ROCPRIM_400000_NS6detail17trampoline_kernelINS0_14default_configENS1_21merge_config_selectorINS0_5tupleIJxxEEENS0_10empty_typeEEEZNS1_10merge_implIS3_NS0_12zip_iteratorINS5_IJN6thrust23THRUST_200600_302600_NS6detail15normal_iteratorINSC_10device_ptrIKxEEEESI_EEEEESK_NSA_INS5_IJNSE_INSF_IxEEEESM_EEEEEPS7_SP_SP_NSC_11hip_rocprim7__merge17predicate_wrapperIxxNSC_4lessIxEEEEEE10hipError_tPvRmT0_T1_T2_T3_T4_T5_mmT6_P12ihipStream_tbEUlT_E0_NS1_11comp_targetILNS1_3genE4ELNS1_11target_archE910ELNS1_3gpuE8ELNS1_3repE0EEENS1_30default_config_static_selectorELNS0_4arch9wavefront6targetE0EEEvS10_.has_recursion, 0
	.set _ZN7rocprim17ROCPRIM_400000_NS6detail17trampoline_kernelINS0_14default_configENS1_21merge_config_selectorINS0_5tupleIJxxEEENS0_10empty_typeEEEZNS1_10merge_implIS3_NS0_12zip_iteratorINS5_IJN6thrust23THRUST_200600_302600_NS6detail15normal_iteratorINSC_10device_ptrIKxEEEESI_EEEEESK_NSA_INS5_IJNSE_INSF_IxEEEESM_EEEEEPS7_SP_SP_NSC_11hip_rocprim7__merge17predicate_wrapperIxxNSC_4lessIxEEEEEE10hipError_tPvRmT0_T1_T2_T3_T4_T5_mmT6_P12ihipStream_tbEUlT_E0_NS1_11comp_targetILNS1_3genE4ELNS1_11target_archE910ELNS1_3gpuE8ELNS1_3repE0EEENS1_30default_config_static_selectorELNS0_4arch9wavefront6targetE0EEEvS10_.has_indirect_call, 0
	.section	.AMDGPU.csdata,"",@progbits
; Kernel info:
; codeLenInByte = 0
; TotalNumSgprs: 0
; NumVgprs: 0
; ScratchSize: 0
; MemoryBound: 0
; FloatMode: 240
; IeeeMode: 1
; LDSByteSize: 0 bytes/workgroup (compile time only)
; SGPRBlocks: 0
; VGPRBlocks: 0
; NumSGPRsForWavesPerEU: 1
; NumVGPRsForWavesPerEU: 1
; Occupancy: 16
; WaveLimiterHint : 0
; COMPUTE_PGM_RSRC2:SCRATCH_EN: 0
; COMPUTE_PGM_RSRC2:USER_SGPR: 6
; COMPUTE_PGM_RSRC2:TRAP_HANDLER: 0
; COMPUTE_PGM_RSRC2:TGID_X_EN: 1
; COMPUTE_PGM_RSRC2:TGID_Y_EN: 0
; COMPUTE_PGM_RSRC2:TGID_Z_EN: 0
; COMPUTE_PGM_RSRC2:TIDIG_COMP_CNT: 0
	.section	.text._ZN7rocprim17ROCPRIM_400000_NS6detail17trampoline_kernelINS0_14default_configENS1_21merge_config_selectorINS0_5tupleIJxxEEENS0_10empty_typeEEEZNS1_10merge_implIS3_NS0_12zip_iteratorINS5_IJN6thrust23THRUST_200600_302600_NS6detail15normal_iteratorINSC_10device_ptrIKxEEEESI_EEEEESK_NSA_INS5_IJNSE_INSF_IxEEEESM_EEEEEPS7_SP_SP_NSC_11hip_rocprim7__merge17predicate_wrapperIxxNSC_4lessIxEEEEEE10hipError_tPvRmT0_T1_T2_T3_T4_T5_mmT6_P12ihipStream_tbEUlT_E0_NS1_11comp_targetILNS1_3genE3ELNS1_11target_archE908ELNS1_3gpuE7ELNS1_3repE0EEENS1_30default_config_static_selectorELNS0_4arch9wavefront6targetE0EEEvS10_,"axG",@progbits,_ZN7rocprim17ROCPRIM_400000_NS6detail17trampoline_kernelINS0_14default_configENS1_21merge_config_selectorINS0_5tupleIJxxEEENS0_10empty_typeEEEZNS1_10merge_implIS3_NS0_12zip_iteratorINS5_IJN6thrust23THRUST_200600_302600_NS6detail15normal_iteratorINSC_10device_ptrIKxEEEESI_EEEEESK_NSA_INS5_IJNSE_INSF_IxEEEESM_EEEEEPS7_SP_SP_NSC_11hip_rocprim7__merge17predicate_wrapperIxxNSC_4lessIxEEEEEE10hipError_tPvRmT0_T1_T2_T3_T4_T5_mmT6_P12ihipStream_tbEUlT_E0_NS1_11comp_targetILNS1_3genE3ELNS1_11target_archE908ELNS1_3gpuE7ELNS1_3repE0EEENS1_30default_config_static_selectorELNS0_4arch9wavefront6targetE0EEEvS10_,comdat
	.protected	_ZN7rocprim17ROCPRIM_400000_NS6detail17trampoline_kernelINS0_14default_configENS1_21merge_config_selectorINS0_5tupleIJxxEEENS0_10empty_typeEEEZNS1_10merge_implIS3_NS0_12zip_iteratorINS5_IJN6thrust23THRUST_200600_302600_NS6detail15normal_iteratorINSC_10device_ptrIKxEEEESI_EEEEESK_NSA_INS5_IJNSE_INSF_IxEEEESM_EEEEEPS7_SP_SP_NSC_11hip_rocprim7__merge17predicate_wrapperIxxNSC_4lessIxEEEEEE10hipError_tPvRmT0_T1_T2_T3_T4_T5_mmT6_P12ihipStream_tbEUlT_E0_NS1_11comp_targetILNS1_3genE3ELNS1_11target_archE908ELNS1_3gpuE7ELNS1_3repE0EEENS1_30default_config_static_selectorELNS0_4arch9wavefront6targetE0EEEvS10_ ; -- Begin function _ZN7rocprim17ROCPRIM_400000_NS6detail17trampoline_kernelINS0_14default_configENS1_21merge_config_selectorINS0_5tupleIJxxEEENS0_10empty_typeEEEZNS1_10merge_implIS3_NS0_12zip_iteratorINS5_IJN6thrust23THRUST_200600_302600_NS6detail15normal_iteratorINSC_10device_ptrIKxEEEESI_EEEEESK_NSA_INS5_IJNSE_INSF_IxEEEESM_EEEEEPS7_SP_SP_NSC_11hip_rocprim7__merge17predicate_wrapperIxxNSC_4lessIxEEEEEE10hipError_tPvRmT0_T1_T2_T3_T4_T5_mmT6_P12ihipStream_tbEUlT_E0_NS1_11comp_targetILNS1_3genE3ELNS1_11target_archE908ELNS1_3gpuE7ELNS1_3repE0EEENS1_30default_config_static_selectorELNS0_4arch9wavefront6targetE0EEEvS10_
	.globl	_ZN7rocprim17ROCPRIM_400000_NS6detail17trampoline_kernelINS0_14default_configENS1_21merge_config_selectorINS0_5tupleIJxxEEENS0_10empty_typeEEEZNS1_10merge_implIS3_NS0_12zip_iteratorINS5_IJN6thrust23THRUST_200600_302600_NS6detail15normal_iteratorINSC_10device_ptrIKxEEEESI_EEEEESK_NSA_INS5_IJNSE_INSF_IxEEEESM_EEEEEPS7_SP_SP_NSC_11hip_rocprim7__merge17predicate_wrapperIxxNSC_4lessIxEEEEEE10hipError_tPvRmT0_T1_T2_T3_T4_T5_mmT6_P12ihipStream_tbEUlT_E0_NS1_11comp_targetILNS1_3genE3ELNS1_11target_archE908ELNS1_3gpuE7ELNS1_3repE0EEENS1_30default_config_static_selectorELNS0_4arch9wavefront6targetE0EEEvS10_
	.p2align	8
	.type	_ZN7rocprim17ROCPRIM_400000_NS6detail17trampoline_kernelINS0_14default_configENS1_21merge_config_selectorINS0_5tupleIJxxEEENS0_10empty_typeEEEZNS1_10merge_implIS3_NS0_12zip_iteratorINS5_IJN6thrust23THRUST_200600_302600_NS6detail15normal_iteratorINSC_10device_ptrIKxEEEESI_EEEEESK_NSA_INS5_IJNSE_INSF_IxEEEESM_EEEEEPS7_SP_SP_NSC_11hip_rocprim7__merge17predicate_wrapperIxxNSC_4lessIxEEEEEE10hipError_tPvRmT0_T1_T2_T3_T4_T5_mmT6_P12ihipStream_tbEUlT_E0_NS1_11comp_targetILNS1_3genE3ELNS1_11target_archE908ELNS1_3gpuE7ELNS1_3repE0EEENS1_30default_config_static_selectorELNS0_4arch9wavefront6targetE0EEEvS10_,@function
_ZN7rocprim17ROCPRIM_400000_NS6detail17trampoline_kernelINS0_14default_configENS1_21merge_config_selectorINS0_5tupleIJxxEEENS0_10empty_typeEEEZNS1_10merge_implIS3_NS0_12zip_iteratorINS5_IJN6thrust23THRUST_200600_302600_NS6detail15normal_iteratorINSC_10device_ptrIKxEEEESI_EEEEESK_NSA_INS5_IJNSE_INSF_IxEEEESM_EEEEEPS7_SP_SP_NSC_11hip_rocprim7__merge17predicate_wrapperIxxNSC_4lessIxEEEEEE10hipError_tPvRmT0_T1_T2_T3_T4_T5_mmT6_P12ihipStream_tbEUlT_E0_NS1_11comp_targetILNS1_3genE3ELNS1_11target_archE908ELNS1_3gpuE7ELNS1_3repE0EEENS1_30default_config_static_selectorELNS0_4arch9wavefront6targetE0EEEvS10_: ; @_ZN7rocprim17ROCPRIM_400000_NS6detail17trampoline_kernelINS0_14default_configENS1_21merge_config_selectorINS0_5tupleIJxxEEENS0_10empty_typeEEEZNS1_10merge_implIS3_NS0_12zip_iteratorINS5_IJN6thrust23THRUST_200600_302600_NS6detail15normal_iteratorINSC_10device_ptrIKxEEEESI_EEEEESK_NSA_INS5_IJNSE_INSF_IxEEEESM_EEEEEPS7_SP_SP_NSC_11hip_rocprim7__merge17predicate_wrapperIxxNSC_4lessIxEEEEEE10hipError_tPvRmT0_T1_T2_T3_T4_T5_mmT6_P12ihipStream_tbEUlT_E0_NS1_11comp_targetILNS1_3genE3ELNS1_11target_archE908ELNS1_3gpuE7ELNS1_3repE0EEENS1_30default_config_static_selectorELNS0_4arch9wavefront6targetE0EEEvS10_
; %bb.0:
	.section	.rodata,"a",@progbits
	.p2align	6, 0x0
	.amdhsa_kernel _ZN7rocprim17ROCPRIM_400000_NS6detail17trampoline_kernelINS0_14default_configENS1_21merge_config_selectorINS0_5tupleIJxxEEENS0_10empty_typeEEEZNS1_10merge_implIS3_NS0_12zip_iteratorINS5_IJN6thrust23THRUST_200600_302600_NS6detail15normal_iteratorINSC_10device_ptrIKxEEEESI_EEEEESK_NSA_INS5_IJNSE_INSF_IxEEEESM_EEEEEPS7_SP_SP_NSC_11hip_rocprim7__merge17predicate_wrapperIxxNSC_4lessIxEEEEEE10hipError_tPvRmT0_T1_T2_T3_T4_T5_mmT6_P12ihipStream_tbEUlT_E0_NS1_11comp_targetILNS1_3genE3ELNS1_11target_archE908ELNS1_3gpuE7ELNS1_3repE0EEENS1_30default_config_static_selectorELNS0_4arch9wavefront6targetE0EEEvS10_
		.amdhsa_group_segment_fixed_size 0
		.amdhsa_private_segment_fixed_size 0
		.amdhsa_kernarg_size 112
		.amdhsa_user_sgpr_count 6
		.amdhsa_user_sgpr_private_segment_buffer 1
		.amdhsa_user_sgpr_dispatch_ptr 0
		.amdhsa_user_sgpr_queue_ptr 0
		.amdhsa_user_sgpr_kernarg_segment_ptr 1
		.amdhsa_user_sgpr_dispatch_id 0
		.amdhsa_user_sgpr_flat_scratch_init 0
		.amdhsa_user_sgpr_private_segment_size 0
		.amdhsa_wavefront_size32 1
		.amdhsa_uses_dynamic_stack 0
		.amdhsa_system_sgpr_private_segment_wavefront_offset 0
		.amdhsa_system_sgpr_workgroup_id_x 1
		.amdhsa_system_sgpr_workgroup_id_y 0
		.amdhsa_system_sgpr_workgroup_id_z 0
		.amdhsa_system_sgpr_workgroup_info 0
		.amdhsa_system_vgpr_workitem_id 0
		.amdhsa_next_free_vgpr 1
		.amdhsa_next_free_sgpr 1
		.amdhsa_reserve_vcc 0
		.amdhsa_reserve_flat_scratch 0
		.amdhsa_float_round_mode_32 0
		.amdhsa_float_round_mode_16_64 0
		.amdhsa_float_denorm_mode_32 3
		.amdhsa_float_denorm_mode_16_64 3
		.amdhsa_dx10_clamp 1
		.amdhsa_ieee_mode 1
		.amdhsa_fp16_overflow 0
		.amdhsa_workgroup_processor_mode 1
		.amdhsa_memory_ordered 1
		.amdhsa_forward_progress 1
		.amdhsa_shared_vgpr_count 0
		.amdhsa_exception_fp_ieee_invalid_op 0
		.amdhsa_exception_fp_denorm_src 0
		.amdhsa_exception_fp_ieee_div_zero 0
		.amdhsa_exception_fp_ieee_overflow 0
		.amdhsa_exception_fp_ieee_underflow 0
		.amdhsa_exception_fp_ieee_inexact 0
		.amdhsa_exception_int_div_zero 0
	.end_amdhsa_kernel
	.section	.text._ZN7rocprim17ROCPRIM_400000_NS6detail17trampoline_kernelINS0_14default_configENS1_21merge_config_selectorINS0_5tupleIJxxEEENS0_10empty_typeEEEZNS1_10merge_implIS3_NS0_12zip_iteratorINS5_IJN6thrust23THRUST_200600_302600_NS6detail15normal_iteratorINSC_10device_ptrIKxEEEESI_EEEEESK_NSA_INS5_IJNSE_INSF_IxEEEESM_EEEEEPS7_SP_SP_NSC_11hip_rocprim7__merge17predicate_wrapperIxxNSC_4lessIxEEEEEE10hipError_tPvRmT0_T1_T2_T3_T4_T5_mmT6_P12ihipStream_tbEUlT_E0_NS1_11comp_targetILNS1_3genE3ELNS1_11target_archE908ELNS1_3gpuE7ELNS1_3repE0EEENS1_30default_config_static_selectorELNS0_4arch9wavefront6targetE0EEEvS10_,"axG",@progbits,_ZN7rocprim17ROCPRIM_400000_NS6detail17trampoline_kernelINS0_14default_configENS1_21merge_config_selectorINS0_5tupleIJxxEEENS0_10empty_typeEEEZNS1_10merge_implIS3_NS0_12zip_iteratorINS5_IJN6thrust23THRUST_200600_302600_NS6detail15normal_iteratorINSC_10device_ptrIKxEEEESI_EEEEESK_NSA_INS5_IJNSE_INSF_IxEEEESM_EEEEEPS7_SP_SP_NSC_11hip_rocprim7__merge17predicate_wrapperIxxNSC_4lessIxEEEEEE10hipError_tPvRmT0_T1_T2_T3_T4_T5_mmT6_P12ihipStream_tbEUlT_E0_NS1_11comp_targetILNS1_3genE3ELNS1_11target_archE908ELNS1_3gpuE7ELNS1_3repE0EEENS1_30default_config_static_selectorELNS0_4arch9wavefront6targetE0EEEvS10_,comdat
.Lfunc_end219:
	.size	_ZN7rocprim17ROCPRIM_400000_NS6detail17trampoline_kernelINS0_14default_configENS1_21merge_config_selectorINS0_5tupleIJxxEEENS0_10empty_typeEEEZNS1_10merge_implIS3_NS0_12zip_iteratorINS5_IJN6thrust23THRUST_200600_302600_NS6detail15normal_iteratorINSC_10device_ptrIKxEEEESI_EEEEESK_NSA_INS5_IJNSE_INSF_IxEEEESM_EEEEEPS7_SP_SP_NSC_11hip_rocprim7__merge17predicate_wrapperIxxNSC_4lessIxEEEEEE10hipError_tPvRmT0_T1_T2_T3_T4_T5_mmT6_P12ihipStream_tbEUlT_E0_NS1_11comp_targetILNS1_3genE3ELNS1_11target_archE908ELNS1_3gpuE7ELNS1_3repE0EEENS1_30default_config_static_selectorELNS0_4arch9wavefront6targetE0EEEvS10_, .Lfunc_end219-_ZN7rocprim17ROCPRIM_400000_NS6detail17trampoline_kernelINS0_14default_configENS1_21merge_config_selectorINS0_5tupleIJxxEEENS0_10empty_typeEEEZNS1_10merge_implIS3_NS0_12zip_iteratorINS5_IJN6thrust23THRUST_200600_302600_NS6detail15normal_iteratorINSC_10device_ptrIKxEEEESI_EEEEESK_NSA_INS5_IJNSE_INSF_IxEEEESM_EEEEEPS7_SP_SP_NSC_11hip_rocprim7__merge17predicate_wrapperIxxNSC_4lessIxEEEEEE10hipError_tPvRmT0_T1_T2_T3_T4_T5_mmT6_P12ihipStream_tbEUlT_E0_NS1_11comp_targetILNS1_3genE3ELNS1_11target_archE908ELNS1_3gpuE7ELNS1_3repE0EEENS1_30default_config_static_selectorELNS0_4arch9wavefront6targetE0EEEvS10_
                                        ; -- End function
	.set _ZN7rocprim17ROCPRIM_400000_NS6detail17trampoline_kernelINS0_14default_configENS1_21merge_config_selectorINS0_5tupleIJxxEEENS0_10empty_typeEEEZNS1_10merge_implIS3_NS0_12zip_iteratorINS5_IJN6thrust23THRUST_200600_302600_NS6detail15normal_iteratorINSC_10device_ptrIKxEEEESI_EEEEESK_NSA_INS5_IJNSE_INSF_IxEEEESM_EEEEEPS7_SP_SP_NSC_11hip_rocprim7__merge17predicate_wrapperIxxNSC_4lessIxEEEEEE10hipError_tPvRmT0_T1_T2_T3_T4_T5_mmT6_P12ihipStream_tbEUlT_E0_NS1_11comp_targetILNS1_3genE3ELNS1_11target_archE908ELNS1_3gpuE7ELNS1_3repE0EEENS1_30default_config_static_selectorELNS0_4arch9wavefront6targetE0EEEvS10_.num_vgpr, 0
	.set _ZN7rocprim17ROCPRIM_400000_NS6detail17trampoline_kernelINS0_14default_configENS1_21merge_config_selectorINS0_5tupleIJxxEEENS0_10empty_typeEEEZNS1_10merge_implIS3_NS0_12zip_iteratorINS5_IJN6thrust23THRUST_200600_302600_NS6detail15normal_iteratorINSC_10device_ptrIKxEEEESI_EEEEESK_NSA_INS5_IJNSE_INSF_IxEEEESM_EEEEEPS7_SP_SP_NSC_11hip_rocprim7__merge17predicate_wrapperIxxNSC_4lessIxEEEEEE10hipError_tPvRmT0_T1_T2_T3_T4_T5_mmT6_P12ihipStream_tbEUlT_E0_NS1_11comp_targetILNS1_3genE3ELNS1_11target_archE908ELNS1_3gpuE7ELNS1_3repE0EEENS1_30default_config_static_selectorELNS0_4arch9wavefront6targetE0EEEvS10_.num_agpr, 0
	.set _ZN7rocprim17ROCPRIM_400000_NS6detail17trampoline_kernelINS0_14default_configENS1_21merge_config_selectorINS0_5tupleIJxxEEENS0_10empty_typeEEEZNS1_10merge_implIS3_NS0_12zip_iteratorINS5_IJN6thrust23THRUST_200600_302600_NS6detail15normal_iteratorINSC_10device_ptrIKxEEEESI_EEEEESK_NSA_INS5_IJNSE_INSF_IxEEEESM_EEEEEPS7_SP_SP_NSC_11hip_rocprim7__merge17predicate_wrapperIxxNSC_4lessIxEEEEEE10hipError_tPvRmT0_T1_T2_T3_T4_T5_mmT6_P12ihipStream_tbEUlT_E0_NS1_11comp_targetILNS1_3genE3ELNS1_11target_archE908ELNS1_3gpuE7ELNS1_3repE0EEENS1_30default_config_static_selectorELNS0_4arch9wavefront6targetE0EEEvS10_.numbered_sgpr, 0
	.set _ZN7rocprim17ROCPRIM_400000_NS6detail17trampoline_kernelINS0_14default_configENS1_21merge_config_selectorINS0_5tupleIJxxEEENS0_10empty_typeEEEZNS1_10merge_implIS3_NS0_12zip_iteratorINS5_IJN6thrust23THRUST_200600_302600_NS6detail15normal_iteratorINSC_10device_ptrIKxEEEESI_EEEEESK_NSA_INS5_IJNSE_INSF_IxEEEESM_EEEEEPS7_SP_SP_NSC_11hip_rocprim7__merge17predicate_wrapperIxxNSC_4lessIxEEEEEE10hipError_tPvRmT0_T1_T2_T3_T4_T5_mmT6_P12ihipStream_tbEUlT_E0_NS1_11comp_targetILNS1_3genE3ELNS1_11target_archE908ELNS1_3gpuE7ELNS1_3repE0EEENS1_30default_config_static_selectorELNS0_4arch9wavefront6targetE0EEEvS10_.num_named_barrier, 0
	.set _ZN7rocprim17ROCPRIM_400000_NS6detail17trampoline_kernelINS0_14default_configENS1_21merge_config_selectorINS0_5tupleIJxxEEENS0_10empty_typeEEEZNS1_10merge_implIS3_NS0_12zip_iteratorINS5_IJN6thrust23THRUST_200600_302600_NS6detail15normal_iteratorINSC_10device_ptrIKxEEEESI_EEEEESK_NSA_INS5_IJNSE_INSF_IxEEEESM_EEEEEPS7_SP_SP_NSC_11hip_rocprim7__merge17predicate_wrapperIxxNSC_4lessIxEEEEEE10hipError_tPvRmT0_T1_T2_T3_T4_T5_mmT6_P12ihipStream_tbEUlT_E0_NS1_11comp_targetILNS1_3genE3ELNS1_11target_archE908ELNS1_3gpuE7ELNS1_3repE0EEENS1_30default_config_static_selectorELNS0_4arch9wavefront6targetE0EEEvS10_.private_seg_size, 0
	.set _ZN7rocprim17ROCPRIM_400000_NS6detail17trampoline_kernelINS0_14default_configENS1_21merge_config_selectorINS0_5tupleIJxxEEENS0_10empty_typeEEEZNS1_10merge_implIS3_NS0_12zip_iteratorINS5_IJN6thrust23THRUST_200600_302600_NS6detail15normal_iteratorINSC_10device_ptrIKxEEEESI_EEEEESK_NSA_INS5_IJNSE_INSF_IxEEEESM_EEEEEPS7_SP_SP_NSC_11hip_rocprim7__merge17predicate_wrapperIxxNSC_4lessIxEEEEEE10hipError_tPvRmT0_T1_T2_T3_T4_T5_mmT6_P12ihipStream_tbEUlT_E0_NS1_11comp_targetILNS1_3genE3ELNS1_11target_archE908ELNS1_3gpuE7ELNS1_3repE0EEENS1_30default_config_static_selectorELNS0_4arch9wavefront6targetE0EEEvS10_.uses_vcc, 0
	.set _ZN7rocprim17ROCPRIM_400000_NS6detail17trampoline_kernelINS0_14default_configENS1_21merge_config_selectorINS0_5tupleIJxxEEENS0_10empty_typeEEEZNS1_10merge_implIS3_NS0_12zip_iteratorINS5_IJN6thrust23THRUST_200600_302600_NS6detail15normal_iteratorINSC_10device_ptrIKxEEEESI_EEEEESK_NSA_INS5_IJNSE_INSF_IxEEEESM_EEEEEPS7_SP_SP_NSC_11hip_rocprim7__merge17predicate_wrapperIxxNSC_4lessIxEEEEEE10hipError_tPvRmT0_T1_T2_T3_T4_T5_mmT6_P12ihipStream_tbEUlT_E0_NS1_11comp_targetILNS1_3genE3ELNS1_11target_archE908ELNS1_3gpuE7ELNS1_3repE0EEENS1_30default_config_static_selectorELNS0_4arch9wavefront6targetE0EEEvS10_.uses_flat_scratch, 0
	.set _ZN7rocprim17ROCPRIM_400000_NS6detail17trampoline_kernelINS0_14default_configENS1_21merge_config_selectorINS0_5tupleIJxxEEENS0_10empty_typeEEEZNS1_10merge_implIS3_NS0_12zip_iteratorINS5_IJN6thrust23THRUST_200600_302600_NS6detail15normal_iteratorINSC_10device_ptrIKxEEEESI_EEEEESK_NSA_INS5_IJNSE_INSF_IxEEEESM_EEEEEPS7_SP_SP_NSC_11hip_rocprim7__merge17predicate_wrapperIxxNSC_4lessIxEEEEEE10hipError_tPvRmT0_T1_T2_T3_T4_T5_mmT6_P12ihipStream_tbEUlT_E0_NS1_11comp_targetILNS1_3genE3ELNS1_11target_archE908ELNS1_3gpuE7ELNS1_3repE0EEENS1_30default_config_static_selectorELNS0_4arch9wavefront6targetE0EEEvS10_.has_dyn_sized_stack, 0
	.set _ZN7rocprim17ROCPRIM_400000_NS6detail17trampoline_kernelINS0_14default_configENS1_21merge_config_selectorINS0_5tupleIJxxEEENS0_10empty_typeEEEZNS1_10merge_implIS3_NS0_12zip_iteratorINS5_IJN6thrust23THRUST_200600_302600_NS6detail15normal_iteratorINSC_10device_ptrIKxEEEESI_EEEEESK_NSA_INS5_IJNSE_INSF_IxEEEESM_EEEEEPS7_SP_SP_NSC_11hip_rocprim7__merge17predicate_wrapperIxxNSC_4lessIxEEEEEE10hipError_tPvRmT0_T1_T2_T3_T4_T5_mmT6_P12ihipStream_tbEUlT_E0_NS1_11comp_targetILNS1_3genE3ELNS1_11target_archE908ELNS1_3gpuE7ELNS1_3repE0EEENS1_30default_config_static_selectorELNS0_4arch9wavefront6targetE0EEEvS10_.has_recursion, 0
	.set _ZN7rocprim17ROCPRIM_400000_NS6detail17trampoline_kernelINS0_14default_configENS1_21merge_config_selectorINS0_5tupleIJxxEEENS0_10empty_typeEEEZNS1_10merge_implIS3_NS0_12zip_iteratorINS5_IJN6thrust23THRUST_200600_302600_NS6detail15normal_iteratorINSC_10device_ptrIKxEEEESI_EEEEESK_NSA_INS5_IJNSE_INSF_IxEEEESM_EEEEEPS7_SP_SP_NSC_11hip_rocprim7__merge17predicate_wrapperIxxNSC_4lessIxEEEEEE10hipError_tPvRmT0_T1_T2_T3_T4_T5_mmT6_P12ihipStream_tbEUlT_E0_NS1_11comp_targetILNS1_3genE3ELNS1_11target_archE908ELNS1_3gpuE7ELNS1_3repE0EEENS1_30default_config_static_selectorELNS0_4arch9wavefront6targetE0EEEvS10_.has_indirect_call, 0
	.section	.AMDGPU.csdata,"",@progbits
; Kernel info:
; codeLenInByte = 0
; TotalNumSgprs: 0
; NumVgprs: 0
; ScratchSize: 0
; MemoryBound: 0
; FloatMode: 240
; IeeeMode: 1
; LDSByteSize: 0 bytes/workgroup (compile time only)
; SGPRBlocks: 0
; VGPRBlocks: 0
; NumSGPRsForWavesPerEU: 1
; NumVGPRsForWavesPerEU: 1
; Occupancy: 16
; WaveLimiterHint : 0
; COMPUTE_PGM_RSRC2:SCRATCH_EN: 0
; COMPUTE_PGM_RSRC2:USER_SGPR: 6
; COMPUTE_PGM_RSRC2:TRAP_HANDLER: 0
; COMPUTE_PGM_RSRC2:TGID_X_EN: 1
; COMPUTE_PGM_RSRC2:TGID_Y_EN: 0
; COMPUTE_PGM_RSRC2:TGID_Z_EN: 0
; COMPUTE_PGM_RSRC2:TIDIG_COMP_CNT: 0
	.section	.text._ZN7rocprim17ROCPRIM_400000_NS6detail17trampoline_kernelINS0_14default_configENS1_21merge_config_selectorINS0_5tupleIJxxEEENS0_10empty_typeEEEZNS1_10merge_implIS3_NS0_12zip_iteratorINS5_IJN6thrust23THRUST_200600_302600_NS6detail15normal_iteratorINSC_10device_ptrIKxEEEESI_EEEEESK_NSA_INS5_IJNSE_INSF_IxEEEESM_EEEEEPS7_SP_SP_NSC_11hip_rocprim7__merge17predicate_wrapperIxxNSC_4lessIxEEEEEE10hipError_tPvRmT0_T1_T2_T3_T4_T5_mmT6_P12ihipStream_tbEUlT_E0_NS1_11comp_targetILNS1_3genE2ELNS1_11target_archE906ELNS1_3gpuE6ELNS1_3repE0EEENS1_30default_config_static_selectorELNS0_4arch9wavefront6targetE0EEEvS10_,"axG",@progbits,_ZN7rocprim17ROCPRIM_400000_NS6detail17trampoline_kernelINS0_14default_configENS1_21merge_config_selectorINS0_5tupleIJxxEEENS0_10empty_typeEEEZNS1_10merge_implIS3_NS0_12zip_iteratorINS5_IJN6thrust23THRUST_200600_302600_NS6detail15normal_iteratorINSC_10device_ptrIKxEEEESI_EEEEESK_NSA_INS5_IJNSE_INSF_IxEEEESM_EEEEEPS7_SP_SP_NSC_11hip_rocprim7__merge17predicate_wrapperIxxNSC_4lessIxEEEEEE10hipError_tPvRmT0_T1_T2_T3_T4_T5_mmT6_P12ihipStream_tbEUlT_E0_NS1_11comp_targetILNS1_3genE2ELNS1_11target_archE906ELNS1_3gpuE6ELNS1_3repE0EEENS1_30default_config_static_selectorELNS0_4arch9wavefront6targetE0EEEvS10_,comdat
	.protected	_ZN7rocprim17ROCPRIM_400000_NS6detail17trampoline_kernelINS0_14default_configENS1_21merge_config_selectorINS0_5tupleIJxxEEENS0_10empty_typeEEEZNS1_10merge_implIS3_NS0_12zip_iteratorINS5_IJN6thrust23THRUST_200600_302600_NS6detail15normal_iteratorINSC_10device_ptrIKxEEEESI_EEEEESK_NSA_INS5_IJNSE_INSF_IxEEEESM_EEEEEPS7_SP_SP_NSC_11hip_rocprim7__merge17predicate_wrapperIxxNSC_4lessIxEEEEEE10hipError_tPvRmT0_T1_T2_T3_T4_T5_mmT6_P12ihipStream_tbEUlT_E0_NS1_11comp_targetILNS1_3genE2ELNS1_11target_archE906ELNS1_3gpuE6ELNS1_3repE0EEENS1_30default_config_static_selectorELNS0_4arch9wavefront6targetE0EEEvS10_ ; -- Begin function _ZN7rocprim17ROCPRIM_400000_NS6detail17trampoline_kernelINS0_14default_configENS1_21merge_config_selectorINS0_5tupleIJxxEEENS0_10empty_typeEEEZNS1_10merge_implIS3_NS0_12zip_iteratorINS5_IJN6thrust23THRUST_200600_302600_NS6detail15normal_iteratorINSC_10device_ptrIKxEEEESI_EEEEESK_NSA_INS5_IJNSE_INSF_IxEEEESM_EEEEEPS7_SP_SP_NSC_11hip_rocprim7__merge17predicate_wrapperIxxNSC_4lessIxEEEEEE10hipError_tPvRmT0_T1_T2_T3_T4_T5_mmT6_P12ihipStream_tbEUlT_E0_NS1_11comp_targetILNS1_3genE2ELNS1_11target_archE906ELNS1_3gpuE6ELNS1_3repE0EEENS1_30default_config_static_selectorELNS0_4arch9wavefront6targetE0EEEvS10_
	.globl	_ZN7rocprim17ROCPRIM_400000_NS6detail17trampoline_kernelINS0_14default_configENS1_21merge_config_selectorINS0_5tupleIJxxEEENS0_10empty_typeEEEZNS1_10merge_implIS3_NS0_12zip_iteratorINS5_IJN6thrust23THRUST_200600_302600_NS6detail15normal_iteratorINSC_10device_ptrIKxEEEESI_EEEEESK_NSA_INS5_IJNSE_INSF_IxEEEESM_EEEEEPS7_SP_SP_NSC_11hip_rocprim7__merge17predicate_wrapperIxxNSC_4lessIxEEEEEE10hipError_tPvRmT0_T1_T2_T3_T4_T5_mmT6_P12ihipStream_tbEUlT_E0_NS1_11comp_targetILNS1_3genE2ELNS1_11target_archE906ELNS1_3gpuE6ELNS1_3repE0EEENS1_30default_config_static_selectorELNS0_4arch9wavefront6targetE0EEEvS10_
	.p2align	8
	.type	_ZN7rocprim17ROCPRIM_400000_NS6detail17trampoline_kernelINS0_14default_configENS1_21merge_config_selectorINS0_5tupleIJxxEEENS0_10empty_typeEEEZNS1_10merge_implIS3_NS0_12zip_iteratorINS5_IJN6thrust23THRUST_200600_302600_NS6detail15normal_iteratorINSC_10device_ptrIKxEEEESI_EEEEESK_NSA_INS5_IJNSE_INSF_IxEEEESM_EEEEEPS7_SP_SP_NSC_11hip_rocprim7__merge17predicate_wrapperIxxNSC_4lessIxEEEEEE10hipError_tPvRmT0_T1_T2_T3_T4_T5_mmT6_P12ihipStream_tbEUlT_E0_NS1_11comp_targetILNS1_3genE2ELNS1_11target_archE906ELNS1_3gpuE6ELNS1_3repE0EEENS1_30default_config_static_selectorELNS0_4arch9wavefront6targetE0EEEvS10_,@function
_ZN7rocprim17ROCPRIM_400000_NS6detail17trampoline_kernelINS0_14default_configENS1_21merge_config_selectorINS0_5tupleIJxxEEENS0_10empty_typeEEEZNS1_10merge_implIS3_NS0_12zip_iteratorINS5_IJN6thrust23THRUST_200600_302600_NS6detail15normal_iteratorINSC_10device_ptrIKxEEEESI_EEEEESK_NSA_INS5_IJNSE_INSF_IxEEEESM_EEEEEPS7_SP_SP_NSC_11hip_rocprim7__merge17predicate_wrapperIxxNSC_4lessIxEEEEEE10hipError_tPvRmT0_T1_T2_T3_T4_T5_mmT6_P12ihipStream_tbEUlT_E0_NS1_11comp_targetILNS1_3genE2ELNS1_11target_archE906ELNS1_3gpuE6ELNS1_3repE0EEENS1_30default_config_static_selectorELNS0_4arch9wavefront6targetE0EEEvS10_: ; @_ZN7rocprim17ROCPRIM_400000_NS6detail17trampoline_kernelINS0_14default_configENS1_21merge_config_selectorINS0_5tupleIJxxEEENS0_10empty_typeEEEZNS1_10merge_implIS3_NS0_12zip_iteratorINS5_IJN6thrust23THRUST_200600_302600_NS6detail15normal_iteratorINSC_10device_ptrIKxEEEESI_EEEEESK_NSA_INS5_IJNSE_INSF_IxEEEESM_EEEEEPS7_SP_SP_NSC_11hip_rocprim7__merge17predicate_wrapperIxxNSC_4lessIxEEEEEE10hipError_tPvRmT0_T1_T2_T3_T4_T5_mmT6_P12ihipStream_tbEUlT_E0_NS1_11comp_targetILNS1_3genE2ELNS1_11target_archE906ELNS1_3gpuE6ELNS1_3repE0EEENS1_30default_config_static_selectorELNS0_4arch9wavefront6targetE0EEEvS10_
; %bb.0:
	.section	.rodata,"a",@progbits
	.p2align	6, 0x0
	.amdhsa_kernel _ZN7rocprim17ROCPRIM_400000_NS6detail17trampoline_kernelINS0_14default_configENS1_21merge_config_selectorINS0_5tupleIJxxEEENS0_10empty_typeEEEZNS1_10merge_implIS3_NS0_12zip_iteratorINS5_IJN6thrust23THRUST_200600_302600_NS6detail15normal_iteratorINSC_10device_ptrIKxEEEESI_EEEEESK_NSA_INS5_IJNSE_INSF_IxEEEESM_EEEEEPS7_SP_SP_NSC_11hip_rocprim7__merge17predicate_wrapperIxxNSC_4lessIxEEEEEE10hipError_tPvRmT0_T1_T2_T3_T4_T5_mmT6_P12ihipStream_tbEUlT_E0_NS1_11comp_targetILNS1_3genE2ELNS1_11target_archE906ELNS1_3gpuE6ELNS1_3repE0EEENS1_30default_config_static_selectorELNS0_4arch9wavefront6targetE0EEEvS10_
		.amdhsa_group_segment_fixed_size 0
		.amdhsa_private_segment_fixed_size 0
		.amdhsa_kernarg_size 112
		.amdhsa_user_sgpr_count 6
		.amdhsa_user_sgpr_private_segment_buffer 1
		.amdhsa_user_sgpr_dispatch_ptr 0
		.amdhsa_user_sgpr_queue_ptr 0
		.amdhsa_user_sgpr_kernarg_segment_ptr 1
		.amdhsa_user_sgpr_dispatch_id 0
		.amdhsa_user_sgpr_flat_scratch_init 0
		.amdhsa_user_sgpr_private_segment_size 0
		.amdhsa_wavefront_size32 1
		.amdhsa_uses_dynamic_stack 0
		.amdhsa_system_sgpr_private_segment_wavefront_offset 0
		.amdhsa_system_sgpr_workgroup_id_x 1
		.amdhsa_system_sgpr_workgroup_id_y 0
		.amdhsa_system_sgpr_workgroup_id_z 0
		.amdhsa_system_sgpr_workgroup_info 0
		.amdhsa_system_vgpr_workitem_id 0
		.amdhsa_next_free_vgpr 1
		.amdhsa_next_free_sgpr 1
		.amdhsa_reserve_vcc 0
		.amdhsa_reserve_flat_scratch 0
		.amdhsa_float_round_mode_32 0
		.amdhsa_float_round_mode_16_64 0
		.amdhsa_float_denorm_mode_32 3
		.amdhsa_float_denorm_mode_16_64 3
		.amdhsa_dx10_clamp 1
		.amdhsa_ieee_mode 1
		.amdhsa_fp16_overflow 0
		.amdhsa_workgroup_processor_mode 1
		.amdhsa_memory_ordered 1
		.amdhsa_forward_progress 1
		.amdhsa_shared_vgpr_count 0
		.amdhsa_exception_fp_ieee_invalid_op 0
		.amdhsa_exception_fp_denorm_src 0
		.amdhsa_exception_fp_ieee_div_zero 0
		.amdhsa_exception_fp_ieee_overflow 0
		.amdhsa_exception_fp_ieee_underflow 0
		.amdhsa_exception_fp_ieee_inexact 0
		.amdhsa_exception_int_div_zero 0
	.end_amdhsa_kernel
	.section	.text._ZN7rocprim17ROCPRIM_400000_NS6detail17trampoline_kernelINS0_14default_configENS1_21merge_config_selectorINS0_5tupleIJxxEEENS0_10empty_typeEEEZNS1_10merge_implIS3_NS0_12zip_iteratorINS5_IJN6thrust23THRUST_200600_302600_NS6detail15normal_iteratorINSC_10device_ptrIKxEEEESI_EEEEESK_NSA_INS5_IJNSE_INSF_IxEEEESM_EEEEEPS7_SP_SP_NSC_11hip_rocprim7__merge17predicate_wrapperIxxNSC_4lessIxEEEEEE10hipError_tPvRmT0_T1_T2_T3_T4_T5_mmT6_P12ihipStream_tbEUlT_E0_NS1_11comp_targetILNS1_3genE2ELNS1_11target_archE906ELNS1_3gpuE6ELNS1_3repE0EEENS1_30default_config_static_selectorELNS0_4arch9wavefront6targetE0EEEvS10_,"axG",@progbits,_ZN7rocprim17ROCPRIM_400000_NS6detail17trampoline_kernelINS0_14default_configENS1_21merge_config_selectorINS0_5tupleIJxxEEENS0_10empty_typeEEEZNS1_10merge_implIS3_NS0_12zip_iteratorINS5_IJN6thrust23THRUST_200600_302600_NS6detail15normal_iteratorINSC_10device_ptrIKxEEEESI_EEEEESK_NSA_INS5_IJNSE_INSF_IxEEEESM_EEEEEPS7_SP_SP_NSC_11hip_rocprim7__merge17predicate_wrapperIxxNSC_4lessIxEEEEEE10hipError_tPvRmT0_T1_T2_T3_T4_T5_mmT6_P12ihipStream_tbEUlT_E0_NS1_11comp_targetILNS1_3genE2ELNS1_11target_archE906ELNS1_3gpuE6ELNS1_3repE0EEENS1_30default_config_static_selectorELNS0_4arch9wavefront6targetE0EEEvS10_,comdat
.Lfunc_end220:
	.size	_ZN7rocprim17ROCPRIM_400000_NS6detail17trampoline_kernelINS0_14default_configENS1_21merge_config_selectorINS0_5tupleIJxxEEENS0_10empty_typeEEEZNS1_10merge_implIS3_NS0_12zip_iteratorINS5_IJN6thrust23THRUST_200600_302600_NS6detail15normal_iteratorINSC_10device_ptrIKxEEEESI_EEEEESK_NSA_INS5_IJNSE_INSF_IxEEEESM_EEEEEPS7_SP_SP_NSC_11hip_rocprim7__merge17predicate_wrapperIxxNSC_4lessIxEEEEEE10hipError_tPvRmT0_T1_T2_T3_T4_T5_mmT6_P12ihipStream_tbEUlT_E0_NS1_11comp_targetILNS1_3genE2ELNS1_11target_archE906ELNS1_3gpuE6ELNS1_3repE0EEENS1_30default_config_static_selectorELNS0_4arch9wavefront6targetE0EEEvS10_, .Lfunc_end220-_ZN7rocprim17ROCPRIM_400000_NS6detail17trampoline_kernelINS0_14default_configENS1_21merge_config_selectorINS0_5tupleIJxxEEENS0_10empty_typeEEEZNS1_10merge_implIS3_NS0_12zip_iteratorINS5_IJN6thrust23THRUST_200600_302600_NS6detail15normal_iteratorINSC_10device_ptrIKxEEEESI_EEEEESK_NSA_INS5_IJNSE_INSF_IxEEEESM_EEEEEPS7_SP_SP_NSC_11hip_rocprim7__merge17predicate_wrapperIxxNSC_4lessIxEEEEEE10hipError_tPvRmT0_T1_T2_T3_T4_T5_mmT6_P12ihipStream_tbEUlT_E0_NS1_11comp_targetILNS1_3genE2ELNS1_11target_archE906ELNS1_3gpuE6ELNS1_3repE0EEENS1_30default_config_static_selectorELNS0_4arch9wavefront6targetE0EEEvS10_
                                        ; -- End function
	.set _ZN7rocprim17ROCPRIM_400000_NS6detail17trampoline_kernelINS0_14default_configENS1_21merge_config_selectorINS0_5tupleIJxxEEENS0_10empty_typeEEEZNS1_10merge_implIS3_NS0_12zip_iteratorINS5_IJN6thrust23THRUST_200600_302600_NS6detail15normal_iteratorINSC_10device_ptrIKxEEEESI_EEEEESK_NSA_INS5_IJNSE_INSF_IxEEEESM_EEEEEPS7_SP_SP_NSC_11hip_rocprim7__merge17predicate_wrapperIxxNSC_4lessIxEEEEEE10hipError_tPvRmT0_T1_T2_T3_T4_T5_mmT6_P12ihipStream_tbEUlT_E0_NS1_11comp_targetILNS1_3genE2ELNS1_11target_archE906ELNS1_3gpuE6ELNS1_3repE0EEENS1_30default_config_static_selectorELNS0_4arch9wavefront6targetE0EEEvS10_.num_vgpr, 0
	.set _ZN7rocprim17ROCPRIM_400000_NS6detail17trampoline_kernelINS0_14default_configENS1_21merge_config_selectorINS0_5tupleIJxxEEENS0_10empty_typeEEEZNS1_10merge_implIS3_NS0_12zip_iteratorINS5_IJN6thrust23THRUST_200600_302600_NS6detail15normal_iteratorINSC_10device_ptrIKxEEEESI_EEEEESK_NSA_INS5_IJNSE_INSF_IxEEEESM_EEEEEPS7_SP_SP_NSC_11hip_rocprim7__merge17predicate_wrapperIxxNSC_4lessIxEEEEEE10hipError_tPvRmT0_T1_T2_T3_T4_T5_mmT6_P12ihipStream_tbEUlT_E0_NS1_11comp_targetILNS1_3genE2ELNS1_11target_archE906ELNS1_3gpuE6ELNS1_3repE0EEENS1_30default_config_static_selectorELNS0_4arch9wavefront6targetE0EEEvS10_.num_agpr, 0
	.set _ZN7rocprim17ROCPRIM_400000_NS6detail17trampoline_kernelINS0_14default_configENS1_21merge_config_selectorINS0_5tupleIJxxEEENS0_10empty_typeEEEZNS1_10merge_implIS3_NS0_12zip_iteratorINS5_IJN6thrust23THRUST_200600_302600_NS6detail15normal_iteratorINSC_10device_ptrIKxEEEESI_EEEEESK_NSA_INS5_IJNSE_INSF_IxEEEESM_EEEEEPS7_SP_SP_NSC_11hip_rocprim7__merge17predicate_wrapperIxxNSC_4lessIxEEEEEE10hipError_tPvRmT0_T1_T2_T3_T4_T5_mmT6_P12ihipStream_tbEUlT_E0_NS1_11comp_targetILNS1_3genE2ELNS1_11target_archE906ELNS1_3gpuE6ELNS1_3repE0EEENS1_30default_config_static_selectorELNS0_4arch9wavefront6targetE0EEEvS10_.numbered_sgpr, 0
	.set _ZN7rocprim17ROCPRIM_400000_NS6detail17trampoline_kernelINS0_14default_configENS1_21merge_config_selectorINS0_5tupleIJxxEEENS0_10empty_typeEEEZNS1_10merge_implIS3_NS0_12zip_iteratorINS5_IJN6thrust23THRUST_200600_302600_NS6detail15normal_iteratorINSC_10device_ptrIKxEEEESI_EEEEESK_NSA_INS5_IJNSE_INSF_IxEEEESM_EEEEEPS7_SP_SP_NSC_11hip_rocprim7__merge17predicate_wrapperIxxNSC_4lessIxEEEEEE10hipError_tPvRmT0_T1_T2_T3_T4_T5_mmT6_P12ihipStream_tbEUlT_E0_NS1_11comp_targetILNS1_3genE2ELNS1_11target_archE906ELNS1_3gpuE6ELNS1_3repE0EEENS1_30default_config_static_selectorELNS0_4arch9wavefront6targetE0EEEvS10_.num_named_barrier, 0
	.set _ZN7rocprim17ROCPRIM_400000_NS6detail17trampoline_kernelINS0_14default_configENS1_21merge_config_selectorINS0_5tupleIJxxEEENS0_10empty_typeEEEZNS1_10merge_implIS3_NS0_12zip_iteratorINS5_IJN6thrust23THRUST_200600_302600_NS6detail15normal_iteratorINSC_10device_ptrIKxEEEESI_EEEEESK_NSA_INS5_IJNSE_INSF_IxEEEESM_EEEEEPS7_SP_SP_NSC_11hip_rocprim7__merge17predicate_wrapperIxxNSC_4lessIxEEEEEE10hipError_tPvRmT0_T1_T2_T3_T4_T5_mmT6_P12ihipStream_tbEUlT_E0_NS1_11comp_targetILNS1_3genE2ELNS1_11target_archE906ELNS1_3gpuE6ELNS1_3repE0EEENS1_30default_config_static_selectorELNS0_4arch9wavefront6targetE0EEEvS10_.private_seg_size, 0
	.set _ZN7rocprim17ROCPRIM_400000_NS6detail17trampoline_kernelINS0_14default_configENS1_21merge_config_selectorINS0_5tupleIJxxEEENS0_10empty_typeEEEZNS1_10merge_implIS3_NS0_12zip_iteratorINS5_IJN6thrust23THRUST_200600_302600_NS6detail15normal_iteratorINSC_10device_ptrIKxEEEESI_EEEEESK_NSA_INS5_IJNSE_INSF_IxEEEESM_EEEEEPS7_SP_SP_NSC_11hip_rocprim7__merge17predicate_wrapperIxxNSC_4lessIxEEEEEE10hipError_tPvRmT0_T1_T2_T3_T4_T5_mmT6_P12ihipStream_tbEUlT_E0_NS1_11comp_targetILNS1_3genE2ELNS1_11target_archE906ELNS1_3gpuE6ELNS1_3repE0EEENS1_30default_config_static_selectorELNS0_4arch9wavefront6targetE0EEEvS10_.uses_vcc, 0
	.set _ZN7rocprim17ROCPRIM_400000_NS6detail17trampoline_kernelINS0_14default_configENS1_21merge_config_selectorINS0_5tupleIJxxEEENS0_10empty_typeEEEZNS1_10merge_implIS3_NS0_12zip_iteratorINS5_IJN6thrust23THRUST_200600_302600_NS6detail15normal_iteratorINSC_10device_ptrIKxEEEESI_EEEEESK_NSA_INS5_IJNSE_INSF_IxEEEESM_EEEEEPS7_SP_SP_NSC_11hip_rocprim7__merge17predicate_wrapperIxxNSC_4lessIxEEEEEE10hipError_tPvRmT0_T1_T2_T3_T4_T5_mmT6_P12ihipStream_tbEUlT_E0_NS1_11comp_targetILNS1_3genE2ELNS1_11target_archE906ELNS1_3gpuE6ELNS1_3repE0EEENS1_30default_config_static_selectorELNS0_4arch9wavefront6targetE0EEEvS10_.uses_flat_scratch, 0
	.set _ZN7rocprim17ROCPRIM_400000_NS6detail17trampoline_kernelINS0_14default_configENS1_21merge_config_selectorINS0_5tupleIJxxEEENS0_10empty_typeEEEZNS1_10merge_implIS3_NS0_12zip_iteratorINS5_IJN6thrust23THRUST_200600_302600_NS6detail15normal_iteratorINSC_10device_ptrIKxEEEESI_EEEEESK_NSA_INS5_IJNSE_INSF_IxEEEESM_EEEEEPS7_SP_SP_NSC_11hip_rocprim7__merge17predicate_wrapperIxxNSC_4lessIxEEEEEE10hipError_tPvRmT0_T1_T2_T3_T4_T5_mmT6_P12ihipStream_tbEUlT_E0_NS1_11comp_targetILNS1_3genE2ELNS1_11target_archE906ELNS1_3gpuE6ELNS1_3repE0EEENS1_30default_config_static_selectorELNS0_4arch9wavefront6targetE0EEEvS10_.has_dyn_sized_stack, 0
	.set _ZN7rocprim17ROCPRIM_400000_NS6detail17trampoline_kernelINS0_14default_configENS1_21merge_config_selectorINS0_5tupleIJxxEEENS0_10empty_typeEEEZNS1_10merge_implIS3_NS0_12zip_iteratorINS5_IJN6thrust23THRUST_200600_302600_NS6detail15normal_iteratorINSC_10device_ptrIKxEEEESI_EEEEESK_NSA_INS5_IJNSE_INSF_IxEEEESM_EEEEEPS7_SP_SP_NSC_11hip_rocprim7__merge17predicate_wrapperIxxNSC_4lessIxEEEEEE10hipError_tPvRmT0_T1_T2_T3_T4_T5_mmT6_P12ihipStream_tbEUlT_E0_NS1_11comp_targetILNS1_3genE2ELNS1_11target_archE906ELNS1_3gpuE6ELNS1_3repE0EEENS1_30default_config_static_selectorELNS0_4arch9wavefront6targetE0EEEvS10_.has_recursion, 0
	.set _ZN7rocprim17ROCPRIM_400000_NS6detail17trampoline_kernelINS0_14default_configENS1_21merge_config_selectorINS0_5tupleIJxxEEENS0_10empty_typeEEEZNS1_10merge_implIS3_NS0_12zip_iteratorINS5_IJN6thrust23THRUST_200600_302600_NS6detail15normal_iteratorINSC_10device_ptrIKxEEEESI_EEEEESK_NSA_INS5_IJNSE_INSF_IxEEEESM_EEEEEPS7_SP_SP_NSC_11hip_rocprim7__merge17predicate_wrapperIxxNSC_4lessIxEEEEEE10hipError_tPvRmT0_T1_T2_T3_T4_T5_mmT6_P12ihipStream_tbEUlT_E0_NS1_11comp_targetILNS1_3genE2ELNS1_11target_archE906ELNS1_3gpuE6ELNS1_3repE0EEENS1_30default_config_static_selectorELNS0_4arch9wavefront6targetE0EEEvS10_.has_indirect_call, 0
	.section	.AMDGPU.csdata,"",@progbits
; Kernel info:
; codeLenInByte = 0
; TotalNumSgprs: 0
; NumVgprs: 0
; ScratchSize: 0
; MemoryBound: 0
; FloatMode: 240
; IeeeMode: 1
; LDSByteSize: 0 bytes/workgroup (compile time only)
; SGPRBlocks: 0
; VGPRBlocks: 0
; NumSGPRsForWavesPerEU: 1
; NumVGPRsForWavesPerEU: 1
; Occupancy: 16
; WaveLimiterHint : 0
; COMPUTE_PGM_RSRC2:SCRATCH_EN: 0
; COMPUTE_PGM_RSRC2:USER_SGPR: 6
; COMPUTE_PGM_RSRC2:TRAP_HANDLER: 0
; COMPUTE_PGM_RSRC2:TGID_X_EN: 1
; COMPUTE_PGM_RSRC2:TGID_Y_EN: 0
; COMPUTE_PGM_RSRC2:TGID_Z_EN: 0
; COMPUTE_PGM_RSRC2:TIDIG_COMP_CNT: 0
	.section	.text._ZN7rocprim17ROCPRIM_400000_NS6detail17trampoline_kernelINS0_14default_configENS1_21merge_config_selectorINS0_5tupleIJxxEEENS0_10empty_typeEEEZNS1_10merge_implIS3_NS0_12zip_iteratorINS5_IJN6thrust23THRUST_200600_302600_NS6detail15normal_iteratorINSC_10device_ptrIKxEEEESI_EEEEESK_NSA_INS5_IJNSE_INSF_IxEEEESM_EEEEEPS7_SP_SP_NSC_11hip_rocprim7__merge17predicate_wrapperIxxNSC_4lessIxEEEEEE10hipError_tPvRmT0_T1_T2_T3_T4_T5_mmT6_P12ihipStream_tbEUlT_E0_NS1_11comp_targetILNS1_3genE10ELNS1_11target_archE1201ELNS1_3gpuE5ELNS1_3repE0EEENS1_30default_config_static_selectorELNS0_4arch9wavefront6targetE0EEEvS10_,"axG",@progbits,_ZN7rocprim17ROCPRIM_400000_NS6detail17trampoline_kernelINS0_14default_configENS1_21merge_config_selectorINS0_5tupleIJxxEEENS0_10empty_typeEEEZNS1_10merge_implIS3_NS0_12zip_iteratorINS5_IJN6thrust23THRUST_200600_302600_NS6detail15normal_iteratorINSC_10device_ptrIKxEEEESI_EEEEESK_NSA_INS5_IJNSE_INSF_IxEEEESM_EEEEEPS7_SP_SP_NSC_11hip_rocprim7__merge17predicate_wrapperIxxNSC_4lessIxEEEEEE10hipError_tPvRmT0_T1_T2_T3_T4_T5_mmT6_P12ihipStream_tbEUlT_E0_NS1_11comp_targetILNS1_3genE10ELNS1_11target_archE1201ELNS1_3gpuE5ELNS1_3repE0EEENS1_30default_config_static_selectorELNS0_4arch9wavefront6targetE0EEEvS10_,comdat
	.protected	_ZN7rocprim17ROCPRIM_400000_NS6detail17trampoline_kernelINS0_14default_configENS1_21merge_config_selectorINS0_5tupleIJxxEEENS0_10empty_typeEEEZNS1_10merge_implIS3_NS0_12zip_iteratorINS5_IJN6thrust23THRUST_200600_302600_NS6detail15normal_iteratorINSC_10device_ptrIKxEEEESI_EEEEESK_NSA_INS5_IJNSE_INSF_IxEEEESM_EEEEEPS7_SP_SP_NSC_11hip_rocprim7__merge17predicate_wrapperIxxNSC_4lessIxEEEEEE10hipError_tPvRmT0_T1_T2_T3_T4_T5_mmT6_P12ihipStream_tbEUlT_E0_NS1_11comp_targetILNS1_3genE10ELNS1_11target_archE1201ELNS1_3gpuE5ELNS1_3repE0EEENS1_30default_config_static_selectorELNS0_4arch9wavefront6targetE0EEEvS10_ ; -- Begin function _ZN7rocprim17ROCPRIM_400000_NS6detail17trampoline_kernelINS0_14default_configENS1_21merge_config_selectorINS0_5tupleIJxxEEENS0_10empty_typeEEEZNS1_10merge_implIS3_NS0_12zip_iteratorINS5_IJN6thrust23THRUST_200600_302600_NS6detail15normal_iteratorINSC_10device_ptrIKxEEEESI_EEEEESK_NSA_INS5_IJNSE_INSF_IxEEEESM_EEEEEPS7_SP_SP_NSC_11hip_rocprim7__merge17predicate_wrapperIxxNSC_4lessIxEEEEEE10hipError_tPvRmT0_T1_T2_T3_T4_T5_mmT6_P12ihipStream_tbEUlT_E0_NS1_11comp_targetILNS1_3genE10ELNS1_11target_archE1201ELNS1_3gpuE5ELNS1_3repE0EEENS1_30default_config_static_selectorELNS0_4arch9wavefront6targetE0EEEvS10_
	.globl	_ZN7rocprim17ROCPRIM_400000_NS6detail17trampoline_kernelINS0_14default_configENS1_21merge_config_selectorINS0_5tupleIJxxEEENS0_10empty_typeEEEZNS1_10merge_implIS3_NS0_12zip_iteratorINS5_IJN6thrust23THRUST_200600_302600_NS6detail15normal_iteratorINSC_10device_ptrIKxEEEESI_EEEEESK_NSA_INS5_IJNSE_INSF_IxEEEESM_EEEEEPS7_SP_SP_NSC_11hip_rocprim7__merge17predicate_wrapperIxxNSC_4lessIxEEEEEE10hipError_tPvRmT0_T1_T2_T3_T4_T5_mmT6_P12ihipStream_tbEUlT_E0_NS1_11comp_targetILNS1_3genE10ELNS1_11target_archE1201ELNS1_3gpuE5ELNS1_3repE0EEENS1_30default_config_static_selectorELNS0_4arch9wavefront6targetE0EEEvS10_
	.p2align	8
	.type	_ZN7rocprim17ROCPRIM_400000_NS6detail17trampoline_kernelINS0_14default_configENS1_21merge_config_selectorINS0_5tupleIJxxEEENS0_10empty_typeEEEZNS1_10merge_implIS3_NS0_12zip_iteratorINS5_IJN6thrust23THRUST_200600_302600_NS6detail15normal_iteratorINSC_10device_ptrIKxEEEESI_EEEEESK_NSA_INS5_IJNSE_INSF_IxEEEESM_EEEEEPS7_SP_SP_NSC_11hip_rocprim7__merge17predicate_wrapperIxxNSC_4lessIxEEEEEE10hipError_tPvRmT0_T1_T2_T3_T4_T5_mmT6_P12ihipStream_tbEUlT_E0_NS1_11comp_targetILNS1_3genE10ELNS1_11target_archE1201ELNS1_3gpuE5ELNS1_3repE0EEENS1_30default_config_static_selectorELNS0_4arch9wavefront6targetE0EEEvS10_,@function
_ZN7rocprim17ROCPRIM_400000_NS6detail17trampoline_kernelINS0_14default_configENS1_21merge_config_selectorINS0_5tupleIJxxEEENS0_10empty_typeEEEZNS1_10merge_implIS3_NS0_12zip_iteratorINS5_IJN6thrust23THRUST_200600_302600_NS6detail15normal_iteratorINSC_10device_ptrIKxEEEESI_EEEEESK_NSA_INS5_IJNSE_INSF_IxEEEESM_EEEEEPS7_SP_SP_NSC_11hip_rocprim7__merge17predicate_wrapperIxxNSC_4lessIxEEEEEE10hipError_tPvRmT0_T1_T2_T3_T4_T5_mmT6_P12ihipStream_tbEUlT_E0_NS1_11comp_targetILNS1_3genE10ELNS1_11target_archE1201ELNS1_3gpuE5ELNS1_3repE0EEENS1_30default_config_static_selectorELNS0_4arch9wavefront6targetE0EEEvS10_: ; @_ZN7rocprim17ROCPRIM_400000_NS6detail17trampoline_kernelINS0_14default_configENS1_21merge_config_selectorINS0_5tupleIJxxEEENS0_10empty_typeEEEZNS1_10merge_implIS3_NS0_12zip_iteratorINS5_IJN6thrust23THRUST_200600_302600_NS6detail15normal_iteratorINSC_10device_ptrIKxEEEESI_EEEEESK_NSA_INS5_IJNSE_INSF_IxEEEESM_EEEEEPS7_SP_SP_NSC_11hip_rocprim7__merge17predicate_wrapperIxxNSC_4lessIxEEEEEE10hipError_tPvRmT0_T1_T2_T3_T4_T5_mmT6_P12ihipStream_tbEUlT_E0_NS1_11comp_targetILNS1_3genE10ELNS1_11target_archE1201ELNS1_3gpuE5ELNS1_3repE0EEENS1_30default_config_static_selectorELNS0_4arch9wavefront6targetE0EEEvS10_
; %bb.0:
	.section	.rodata,"a",@progbits
	.p2align	6, 0x0
	.amdhsa_kernel _ZN7rocprim17ROCPRIM_400000_NS6detail17trampoline_kernelINS0_14default_configENS1_21merge_config_selectorINS0_5tupleIJxxEEENS0_10empty_typeEEEZNS1_10merge_implIS3_NS0_12zip_iteratorINS5_IJN6thrust23THRUST_200600_302600_NS6detail15normal_iteratorINSC_10device_ptrIKxEEEESI_EEEEESK_NSA_INS5_IJNSE_INSF_IxEEEESM_EEEEEPS7_SP_SP_NSC_11hip_rocprim7__merge17predicate_wrapperIxxNSC_4lessIxEEEEEE10hipError_tPvRmT0_T1_T2_T3_T4_T5_mmT6_P12ihipStream_tbEUlT_E0_NS1_11comp_targetILNS1_3genE10ELNS1_11target_archE1201ELNS1_3gpuE5ELNS1_3repE0EEENS1_30default_config_static_selectorELNS0_4arch9wavefront6targetE0EEEvS10_
		.amdhsa_group_segment_fixed_size 0
		.amdhsa_private_segment_fixed_size 0
		.amdhsa_kernarg_size 112
		.amdhsa_user_sgpr_count 6
		.amdhsa_user_sgpr_private_segment_buffer 1
		.amdhsa_user_sgpr_dispatch_ptr 0
		.amdhsa_user_sgpr_queue_ptr 0
		.amdhsa_user_sgpr_kernarg_segment_ptr 1
		.amdhsa_user_sgpr_dispatch_id 0
		.amdhsa_user_sgpr_flat_scratch_init 0
		.amdhsa_user_sgpr_private_segment_size 0
		.amdhsa_wavefront_size32 1
		.amdhsa_uses_dynamic_stack 0
		.amdhsa_system_sgpr_private_segment_wavefront_offset 0
		.amdhsa_system_sgpr_workgroup_id_x 1
		.amdhsa_system_sgpr_workgroup_id_y 0
		.amdhsa_system_sgpr_workgroup_id_z 0
		.amdhsa_system_sgpr_workgroup_info 0
		.amdhsa_system_vgpr_workitem_id 0
		.amdhsa_next_free_vgpr 1
		.amdhsa_next_free_sgpr 1
		.amdhsa_reserve_vcc 0
		.amdhsa_reserve_flat_scratch 0
		.amdhsa_float_round_mode_32 0
		.amdhsa_float_round_mode_16_64 0
		.amdhsa_float_denorm_mode_32 3
		.amdhsa_float_denorm_mode_16_64 3
		.amdhsa_dx10_clamp 1
		.amdhsa_ieee_mode 1
		.amdhsa_fp16_overflow 0
		.amdhsa_workgroup_processor_mode 1
		.amdhsa_memory_ordered 1
		.amdhsa_forward_progress 1
		.amdhsa_shared_vgpr_count 0
		.amdhsa_exception_fp_ieee_invalid_op 0
		.amdhsa_exception_fp_denorm_src 0
		.amdhsa_exception_fp_ieee_div_zero 0
		.amdhsa_exception_fp_ieee_overflow 0
		.amdhsa_exception_fp_ieee_underflow 0
		.amdhsa_exception_fp_ieee_inexact 0
		.amdhsa_exception_int_div_zero 0
	.end_amdhsa_kernel
	.section	.text._ZN7rocprim17ROCPRIM_400000_NS6detail17trampoline_kernelINS0_14default_configENS1_21merge_config_selectorINS0_5tupleIJxxEEENS0_10empty_typeEEEZNS1_10merge_implIS3_NS0_12zip_iteratorINS5_IJN6thrust23THRUST_200600_302600_NS6detail15normal_iteratorINSC_10device_ptrIKxEEEESI_EEEEESK_NSA_INS5_IJNSE_INSF_IxEEEESM_EEEEEPS7_SP_SP_NSC_11hip_rocprim7__merge17predicate_wrapperIxxNSC_4lessIxEEEEEE10hipError_tPvRmT0_T1_T2_T3_T4_T5_mmT6_P12ihipStream_tbEUlT_E0_NS1_11comp_targetILNS1_3genE10ELNS1_11target_archE1201ELNS1_3gpuE5ELNS1_3repE0EEENS1_30default_config_static_selectorELNS0_4arch9wavefront6targetE0EEEvS10_,"axG",@progbits,_ZN7rocprim17ROCPRIM_400000_NS6detail17trampoline_kernelINS0_14default_configENS1_21merge_config_selectorINS0_5tupleIJxxEEENS0_10empty_typeEEEZNS1_10merge_implIS3_NS0_12zip_iteratorINS5_IJN6thrust23THRUST_200600_302600_NS6detail15normal_iteratorINSC_10device_ptrIKxEEEESI_EEEEESK_NSA_INS5_IJNSE_INSF_IxEEEESM_EEEEEPS7_SP_SP_NSC_11hip_rocprim7__merge17predicate_wrapperIxxNSC_4lessIxEEEEEE10hipError_tPvRmT0_T1_T2_T3_T4_T5_mmT6_P12ihipStream_tbEUlT_E0_NS1_11comp_targetILNS1_3genE10ELNS1_11target_archE1201ELNS1_3gpuE5ELNS1_3repE0EEENS1_30default_config_static_selectorELNS0_4arch9wavefront6targetE0EEEvS10_,comdat
.Lfunc_end221:
	.size	_ZN7rocprim17ROCPRIM_400000_NS6detail17trampoline_kernelINS0_14default_configENS1_21merge_config_selectorINS0_5tupleIJxxEEENS0_10empty_typeEEEZNS1_10merge_implIS3_NS0_12zip_iteratorINS5_IJN6thrust23THRUST_200600_302600_NS6detail15normal_iteratorINSC_10device_ptrIKxEEEESI_EEEEESK_NSA_INS5_IJNSE_INSF_IxEEEESM_EEEEEPS7_SP_SP_NSC_11hip_rocprim7__merge17predicate_wrapperIxxNSC_4lessIxEEEEEE10hipError_tPvRmT0_T1_T2_T3_T4_T5_mmT6_P12ihipStream_tbEUlT_E0_NS1_11comp_targetILNS1_3genE10ELNS1_11target_archE1201ELNS1_3gpuE5ELNS1_3repE0EEENS1_30default_config_static_selectorELNS0_4arch9wavefront6targetE0EEEvS10_, .Lfunc_end221-_ZN7rocprim17ROCPRIM_400000_NS6detail17trampoline_kernelINS0_14default_configENS1_21merge_config_selectorINS0_5tupleIJxxEEENS0_10empty_typeEEEZNS1_10merge_implIS3_NS0_12zip_iteratorINS5_IJN6thrust23THRUST_200600_302600_NS6detail15normal_iteratorINSC_10device_ptrIKxEEEESI_EEEEESK_NSA_INS5_IJNSE_INSF_IxEEEESM_EEEEEPS7_SP_SP_NSC_11hip_rocprim7__merge17predicate_wrapperIxxNSC_4lessIxEEEEEE10hipError_tPvRmT0_T1_T2_T3_T4_T5_mmT6_P12ihipStream_tbEUlT_E0_NS1_11comp_targetILNS1_3genE10ELNS1_11target_archE1201ELNS1_3gpuE5ELNS1_3repE0EEENS1_30default_config_static_selectorELNS0_4arch9wavefront6targetE0EEEvS10_
                                        ; -- End function
	.set _ZN7rocprim17ROCPRIM_400000_NS6detail17trampoline_kernelINS0_14default_configENS1_21merge_config_selectorINS0_5tupleIJxxEEENS0_10empty_typeEEEZNS1_10merge_implIS3_NS0_12zip_iteratorINS5_IJN6thrust23THRUST_200600_302600_NS6detail15normal_iteratorINSC_10device_ptrIKxEEEESI_EEEEESK_NSA_INS5_IJNSE_INSF_IxEEEESM_EEEEEPS7_SP_SP_NSC_11hip_rocprim7__merge17predicate_wrapperIxxNSC_4lessIxEEEEEE10hipError_tPvRmT0_T1_T2_T3_T4_T5_mmT6_P12ihipStream_tbEUlT_E0_NS1_11comp_targetILNS1_3genE10ELNS1_11target_archE1201ELNS1_3gpuE5ELNS1_3repE0EEENS1_30default_config_static_selectorELNS0_4arch9wavefront6targetE0EEEvS10_.num_vgpr, 0
	.set _ZN7rocprim17ROCPRIM_400000_NS6detail17trampoline_kernelINS0_14default_configENS1_21merge_config_selectorINS0_5tupleIJxxEEENS0_10empty_typeEEEZNS1_10merge_implIS3_NS0_12zip_iteratorINS5_IJN6thrust23THRUST_200600_302600_NS6detail15normal_iteratorINSC_10device_ptrIKxEEEESI_EEEEESK_NSA_INS5_IJNSE_INSF_IxEEEESM_EEEEEPS7_SP_SP_NSC_11hip_rocprim7__merge17predicate_wrapperIxxNSC_4lessIxEEEEEE10hipError_tPvRmT0_T1_T2_T3_T4_T5_mmT6_P12ihipStream_tbEUlT_E0_NS1_11comp_targetILNS1_3genE10ELNS1_11target_archE1201ELNS1_3gpuE5ELNS1_3repE0EEENS1_30default_config_static_selectorELNS0_4arch9wavefront6targetE0EEEvS10_.num_agpr, 0
	.set _ZN7rocprim17ROCPRIM_400000_NS6detail17trampoline_kernelINS0_14default_configENS1_21merge_config_selectorINS0_5tupleIJxxEEENS0_10empty_typeEEEZNS1_10merge_implIS3_NS0_12zip_iteratorINS5_IJN6thrust23THRUST_200600_302600_NS6detail15normal_iteratorINSC_10device_ptrIKxEEEESI_EEEEESK_NSA_INS5_IJNSE_INSF_IxEEEESM_EEEEEPS7_SP_SP_NSC_11hip_rocprim7__merge17predicate_wrapperIxxNSC_4lessIxEEEEEE10hipError_tPvRmT0_T1_T2_T3_T4_T5_mmT6_P12ihipStream_tbEUlT_E0_NS1_11comp_targetILNS1_3genE10ELNS1_11target_archE1201ELNS1_3gpuE5ELNS1_3repE0EEENS1_30default_config_static_selectorELNS0_4arch9wavefront6targetE0EEEvS10_.numbered_sgpr, 0
	.set _ZN7rocprim17ROCPRIM_400000_NS6detail17trampoline_kernelINS0_14default_configENS1_21merge_config_selectorINS0_5tupleIJxxEEENS0_10empty_typeEEEZNS1_10merge_implIS3_NS0_12zip_iteratorINS5_IJN6thrust23THRUST_200600_302600_NS6detail15normal_iteratorINSC_10device_ptrIKxEEEESI_EEEEESK_NSA_INS5_IJNSE_INSF_IxEEEESM_EEEEEPS7_SP_SP_NSC_11hip_rocprim7__merge17predicate_wrapperIxxNSC_4lessIxEEEEEE10hipError_tPvRmT0_T1_T2_T3_T4_T5_mmT6_P12ihipStream_tbEUlT_E0_NS1_11comp_targetILNS1_3genE10ELNS1_11target_archE1201ELNS1_3gpuE5ELNS1_3repE0EEENS1_30default_config_static_selectorELNS0_4arch9wavefront6targetE0EEEvS10_.num_named_barrier, 0
	.set _ZN7rocprim17ROCPRIM_400000_NS6detail17trampoline_kernelINS0_14default_configENS1_21merge_config_selectorINS0_5tupleIJxxEEENS0_10empty_typeEEEZNS1_10merge_implIS3_NS0_12zip_iteratorINS5_IJN6thrust23THRUST_200600_302600_NS6detail15normal_iteratorINSC_10device_ptrIKxEEEESI_EEEEESK_NSA_INS5_IJNSE_INSF_IxEEEESM_EEEEEPS7_SP_SP_NSC_11hip_rocprim7__merge17predicate_wrapperIxxNSC_4lessIxEEEEEE10hipError_tPvRmT0_T1_T2_T3_T4_T5_mmT6_P12ihipStream_tbEUlT_E0_NS1_11comp_targetILNS1_3genE10ELNS1_11target_archE1201ELNS1_3gpuE5ELNS1_3repE0EEENS1_30default_config_static_selectorELNS0_4arch9wavefront6targetE0EEEvS10_.private_seg_size, 0
	.set _ZN7rocprim17ROCPRIM_400000_NS6detail17trampoline_kernelINS0_14default_configENS1_21merge_config_selectorINS0_5tupleIJxxEEENS0_10empty_typeEEEZNS1_10merge_implIS3_NS0_12zip_iteratorINS5_IJN6thrust23THRUST_200600_302600_NS6detail15normal_iteratorINSC_10device_ptrIKxEEEESI_EEEEESK_NSA_INS5_IJNSE_INSF_IxEEEESM_EEEEEPS7_SP_SP_NSC_11hip_rocprim7__merge17predicate_wrapperIxxNSC_4lessIxEEEEEE10hipError_tPvRmT0_T1_T2_T3_T4_T5_mmT6_P12ihipStream_tbEUlT_E0_NS1_11comp_targetILNS1_3genE10ELNS1_11target_archE1201ELNS1_3gpuE5ELNS1_3repE0EEENS1_30default_config_static_selectorELNS0_4arch9wavefront6targetE0EEEvS10_.uses_vcc, 0
	.set _ZN7rocprim17ROCPRIM_400000_NS6detail17trampoline_kernelINS0_14default_configENS1_21merge_config_selectorINS0_5tupleIJxxEEENS0_10empty_typeEEEZNS1_10merge_implIS3_NS0_12zip_iteratorINS5_IJN6thrust23THRUST_200600_302600_NS6detail15normal_iteratorINSC_10device_ptrIKxEEEESI_EEEEESK_NSA_INS5_IJNSE_INSF_IxEEEESM_EEEEEPS7_SP_SP_NSC_11hip_rocprim7__merge17predicate_wrapperIxxNSC_4lessIxEEEEEE10hipError_tPvRmT0_T1_T2_T3_T4_T5_mmT6_P12ihipStream_tbEUlT_E0_NS1_11comp_targetILNS1_3genE10ELNS1_11target_archE1201ELNS1_3gpuE5ELNS1_3repE0EEENS1_30default_config_static_selectorELNS0_4arch9wavefront6targetE0EEEvS10_.uses_flat_scratch, 0
	.set _ZN7rocprim17ROCPRIM_400000_NS6detail17trampoline_kernelINS0_14default_configENS1_21merge_config_selectorINS0_5tupleIJxxEEENS0_10empty_typeEEEZNS1_10merge_implIS3_NS0_12zip_iteratorINS5_IJN6thrust23THRUST_200600_302600_NS6detail15normal_iteratorINSC_10device_ptrIKxEEEESI_EEEEESK_NSA_INS5_IJNSE_INSF_IxEEEESM_EEEEEPS7_SP_SP_NSC_11hip_rocprim7__merge17predicate_wrapperIxxNSC_4lessIxEEEEEE10hipError_tPvRmT0_T1_T2_T3_T4_T5_mmT6_P12ihipStream_tbEUlT_E0_NS1_11comp_targetILNS1_3genE10ELNS1_11target_archE1201ELNS1_3gpuE5ELNS1_3repE0EEENS1_30default_config_static_selectorELNS0_4arch9wavefront6targetE0EEEvS10_.has_dyn_sized_stack, 0
	.set _ZN7rocprim17ROCPRIM_400000_NS6detail17trampoline_kernelINS0_14default_configENS1_21merge_config_selectorINS0_5tupleIJxxEEENS0_10empty_typeEEEZNS1_10merge_implIS3_NS0_12zip_iteratorINS5_IJN6thrust23THRUST_200600_302600_NS6detail15normal_iteratorINSC_10device_ptrIKxEEEESI_EEEEESK_NSA_INS5_IJNSE_INSF_IxEEEESM_EEEEEPS7_SP_SP_NSC_11hip_rocprim7__merge17predicate_wrapperIxxNSC_4lessIxEEEEEE10hipError_tPvRmT0_T1_T2_T3_T4_T5_mmT6_P12ihipStream_tbEUlT_E0_NS1_11comp_targetILNS1_3genE10ELNS1_11target_archE1201ELNS1_3gpuE5ELNS1_3repE0EEENS1_30default_config_static_selectorELNS0_4arch9wavefront6targetE0EEEvS10_.has_recursion, 0
	.set _ZN7rocprim17ROCPRIM_400000_NS6detail17trampoline_kernelINS0_14default_configENS1_21merge_config_selectorINS0_5tupleIJxxEEENS0_10empty_typeEEEZNS1_10merge_implIS3_NS0_12zip_iteratorINS5_IJN6thrust23THRUST_200600_302600_NS6detail15normal_iteratorINSC_10device_ptrIKxEEEESI_EEEEESK_NSA_INS5_IJNSE_INSF_IxEEEESM_EEEEEPS7_SP_SP_NSC_11hip_rocprim7__merge17predicate_wrapperIxxNSC_4lessIxEEEEEE10hipError_tPvRmT0_T1_T2_T3_T4_T5_mmT6_P12ihipStream_tbEUlT_E0_NS1_11comp_targetILNS1_3genE10ELNS1_11target_archE1201ELNS1_3gpuE5ELNS1_3repE0EEENS1_30default_config_static_selectorELNS0_4arch9wavefront6targetE0EEEvS10_.has_indirect_call, 0
	.section	.AMDGPU.csdata,"",@progbits
; Kernel info:
; codeLenInByte = 0
; TotalNumSgprs: 0
; NumVgprs: 0
; ScratchSize: 0
; MemoryBound: 0
; FloatMode: 240
; IeeeMode: 1
; LDSByteSize: 0 bytes/workgroup (compile time only)
; SGPRBlocks: 0
; VGPRBlocks: 0
; NumSGPRsForWavesPerEU: 1
; NumVGPRsForWavesPerEU: 1
; Occupancy: 16
; WaveLimiterHint : 0
; COMPUTE_PGM_RSRC2:SCRATCH_EN: 0
; COMPUTE_PGM_RSRC2:USER_SGPR: 6
; COMPUTE_PGM_RSRC2:TRAP_HANDLER: 0
; COMPUTE_PGM_RSRC2:TGID_X_EN: 1
; COMPUTE_PGM_RSRC2:TGID_Y_EN: 0
; COMPUTE_PGM_RSRC2:TGID_Z_EN: 0
; COMPUTE_PGM_RSRC2:TIDIG_COMP_CNT: 0
	.section	.text._ZN7rocprim17ROCPRIM_400000_NS6detail17trampoline_kernelINS0_14default_configENS1_21merge_config_selectorINS0_5tupleIJxxEEENS0_10empty_typeEEEZNS1_10merge_implIS3_NS0_12zip_iteratorINS5_IJN6thrust23THRUST_200600_302600_NS6detail15normal_iteratorINSC_10device_ptrIKxEEEESI_EEEEESK_NSA_INS5_IJNSE_INSF_IxEEEESM_EEEEEPS7_SP_SP_NSC_11hip_rocprim7__merge17predicate_wrapperIxxNSC_4lessIxEEEEEE10hipError_tPvRmT0_T1_T2_T3_T4_T5_mmT6_P12ihipStream_tbEUlT_E0_NS1_11comp_targetILNS1_3genE10ELNS1_11target_archE1200ELNS1_3gpuE4ELNS1_3repE0EEENS1_30default_config_static_selectorELNS0_4arch9wavefront6targetE0EEEvS10_,"axG",@progbits,_ZN7rocprim17ROCPRIM_400000_NS6detail17trampoline_kernelINS0_14default_configENS1_21merge_config_selectorINS0_5tupleIJxxEEENS0_10empty_typeEEEZNS1_10merge_implIS3_NS0_12zip_iteratorINS5_IJN6thrust23THRUST_200600_302600_NS6detail15normal_iteratorINSC_10device_ptrIKxEEEESI_EEEEESK_NSA_INS5_IJNSE_INSF_IxEEEESM_EEEEEPS7_SP_SP_NSC_11hip_rocprim7__merge17predicate_wrapperIxxNSC_4lessIxEEEEEE10hipError_tPvRmT0_T1_T2_T3_T4_T5_mmT6_P12ihipStream_tbEUlT_E0_NS1_11comp_targetILNS1_3genE10ELNS1_11target_archE1200ELNS1_3gpuE4ELNS1_3repE0EEENS1_30default_config_static_selectorELNS0_4arch9wavefront6targetE0EEEvS10_,comdat
	.protected	_ZN7rocprim17ROCPRIM_400000_NS6detail17trampoline_kernelINS0_14default_configENS1_21merge_config_selectorINS0_5tupleIJxxEEENS0_10empty_typeEEEZNS1_10merge_implIS3_NS0_12zip_iteratorINS5_IJN6thrust23THRUST_200600_302600_NS6detail15normal_iteratorINSC_10device_ptrIKxEEEESI_EEEEESK_NSA_INS5_IJNSE_INSF_IxEEEESM_EEEEEPS7_SP_SP_NSC_11hip_rocprim7__merge17predicate_wrapperIxxNSC_4lessIxEEEEEE10hipError_tPvRmT0_T1_T2_T3_T4_T5_mmT6_P12ihipStream_tbEUlT_E0_NS1_11comp_targetILNS1_3genE10ELNS1_11target_archE1200ELNS1_3gpuE4ELNS1_3repE0EEENS1_30default_config_static_selectorELNS0_4arch9wavefront6targetE0EEEvS10_ ; -- Begin function _ZN7rocprim17ROCPRIM_400000_NS6detail17trampoline_kernelINS0_14default_configENS1_21merge_config_selectorINS0_5tupleIJxxEEENS0_10empty_typeEEEZNS1_10merge_implIS3_NS0_12zip_iteratorINS5_IJN6thrust23THRUST_200600_302600_NS6detail15normal_iteratorINSC_10device_ptrIKxEEEESI_EEEEESK_NSA_INS5_IJNSE_INSF_IxEEEESM_EEEEEPS7_SP_SP_NSC_11hip_rocprim7__merge17predicate_wrapperIxxNSC_4lessIxEEEEEE10hipError_tPvRmT0_T1_T2_T3_T4_T5_mmT6_P12ihipStream_tbEUlT_E0_NS1_11comp_targetILNS1_3genE10ELNS1_11target_archE1200ELNS1_3gpuE4ELNS1_3repE0EEENS1_30default_config_static_selectorELNS0_4arch9wavefront6targetE0EEEvS10_
	.globl	_ZN7rocprim17ROCPRIM_400000_NS6detail17trampoline_kernelINS0_14default_configENS1_21merge_config_selectorINS0_5tupleIJxxEEENS0_10empty_typeEEEZNS1_10merge_implIS3_NS0_12zip_iteratorINS5_IJN6thrust23THRUST_200600_302600_NS6detail15normal_iteratorINSC_10device_ptrIKxEEEESI_EEEEESK_NSA_INS5_IJNSE_INSF_IxEEEESM_EEEEEPS7_SP_SP_NSC_11hip_rocprim7__merge17predicate_wrapperIxxNSC_4lessIxEEEEEE10hipError_tPvRmT0_T1_T2_T3_T4_T5_mmT6_P12ihipStream_tbEUlT_E0_NS1_11comp_targetILNS1_3genE10ELNS1_11target_archE1200ELNS1_3gpuE4ELNS1_3repE0EEENS1_30default_config_static_selectorELNS0_4arch9wavefront6targetE0EEEvS10_
	.p2align	8
	.type	_ZN7rocprim17ROCPRIM_400000_NS6detail17trampoline_kernelINS0_14default_configENS1_21merge_config_selectorINS0_5tupleIJxxEEENS0_10empty_typeEEEZNS1_10merge_implIS3_NS0_12zip_iteratorINS5_IJN6thrust23THRUST_200600_302600_NS6detail15normal_iteratorINSC_10device_ptrIKxEEEESI_EEEEESK_NSA_INS5_IJNSE_INSF_IxEEEESM_EEEEEPS7_SP_SP_NSC_11hip_rocprim7__merge17predicate_wrapperIxxNSC_4lessIxEEEEEE10hipError_tPvRmT0_T1_T2_T3_T4_T5_mmT6_P12ihipStream_tbEUlT_E0_NS1_11comp_targetILNS1_3genE10ELNS1_11target_archE1200ELNS1_3gpuE4ELNS1_3repE0EEENS1_30default_config_static_selectorELNS0_4arch9wavefront6targetE0EEEvS10_,@function
_ZN7rocprim17ROCPRIM_400000_NS6detail17trampoline_kernelINS0_14default_configENS1_21merge_config_selectorINS0_5tupleIJxxEEENS0_10empty_typeEEEZNS1_10merge_implIS3_NS0_12zip_iteratorINS5_IJN6thrust23THRUST_200600_302600_NS6detail15normal_iteratorINSC_10device_ptrIKxEEEESI_EEEEESK_NSA_INS5_IJNSE_INSF_IxEEEESM_EEEEEPS7_SP_SP_NSC_11hip_rocprim7__merge17predicate_wrapperIxxNSC_4lessIxEEEEEE10hipError_tPvRmT0_T1_T2_T3_T4_T5_mmT6_P12ihipStream_tbEUlT_E0_NS1_11comp_targetILNS1_3genE10ELNS1_11target_archE1200ELNS1_3gpuE4ELNS1_3repE0EEENS1_30default_config_static_selectorELNS0_4arch9wavefront6targetE0EEEvS10_: ; @_ZN7rocprim17ROCPRIM_400000_NS6detail17trampoline_kernelINS0_14default_configENS1_21merge_config_selectorINS0_5tupleIJxxEEENS0_10empty_typeEEEZNS1_10merge_implIS3_NS0_12zip_iteratorINS5_IJN6thrust23THRUST_200600_302600_NS6detail15normal_iteratorINSC_10device_ptrIKxEEEESI_EEEEESK_NSA_INS5_IJNSE_INSF_IxEEEESM_EEEEEPS7_SP_SP_NSC_11hip_rocprim7__merge17predicate_wrapperIxxNSC_4lessIxEEEEEE10hipError_tPvRmT0_T1_T2_T3_T4_T5_mmT6_P12ihipStream_tbEUlT_E0_NS1_11comp_targetILNS1_3genE10ELNS1_11target_archE1200ELNS1_3gpuE4ELNS1_3repE0EEENS1_30default_config_static_selectorELNS0_4arch9wavefront6targetE0EEEvS10_
; %bb.0:
	.section	.rodata,"a",@progbits
	.p2align	6, 0x0
	.amdhsa_kernel _ZN7rocprim17ROCPRIM_400000_NS6detail17trampoline_kernelINS0_14default_configENS1_21merge_config_selectorINS0_5tupleIJxxEEENS0_10empty_typeEEEZNS1_10merge_implIS3_NS0_12zip_iteratorINS5_IJN6thrust23THRUST_200600_302600_NS6detail15normal_iteratorINSC_10device_ptrIKxEEEESI_EEEEESK_NSA_INS5_IJNSE_INSF_IxEEEESM_EEEEEPS7_SP_SP_NSC_11hip_rocprim7__merge17predicate_wrapperIxxNSC_4lessIxEEEEEE10hipError_tPvRmT0_T1_T2_T3_T4_T5_mmT6_P12ihipStream_tbEUlT_E0_NS1_11comp_targetILNS1_3genE10ELNS1_11target_archE1200ELNS1_3gpuE4ELNS1_3repE0EEENS1_30default_config_static_selectorELNS0_4arch9wavefront6targetE0EEEvS10_
		.amdhsa_group_segment_fixed_size 0
		.amdhsa_private_segment_fixed_size 0
		.amdhsa_kernarg_size 112
		.amdhsa_user_sgpr_count 6
		.amdhsa_user_sgpr_private_segment_buffer 1
		.amdhsa_user_sgpr_dispatch_ptr 0
		.amdhsa_user_sgpr_queue_ptr 0
		.amdhsa_user_sgpr_kernarg_segment_ptr 1
		.amdhsa_user_sgpr_dispatch_id 0
		.amdhsa_user_sgpr_flat_scratch_init 0
		.amdhsa_user_sgpr_private_segment_size 0
		.amdhsa_wavefront_size32 1
		.amdhsa_uses_dynamic_stack 0
		.amdhsa_system_sgpr_private_segment_wavefront_offset 0
		.amdhsa_system_sgpr_workgroup_id_x 1
		.amdhsa_system_sgpr_workgroup_id_y 0
		.amdhsa_system_sgpr_workgroup_id_z 0
		.amdhsa_system_sgpr_workgroup_info 0
		.amdhsa_system_vgpr_workitem_id 0
		.amdhsa_next_free_vgpr 1
		.amdhsa_next_free_sgpr 1
		.amdhsa_reserve_vcc 0
		.amdhsa_reserve_flat_scratch 0
		.amdhsa_float_round_mode_32 0
		.amdhsa_float_round_mode_16_64 0
		.amdhsa_float_denorm_mode_32 3
		.amdhsa_float_denorm_mode_16_64 3
		.amdhsa_dx10_clamp 1
		.amdhsa_ieee_mode 1
		.amdhsa_fp16_overflow 0
		.amdhsa_workgroup_processor_mode 1
		.amdhsa_memory_ordered 1
		.amdhsa_forward_progress 1
		.amdhsa_shared_vgpr_count 0
		.amdhsa_exception_fp_ieee_invalid_op 0
		.amdhsa_exception_fp_denorm_src 0
		.amdhsa_exception_fp_ieee_div_zero 0
		.amdhsa_exception_fp_ieee_overflow 0
		.amdhsa_exception_fp_ieee_underflow 0
		.amdhsa_exception_fp_ieee_inexact 0
		.amdhsa_exception_int_div_zero 0
	.end_amdhsa_kernel
	.section	.text._ZN7rocprim17ROCPRIM_400000_NS6detail17trampoline_kernelINS0_14default_configENS1_21merge_config_selectorINS0_5tupleIJxxEEENS0_10empty_typeEEEZNS1_10merge_implIS3_NS0_12zip_iteratorINS5_IJN6thrust23THRUST_200600_302600_NS6detail15normal_iteratorINSC_10device_ptrIKxEEEESI_EEEEESK_NSA_INS5_IJNSE_INSF_IxEEEESM_EEEEEPS7_SP_SP_NSC_11hip_rocprim7__merge17predicate_wrapperIxxNSC_4lessIxEEEEEE10hipError_tPvRmT0_T1_T2_T3_T4_T5_mmT6_P12ihipStream_tbEUlT_E0_NS1_11comp_targetILNS1_3genE10ELNS1_11target_archE1200ELNS1_3gpuE4ELNS1_3repE0EEENS1_30default_config_static_selectorELNS0_4arch9wavefront6targetE0EEEvS10_,"axG",@progbits,_ZN7rocprim17ROCPRIM_400000_NS6detail17trampoline_kernelINS0_14default_configENS1_21merge_config_selectorINS0_5tupleIJxxEEENS0_10empty_typeEEEZNS1_10merge_implIS3_NS0_12zip_iteratorINS5_IJN6thrust23THRUST_200600_302600_NS6detail15normal_iteratorINSC_10device_ptrIKxEEEESI_EEEEESK_NSA_INS5_IJNSE_INSF_IxEEEESM_EEEEEPS7_SP_SP_NSC_11hip_rocprim7__merge17predicate_wrapperIxxNSC_4lessIxEEEEEE10hipError_tPvRmT0_T1_T2_T3_T4_T5_mmT6_P12ihipStream_tbEUlT_E0_NS1_11comp_targetILNS1_3genE10ELNS1_11target_archE1200ELNS1_3gpuE4ELNS1_3repE0EEENS1_30default_config_static_selectorELNS0_4arch9wavefront6targetE0EEEvS10_,comdat
.Lfunc_end222:
	.size	_ZN7rocprim17ROCPRIM_400000_NS6detail17trampoline_kernelINS0_14default_configENS1_21merge_config_selectorINS0_5tupleIJxxEEENS0_10empty_typeEEEZNS1_10merge_implIS3_NS0_12zip_iteratorINS5_IJN6thrust23THRUST_200600_302600_NS6detail15normal_iteratorINSC_10device_ptrIKxEEEESI_EEEEESK_NSA_INS5_IJNSE_INSF_IxEEEESM_EEEEEPS7_SP_SP_NSC_11hip_rocprim7__merge17predicate_wrapperIxxNSC_4lessIxEEEEEE10hipError_tPvRmT0_T1_T2_T3_T4_T5_mmT6_P12ihipStream_tbEUlT_E0_NS1_11comp_targetILNS1_3genE10ELNS1_11target_archE1200ELNS1_3gpuE4ELNS1_3repE0EEENS1_30default_config_static_selectorELNS0_4arch9wavefront6targetE0EEEvS10_, .Lfunc_end222-_ZN7rocprim17ROCPRIM_400000_NS6detail17trampoline_kernelINS0_14default_configENS1_21merge_config_selectorINS0_5tupleIJxxEEENS0_10empty_typeEEEZNS1_10merge_implIS3_NS0_12zip_iteratorINS5_IJN6thrust23THRUST_200600_302600_NS6detail15normal_iteratorINSC_10device_ptrIKxEEEESI_EEEEESK_NSA_INS5_IJNSE_INSF_IxEEEESM_EEEEEPS7_SP_SP_NSC_11hip_rocprim7__merge17predicate_wrapperIxxNSC_4lessIxEEEEEE10hipError_tPvRmT0_T1_T2_T3_T4_T5_mmT6_P12ihipStream_tbEUlT_E0_NS1_11comp_targetILNS1_3genE10ELNS1_11target_archE1200ELNS1_3gpuE4ELNS1_3repE0EEENS1_30default_config_static_selectorELNS0_4arch9wavefront6targetE0EEEvS10_
                                        ; -- End function
	.set _ZN7rocprim17ROCPRIM_400000_NS6detail17trampoline_kernelINS0_14default_configENS1_21merge_config_selectorINS0_5tupleIJxxEEENS0_10empty_typeEEEZNS1_10merge_implIS3_NS0_12zip_iteratorINS5_IJN6thrust23THRUST_200600_302600_NS6detail15normal_iteratorINSC_10device_ptrIKxEEEESI_EEEEESK_NSA_INS5_IJNSE_INSF_IxEEEESM_EEEEEPS7_SP_SP_NSC_11hip_rocprim7__merge17predicate_wrapperIxxNSC_4lessIxEEEEEE10hipError_tPvRmT0_T1_T2_T3_T4_T5_mmT6_P12ihipStream_tbEUlT_E0_NS1_11comp_targetILNS1_3genE10ELNS1_11target_archE1200ELNS1_3gpuE4ELNS1_3repE0EEENS1_30default_config_static_selectorELNS0_4arch9wavefront6targetE0EEEvS10_.num_vgpr, 0
	.set _ZN7rocprim17ROCPRIM_400000_NS6detail17trampoline_kernelINS0_14default_configENS1_21merge_config_selectorINS0_5tupleIJxxEEENS0_10empty_typeEEEZNS1_10merge_implIS3_NS0_12zip_iteratorINS5_IJN6thrust23THRUST_200600_302600_NS6detail15normal_iteratorINSC_10device_ptrIKxEEEESI_EEEEESK_NSA_INS5_IJNSE_INSF_IxEEEESM_EEEEEPS7_SP_SP_NSC_11hip_rocprim7__merge17predicate_wrapperIxxNSC_4lessIxEEEEEE10hipError_tPvRmT0_T1_T2_T3_T4_T5_mmT6_P12ihipStream_tbEUlT_E0_NS1_11comp_targetILNS1_3genE10ELNS1_11target_archE1200ELNS1_3gpuE4ELNS1_3repE0EEENS1_30default_config_static_selectorELNS0_4arch9wavefront6targetE0EEEvS10_.num_agpr, 0
	.set _ZN7rocprim17ROCPRIM_400000_NS6detail17trampoline_kernelINS0_14default_configENS1_21merge_config_selectorINS0_5tupleIJxxEEENS0_10empty_typeEEEZNS1_10merge_implIS3_NS0_12zip_iteratorINS5_IJN6thrust23THRUST_200600_302600_NS6detail15normal_iteratorINSC_10device_ptrIKxEEEESI_EEEEESK_NSA_INS5_IJNSE_INSF_IxEEEESM_EEEEEPS7_SP_SP_NSC_11hip_rocprim7__merge17predicate_wrapperIxxNSC_4lessIxEEEEEE10hipError_tPvRmT0_T1_T2_T3_T4_T5_mmT6_P12ihipStream_tbEUlT_E0_NS1_11comp_targetILNS1_3genE10ELNS1_11target_archE1200ELNS1_3gpuE4ELNS1_3repE0EEENS1_30default_config_static_selectorELNS0_4arch9wavefront6targetE0EEEvS10_.numbered_sgpr, 0
	.set _ZN7rocprim17ROCPRIM_400000_NS6detail17trampoline_kernelINS0_14default_configENS1_21merge_config_selectorINS0_5tupleIJxxEEENS0_10empty_typeEEEZNS1_10merge_implIS3_NS0_12zip_iteratorINS5_IJN6thrust23THRUST_200600_302600_NS6detail15normal_iteratorINSC_10device_ptrIKxEEEESI_EEEEESK_NSA_INS5_IJNSE_INSF_IxEEEESM_EEEEEPS7_SP_SP_NSC_11hip_rocprim7__merge17predicate_wrapperIxxNSC_4lessIxEEEEEE10hipError_tPvRmT0_T1_T2_T3_T4_T5_mmT6_P12ihipStream_tbEUlT_E0_NS1_11comp_targetILNS1_3genE10ELNS1_11target_archE1200ELNS1_3gpuE4ELNS1_3repE0EEENS1_30default_config_static_selectorELNS0_4arch9wavefront6targetE0EEEvS10_.num_named_barrier, 0
	.set _ZN7rocprim17ROCPRIM_400000_NS6detail17trampoline_kernelINS0_14default_configENS1_21merge_config_selectorINS0_5tupleIJxxEEENS0_10empty_typeEEEZNS1_10merge_implIS3_NS0_12zip_iteratorINS5_IJN6thrust23THRUST_200600_302600_NS6detail15normal_iteratorINSC_10device_ptrIKxEEEESI_EEEEESK_NSA_INS5_IJNSE_INSF_IxEEEESM_EEEEEPS7_SP_SP_NSC_11hip_rocprim7__merge17predicate_wrapperIxxNSC_4lessIxEEEEEE10hipError_tPvRmT0_T1_T2_T3_T4_T5_mmT6_P12ihipStream_tbEUlT_E0_NS1_11comp_targetILNS1_3genE10ELNS1_11target_archE1200ELNS1_3gpuE4ELNS1_3repE0EEENS1_30default_config_static_selectorELNS0_4arch9wavefront6targetE0EEEvS10_.private_seg_size, 0
	.set _ZN7rocprim17ROCPRIM_400000_NS6detail17trampoline_kernelINS0_14default_configENS1_21merge_config_selectorINS0_5tupleIJxxEEENS0_10empty_typeEEEZNS1_10merge_implIS3_NS0_12zip_iteratorINS5_IJN6thrust23THRUST_200600_302600_NS6detail15normal_iteratorINSC_10device_ptrIKxEEEESI_EEEEESK_NSA_INS5_IJNSE_INSF_IxEEEESM_EEEEEPS7_SP_SP_NSC_11hip_rocprim7__merge17predicate_wrapperIxxNSC_4lessIxEEEEEE10hipError_tPvRmT0_T1_T2_T3_T4_T5_mmT6_P12ihipStream_tbEUlT_E0_NS1_11comp_targetILNS1_3genE10ELNS1_11target_archE1200ELNS1_3gpuE4ELNS1_3repE0EEENS1_30default_config_static_selectorELNS0_4arch9wavefront6targetE0EEEvS10_.uses_vcc, 0
	.set _ZN7rocprim17ROCPRIM_400000_NS6detail17trampoline_kernelINS0_14default_configENS1_21merge_config_selectorINS0_5tupleIJxxEEENS0_10empty_typeEEEZNS1_10merge_implIS3_NS0_12zip_iteratorINS5_IJN6thrust23THRUST_200600_302600_NS6detail15normal_iteratorINSC_10device_ptrIKxEEEESI_EEEEESK_NSA_INS5_IJNSE_INSF_IxEEEESM_EEEEEPS7_SP_SP_NSC_11hip_rocprim7__merge17predicate_wrapperIxxNSC_4lessIxEEEEEE10hipError_tPvRmT0_T1_T2_T3_T4_T5_mmT6_P12ihipStream_tbEUlT_E0_NS1_11comp_targetILNS1_3genE10ELNS1_11target_archE1200ELNS1_3gpuE4ELNS1_3repE0EEENS1_30default_config_static_selectorELNS0_4arch9wavefront6targetE0EEEvS10_.uses_flat_scratch, 0
	.set _ZN7rocprim17ROCPRIM_400000_NS6detail17trampoline_kernelINS0_14default_configENS1_21merge_config_selectorINS0_5tupleIJxxEEENS0_10empty_typeEEEZNS1_10merge_implIS3_NS0_12zip_iteratorINS5_IJN6thrust23THRUST_200600_302600_NS6detail15normal_iteratorINSC_10device_ptrIKxEEEESI_EEEEESK_NSA_INS5_IJNSE_INSF_IxEEEESM_EEEEEPS7_SP_SP_NSC_11hip_rocprim7__merge17predicate_wrapperIxxNSC_4lessIxEEEEEE10hipError_tPvRmT0_T1_T2_T3_T4_T5_mmT6_P12ihipStream_tbEUlT_E0_NS1_11comp_targetILNS1_3genE10ELNS1_11target_archE1200ELNS1_3gpuE4ELNS1_3repE0EEENS1_30default_config_static_selectorELNS0_4arch9wavefront6targetE0EEEvS10_.has_dyn_sized_stack, 0
	.set _ZN7rocprim17ROCPRIM_400000_NS6detail17trampoline_kernelINS0_14default_configENS1_21merge_config_selectorINS0_5tupleIJxxEEENS0_10empty_typeEEEZNS1_10merge_implIS3_NS0_12zip_iteratorINS5_IJN6thrust23THRUST_200600_302600_NS6detail15normal_iteratorINSC_10device_ptrIKxEEEESI_EEEEESK_NSA_INS5_IJNSE_INSF_IxEEEESM_EEEEEPS7_SP_SP_NSC_11hip_rocprim7__merge17predicate_wrapperIxxNSC_4lessIxEEEEEE10hipError_tPvRmT0_T1_T2_T3_T4_T5_mmT6_P12ihipStream_tbEUlT_E0_NS1_11comp_targetILNS1_3genE10ELNS1_11target_archE1200ELNS1_3gpuE4ELNS1_3repE0EEENS1_30default_config_static_selectorELNS0_4arch9wavefront6targetE0EEEvS10_.has_recursion, 0
	.set _ZN7rocprim17ROCPRIM_400000_NS6detail17trampoline_kernelINS0_14default_configENS1_21merge_config_selectorINS0_5tupleIJxxEEENS0_10empty_typeEEEZNS1_10merge_implIS3_NS0_12zip_iteratorINS5_IJN6thrust23THRUST_200600_302600_NS6detail15normal_iteratorINSC_10device_ptrIKxEEEESI_EEEEESK_NSA_INS5_IJNSE_INSF_IxEEEESM_EEEEEPS7_SP_SP_NSC_11hip_rocprim7__merge17predicate_wrapperIxxNSC_4lessIxEEEEEE10hipError_tPvRmT0_T1_T2_T3_T4_T5_mmT6_P12ihipStream_tbEUlT_E0_NS1_11comp_targetILNS1_3genE10ELNS1_11target_archE1200ELNS1_3gpuE4ELNS1_3repE0EEENS1_30default_config_static_selectorELNS0_4arch9wavefront6targetE0EEEvS10_.has_indirect_call, 0
	.section	.AMDGPU.csdata,"",@progbits
; Kernel info:
; codeLenInByte = 0
; TotalNumSgprs: 0
; NumVgprs: 0
; ScratchSize: 0
; MemoryBound: 0
; FloatMode: 240
; IeeeMode: 1
; LDSByteSize: 0 bytes/workgroup (compile time only)
; SGPRBlocks: 0
; VGPRBlocks: 0
; NumSGPRsForWavesPerEU: 1
; NumVGPRsForWavesPerEU: 1
; Occupancy: 16
; WaveLimiterHint : 0
; COMPUTE_PGM_RSRC2:SCRATCH_EN: 0
; COMPUTE_PGM_RSRC2:USER_SGPR: 6
; COMPUTE_PGM_RSRC2:TRAP_HANDLER: 0
; COMPUTE_PGM_RSRC2:TGID_X_EN: 1
; COMPUTE_PGM_RSRC2:TGID_Y_EN: 0
; COMPUTE_PGM_RSRC2:TGID_Z_EN: 0
; COMPUTE_PGM_RSRC2:TIDIG_COMP_CNT: 0
	.section	.text._ZN7rocprim17ROCPRIM_400000_NS6detail17trampoline_kernelINS0_14default_configENS1_21merge_config_selectorINS0_5tupleIJxxEEENS0_10empty_typeEEEZNS1_10merge_implIS3_NS0_12zip_iteratorINS5_IJN6thrust23THRUST_200600_302600_NS6detail15normal_iteratorINSC_10device_ptrIKxEEEESI_EEEEESK_NSA_INS5_IJNSE_INSF_IxEEEESM_EEEEEPS7_SP_SP_NSC_11hip_rocprim7__merge17predicate_wrapperIxxNSC_4lessIxEEEEEE10hipError_tPvRmT0_T1_T2_T3_T4_T5_mmT6_P12ihipStream_tbEUlT_E0_NS1_11comp_targetILNS1_3genE9ELNS1_11target_archE1100ELNS1_3gpuE3ELNS1_3repE0EEENS1_30default_config_static_selectorELNS0_4arch9wavefront6targetE0EEEvS10_,"axG",@progbits,_ZN7rocprim17ROCPRIM_400000_NS6detail17trampoline_kernelINS0_14default_configENS1_21merge_config_selectorINS0_5tupleIJxxEEENS0_10empty_typeEEEZNS1_10merge_implIS3_NS0_12zip_iteratorINS5_IJN6thrust23THRUST_200600_302600_NS6detail15normal_iteratorINSC_10device_ptrIKxEEEESI_EEEEESK_NSA_INS5_IJNSE_INSF_IxEEEESM_EEEEEPS7_SP_SP_NSC_11hip_rocprim7__merge17predicate_wrapperIxxNSC_4lessIxEEEEEE10hipError_tPvRmT0_T1_T2_T3_T4_T5_mmT6_P12ihipStream_tbEUlT_E0_NS1_11comp_targetILNS1_3genE9ELNS1_11target_archE1100ELNS1_3gpuE3ELNS1_3repE0EEENS1_30default_config_static_selectorELNS0_4arch9wavefront6targetE0EEEvS10_,comdat
	.protected	_ZN7rocprim17ROCPRIM_400000_NS6detail17trampoline_kernelINS0_14default_configENS1_21merge_config_selectorINS0_5tupleIJxxEEENS0_10empty_typeEEEZNS1_10merge_implIS3_NS0_12zip_iteratorINS5_IJN6thrust23THRUST_200600_302600_NS6detail15normal_iteratorINSC_10device_ptrIKxEEEESI_EEEEESK_NSA_INS5_IJNSE_INSF_IxEEEESM_EEEEEPS7_SP_SP_NSC_11hip_rocprim7__merge17predicate_wrapperIxxNSC_4lessIxEEEEEE10hipError_tPvRmT0_T1_T2_T3_T4_T5_mmT6_P12ihipStream_tbEUlT_E0_NS1_11comp_targetILNS1_3genE9ELNS1_11target_archE1100ELNS1_3gpuE3ELNS1_3repE0EEENS1_30default_config_static_selectorELNS0_4arch9wavefront6targetE0EEEvS10_ ; -- Begin function _ZN7rocprim17ROCPRIM_400000_NS6detail17trampoline_kernelINS0_14default_configENS1_21merge_config_selectorINS0_5tupleIJxxEEENS0_10empty_typeEEEZNS1_10merge_implIS3_NS0_12zip_iteratorINS5_IJN6thrust23THRUST_200600_302600_NS6detail15normal_iteratorINSC_10device_ptrIKxEEEESI_EEEEESK_NSA_INS5_IJNSE_INSF_IxEEEESM_EEEEEPS7_SP_SP_NSC_11hip_rocprim7__merge17predicate_wrapperIxxNSC_4lessIxEEEEEE10hipError_tPvRmT0_T1_T2_T3_T4_T5_mmT6_P12ihipStream_tbEUlT_E0_NS1_11comp_targetILNS1_3genE9ELNS1_11target_archE1100ELNS1_3gpuE3ELNS1_3repE0EEENS1_30default_config_static_selectorELNS0_4arch9wavefront6targetE0EEEvS10_
	.globl	_ZN7rocprim17ROCPRIM_400000_NS6detail17trampoline_kernelINS0_14default_configENS1_21merge_config_selectorINS0_5tupleIJxxEEENS0_10empty_typeEEEZNS1_10merge_implIS3_NS0_12zip_iteratorINS5_IJN6thrust23THRUST_200600_302600_NS6detail15normal_iteratorINSC_10device_ptrIKxEEEESI_EEEEESK_NSA_INS5_IJNSE_INSF_IxEEEESM_EEEEEPS7_SP_SP_NSC_11hip_rocprim7__merge17predicate_wrapperIxxNSC_4lessIxEEEEEE10hipError_tPvRmT0_T1_T2_T3_T4_T5_mmT6_P12ihipStream_tbEUlT_E0_NS1_11comp_targetILNS1_3genE9ELNS1_11target_archE1100ELNS1_3gpuE3ELNS1_3repE0EEENS1_30default_config_static_selectorELNS0_4arch9wavefront6targetE0EEEvS10_
	.p2align	8
	.type	_ZN7rocprim17ROCPRIM_400000_NS6detail17trampoline_kernelINS0_14default_configENS1_21merge_config_selectorINS0_5tupleIJxxEEENS0_10empty_typeEEEZNS1_10merge_implIS3_NS0_12zip_iteratorINS5_IJN6thrust23THRUST_200600_302600_NS6detail15normal_iteratorINSC_10device_ptrIKxEEEESI_EEEEESK_NSA_INS5_IJNSE_INSF_IxEEEESM_EEEEEPS7_SP_SP_NSC_11hip_rocprim7__merge17predicate_wrapperIxxNSC_4lessIxEEEEEE10hipError_tPvRmT0_T1_T2_T3_T4_T5_mmT6_P12ihipStream_tbEUlT_E0_NS1_11comp_targetILNS1_3genE9ELNS1_11target_archE1100ELNS1_3gpuE3ELNS1_3repE0EEENS1_30default_config_static_selectorELNS0_4arch9wavefront6targetE0EEEvS10_,@function
_ZN7rocprim17ROCPRIM_400000_NS6detail17trampoline_kernelINS0_14default_configENS1_21merge_config_selectorINS0_5tupleIJxxEEENS0_10empty_typeEEEZNS1_10merge_implIS3_NS0_12zip_iteratorINS5_IJN6thrust23THRUST_200600_302600_NS6detail15normal_iteratorINSC_10device_ptrIKxEEEESI_EEEEESK_NSA_INS5_IJNSE_INSF_IxEEEESM_EEEEEPS7_SP_SP_NSC_11hip_rocprim7__merge17predicate_wrapperIxxNSC_4lessIxEEEEEE10hipError_tPvRmT0_T1_T2_T3_T4_T5_mmT6_P12ihipStream_tbEUlT_E0_NS1_11comp_targetILNS1_3genE9ELNS1_11target_archE1100ELNS1_3gpuE3ELNS1_3repE0EEENS1_30default_config_static_selectorELNS0_4arch9wavefront6targetE0EEEvS10_: ; @_ZN7rocprim17ROCPRIM_400000_NS6detail17trampoline_kernelINS0_14default_configENS1_21merge_config_selectorINS0_5tupleIJxxEEENS0_10empty_typeEEEZNS1_10merge_implIS3_NS0_12zip_iteratorINS5_IJN6thrust23THRUST_200600_302600_NS6detail15normal_iteratorINSC_10device_ptrIKxEEEESI_EEEEESK_NSA_INS5_IJNSE_INSF_IxEEEESM_EEEEEPS7_SP_SP_NSC_11hip_rocprim7__merge17predicate_wrapperIxxNSC_4lessIxEEEEEE10hipError_tPvRmT0_T1_T2_T3_T4_T5_mmT6_P12ihipStream_tbEUlT_E0_NS1_11comp_targetILNS1_3genE9ELNS1_11target_archE1100ELNS1_3gpuE3ELNS1_3repE0EEENS1_30default_config_static_selectorELNS0_4arch9wavefront6targetE0EEEvS10_
; %bb.0:
	.section	.rodata,"a",@progbits
	.p2align	6, 0x0
	.amdhsa_kernel _ZN7rocprim17ROCPRIM_400000_NS6detail17trampoline_kernelINS0_14default_configENS1_21merge_config_selectorINS0_5tupleIJxxEEENS0_10empty_typeEEEZNS1_10merge_implIS3_NS0_12zip_iteratorINS5_IJN6thrust23THRUST_200600_302600_NS6detail15normal_iteratorINSC_10device_ptrIKxEEEESI_EEEEESK_NSA_INS5_IJNSE_INSF_IxEEEESM_EEEEEPS7_SP_SP_NSC_11hip_rocprim7__merge17predicate_wrapperIxxNSC_4lessIxEEEEEE10hipError_tPvRmT0_T1_T2_T3_T4_T5_mmT6_P12ihipStream_tbEUlT_E0_NS1_11comp_targetILNS1_3genE9ELNS1_11target_archE1100ELNS1_3gpuE3ELNS1_3repE0EEENS1_30default_config_static_selectorELNS0_4arch9wavefront6targetE0EEEvS10_
		.amdhsa_group_segment_fixed_size 0
		.amdhsa_private_segment_fixed_size 0
		.amdhsa_kernarg_size 112
		.amdhsa_user_sgpr_count 6
		.amdhsa_user_sgpr_private_segment_buffer 1
		.amdhsa_user_sgpr_dispatch_ptr 0
		.amdhsa_user_sgpr_queue_ptr 0
		.amdhsa_user_sgpr_kernarg_segment_ptr 1
		.amdhsa_user_sgpr_dispatch_id 0
		.amdhsa_user_sgpr_flat_scratch_init 0
		.amdhsa_user_sgpr_private_segment_size 0
		.amdhsa_wavefront_size32 1
		.amdhsa_uses_dynamic_stack 0
		.amdhsa_system_sgpr_private_segment_wavefront_offset 0
		.amdhsa_system_sgpr_workgroup_id_x 1
		.amdhsa_system_sgpr_workgroup_id_y 0
		.amdhsa_system_sgpr_workgroup_id_z 0
		.amdhsa_system_sgpr_workgroup_info 0
		.amdhsa_system_vgpr_workitem_id 0
		.amdhsa_next_free_vgpr 1
		.amdhsa_next_free_sgpr 1
		.amdhsa_reserve_vcc 0
		.amdhsa_reserve_flat_scratch 0
		.amdhsa_float_round_mode_32 0
		.amdhsa_float_round_mode_16_64 0
		.amdhsa_float_denorm_mode_32 3
		.amdhsa_float_denorm_mode_16_64 3
		.amdhsa_dx10_clamp 1
		.amdhsa_ieee_mode 1
		.amdhsa_fp16_overflow 0
		.amdhsa_workgroup_processor_mode 1
		.amdhsa_memory_ordered 1
		.amdhsa_forward_progress 1
		.amdhsa_shared_vgpr_count 0
		.amdhsa_exception_fp_ieee_invalid_op 0
		.amdhsa_exception_fp_denorm_src 0
		.amdhsa_exception_fp_ieee_div_zero 0
		.amdhsa_exception_fp_ieee_overflow 0
		.amdhsa_exception_fp_ieee_underflow 0
		.amdhsa_exception_fp_ieee_inexact 0
		.amdhsa_exception_int_div_zero 0
	.end_amdhsa_kernel
	.section	.text._ZN7rocprim17ROCPRIM_400000_NS6detail17trampoline_kernelINS0_14default_configENS1_21merge_config_selectorINS0_5tupleIJxxEEENS0_10empty_typeEEEZNS1_10merge_implIS3_NS0_12zip_iteratorINS5_IJN6thrust23THRUST_200600_302600_NS6detail15normal_iteratorINSC_10device_ptrIKxEEEESI_EEEEESK_NSA_INS5_IJNSE_INSF_IxEEEESM_EEEEEPS7_SP_SP_NSC_11hip_rocprim7__merge17predicate_wrapperIxxNSC_4lessIxEEEEEE10hipError_tPvRmT0_T1_T2_T3_T4_T5_mmT6_P12ihipStream_tbEUlT_E0_NS1_11comp_targetILNS1_3genE9ELNS1_11target_archE1100ELNS1_3gpuE3ELNS1_3repE0EEENS1_30default_config_static_selectorELNS0_4arch9wavefront6targetE0EEEvS10_,"axG",@progbits,_ZN7rocprim17ROCPRIM_400000_NS6detail17trampoline_kernelINS0_14default_configENS1_21merge_config_selectorINS0_5tupleIJxxEEENS0_10empty_typeEEEZNS1_10merge_implIS3_NS0_12zip_iteratorINS5_IJN6thrust23THRUST_200600_302600_NS6detail15normal_iteratorINSC_10device_ptrIKxEEEESI_EEEEESK_NSA_INS5_IJNSE_INSF_IxEEEESM_EEEEEPS7_SP_SP_NSC_11hip_rocprim7__merge17predicate_wrapperIxxNSC_4lessIxEEEEEE10hipError_tPvRmT0_T1_T2_T3_T4_T5_mmT6_P12ihipStream_tbEUlT_E0_NS1_11comp_targetILNS1_3genE9ELNS1_11target_archE1100ELNS1_3gpuE3ELNS1_3repE0EEENS1_30default_config_static_selectorELNS0_4arch9wavefront6targetE0EEEvS10_,comdat
.Lfunc_end223:
	.size	_ZN7rocprim17ROCPRIM_400000_NS6detail17trampoline_kernelINS0_14default_configENS1_21merge_config_selectorINS0_5tupleIJxxEEENS0_10empty_typeEEEZNS1_10merge_implIS3_NS0_12zip_iteratorINS5_IJN6thrust23THRUST_200600_302600_NS6detail15normal_iteratorINSC_10device_ptrIKxEEEESI_EEEEESK_NSA_INS5_IJNSE_INSF_IxEEEESM_EEEEEPS7_SP_SP_NSC_11hip_rocprim7__merge17predicate_wrapperIxxNSC_4lessIxEEEEEE10hipError_tPvRmT0_T1_T2_T3_T4_T5_mmT6_P12ihipStream_tbEUlT_E0_NS1_11comp_targetILNS1_3genE9ELNS1_11target_archE1100ELNS1_3gpuE3ELNS1_3repE0EEENS1_30default_config_static_selectorELNS0_4arch9wavefront6targetE0EEEvS10_, .Lfunc_end223-_ZN7rocprim17ROCPRIM_400000_NS6detail17trampoline_kernelINS0_14default_configENS1_21merge_config_selectorINS0_5tupleIJxxEEENS0_10empty_typeEEEZNS1_10merge_implIS3_NS0_12zip_iteratorINS5_IJN6thrust23THRUST_200600_302600_NS6detail15normal_iteratorINSC_10device_ptrIKxEEEESI_EEEEESK_NSA_INS5_IJNSE_INSF_IxEEEESM_EEEEEPS7_SP_SP_NSC_11hip_rocprim7__merge17predicate_wrapperIxxNSC_4lessIxEEEEEE10hipError_tPvRmT0_T1_T2_T3_T4_T5_mmT6_P12ihipStream_tbEUlT_E0_NS1_11comp_targetILNS1_3genE9ELNS1_11target_archE1100ELNS1_3gpuE3ELNS1_3repE0EEENS1_30default_config_static_selectorELNS0_4arch9wavefront6targetE0EEEvS10_
                                        ; -- End function
	.set _ZN7rocprim17ROCPRIM_400000_NS6detail17trampoline_kernelINS0_14default_configENS1_21merge_config_selectorINS0_5tupleIJxxEEENS0_10empty_typeEEEZNS1_10merge_implIS3_NS0_12zip_iteratorINS5_IJN6thrust23THRUST_200600_302600_NS6detail15normal_iteratorINSC_10device_ptrIKxEEEESI_EEEEESK_NSA_INS5_IJNSE_INSF_IxEEEESM_EEEEEPS7_SP_SP_NSC_11hip_rocprim7__merge17predicate_wrapperIxxNSC_4lessIxEEEEEE10hipError_tPvRmT0_T1_T2_T3_T4_T5_mmT6_P12ihipStream_tbEUlT_E0_NS1_11comp_targetILNS1_3genE9ELNS1_11target_archE1100ELNS1_3gpuE3ELNS1_3repE0EEENS1_30default_config_static_selectorELNS0_4arch9wavefront6targetE0EEEvS10_.num_vgpr, 0
	.set _ZN7rocprim17ROCPRIM_400000_NS6detail17trampoline_kernelINS0_14default_configENS1_21merge_config_selectorINS0_5tupleIJxxEEENS0_10empty_typeEEEZNS1_10merge_implIS3_NS0_12zip_iteratorINS5_IJN6thrust23THRUST_200600_302600_NS6detail15normal_iteratorINSC_10device_ptrIKxEEEESI_EEEEESK_NSA_INS5_IJNSE_INSF_IxEEEESM_EEEEEPS7_SP_SP_NSC_11hip_rocprim7__merge17predicate_wrapperIxxNSC_4lessIxEEEEEE10hipError_tPvRmT0_T1_T2_T3_T4_T5_mmT6_P12ihipStream_tbEUlT_E0_NS1_11comp_targetILNS1_3genE9ELNS1_11target_archE1100ELNS1_3gpuE3ELNS1_3repE0EEENS1_30default_config_static_selectorELNS0_4arch9wavefront6targetE0EEEvS10_.num_agpr, 0
	.set _ZN7rocprim17ROCPRIM_400000_NS6detail17trampoline_kernelINS0_14default_configENS1_21merge_config_selectorINS0_5tupleIJxxEEENS0_10empty_typeEEEZNS1_10merge_implIS3_NS0_12zip_iteratorINS5_IJN6thrust23THRUST_200600_302600_NS6detail15normal_iteratorINSC_10device_ptrIKxEEEESI_EEEEESK_NSA_INS5_IJNSE_INSF_IxEEEESM_EEEEEPS7_SP_SP_NSC_11hip_rocprim7__merge17predicate_wrapperIxxNSC_4lessIxEEEEEE10hipError_tPvRmT0_T1_T2_T3_T4_T5_mmT6_P12ihipStream_tbEUlT_E0_NS1_11comp_targetILNS1_3genE9ELNS1_11target_archE1100ELNS1_3gpuE3ELNS1_3repE0EEENS1_30default_config_static_selectorELNS0_4arch9wavefront6targetE0EEEvS10_.numbered_sgpr, 0
	.set _ZN7rocprim17ROCPRIM_400000_NS6detail17trampoline_kernelINS0_14default_configENS1_21merge_config_selectorINS0_5tupleIJxxEEENS0_10empty_typeEEEZNS1_10merge_implIS3_NS0_12zip_iteratorINS5_IJN6thrust23THRUST_200600_302600_NS6detail15normal_iteratorINSC_10device_ptrIKxEEEESI_EEEEESK_NSA_INS5_IJNSE_INSF_IxEEEESM_EEEEEPS7_SP_SP_NSC_11hip_rocprim7__merge17predicate_wrapperIxxNSC_4lessIxEEEEEE10hipError_tPvRmT0_T1_T2_T3_T4_T5_mmT6_P12ihipStream_tbEUlT_E0_NS1_11comp_targetILNS1_3genE9ELNS1_11target_archE1100ELNS1_3gpuE3ELNS1_3repE0EEENS1_30default_config_static_selectorELNS0_4arch9wavefront6targetE0EEEvS10_.num_named_barrier, 0
	.set _ZN7rocprim17ROCPRIM_400000_NS6detail17trampoline_kernelINS0_14default_configENS1_21merge_config_selectorINS0_5tupleIJxxEEENS0_10empty_typeEEEZNS1_10merge_implIS3_NS0_12zip_iteratorINS5_IJN6thrust23THRUST_200600_302600_NS6detail15normal_iteratorINSC_10device_ptrIKxEEEESI_EEEEESK_NSA_INS5_IJNSE_INSF_IxEEEESM_EEEEEPS7_SP_SP_NSC_11hip_rocprim7__merge17predicate_wrapperIxxNSC_4lessIxEEEEEE10hipError_tPvRmT0_T1_T2_T3_T4_T5_mmT6_P12ihipStream_tbEUlT_E0_NS1_11comp_targetILNS1_3genE9ELNS1_11target_archE1100ELNS1_3gpuE3ELNS1_3repE0EEENS1_30default_config_static_selectorELNS0_4arch9wavefront6targetE0EEEvS10_.private_seg_size, 0
	.set _ZN7rocprim17ROCPRIM_400000_NS6detail17trampoline_kernelINS0_14default_configENS1_21merge_config_selectorINS0_5tupleIJxxEEENS0_10empty_typeEEEZNS1_10merge_implIS3_NS0_12zip_iteratorINS5_IJN6thrust23THRUST_200600_302600_NS6detail15normal_iteratorINSC_10device_ptrIKxEEEESI_EEEEESK_NSA_INS5_IJNSE_INSF_IxEEEESM_EEEEEPS7_SP_SP_NSC_11hip_rocprim7__merge17predicate_wrapperIxxNSC_4lessIxEEEEEE10hipError_tPvRmT0_T1_T2_T3_T4_T5_mmT6_P12ihipStream_tbEUlT_E0_NS1_11comp_targetILNS1_3genE9ELNS1_11target_archE1100ELNS1_3gpuE3ELNS1_3repE0EEENS1_30default_config_static_selectorELNS0_4arch9wavefront6targetE0EEEvS10_.uses_vcc, 0
	.set _ZN7rocprim17ROCPRIM_400000_NS6detail17trampoline_kernelINS0_14default_configENS1_21merge_config_selectorINS0_5tupleIJxxEEENS0_10empty_typeEEEZNS1_10merge_implIS3_NS0_12zip_iteratorINS5_IJN6thrust23THRUST_200600_302600_NS6detail15normal_iteratorINSC_10device_ptrIKxEEEESI_EEEEESK_NSA_INS5_IJNSE_INSF_IxEEEESM_EEEEEPS7_SP_SP_NSC_11hip_rocprim7__merge17predicate_wrapperIxxNSC_4lessIxEEEEEE10hipError_tPvRmT0_T1_T2_T3_T4_T5_mmT6_P12ihipStream_tbEUlT_E0_NS1_11comp_targetILNS1_3genE9ELNS1_11target_archE1100ELNS1_3gpuE3ELNS1_3repE0EEENS1_30default_config_static_selectorELNS0_4arch9wavefront6targetE0EEEvS10_.uses_flat_scratch, 0
	.set _ZN7rocprim17ROCPRIM_400000_NS6detail17trampoline_kernelINS0_14default_configENS1_21merge_config_selectorINS0_5tupleIJxxEEENS0_10empty_typeEEEZNS1_10merge_implIS3_NS0_12zip_iteratorINS5_IJN6thrust23THRUST_200600_302600_NS6detail15normal_iteratorINSC_10device_ptrIKxEEEESI_EEEEESK_NSA_INS5_IJNSE_INSF_IxEEEESM_EEEEEPS7_SP_SP_NSC_11hip_rocprim7__merge17predicate_wrapperIxxNSC_4lessIxEEEEEE10hipError_tPvRmT0_T1_T2_T3_T4_T5_mmT6_P12ihipStream_tbEUlT_E0_NS1_11comp_targetILNS1_3genE9ELNS1_11target_archE1100ELNS1_3gpuE3ELNS1_3repE0EEENS1_30default_config_static_selectorELNS0_4arch9wavefront6targetE0EEEvS10_.has_dyn_sized_stack, 0
	.set _ZN7rocprim17ROCPRIM_400000_NS6detail17trampoline_kernelINS0_14default_configENS1_21merge_config_selectorINS0_5tupleIJxxEEENS0_10empty_typeEEEZNS1_10merge_implIS3_NS0_12zip_iteratorINS5_IJN6thrust23THRUST_200600_302600_NS6detail15normal_iteratorINSC_10device_ptrIKxEEEESI_EEEEESK_NSA_INS5_IJNSE_INSF_IxEEEESM_EEEEEPS7_SP_SP_NSC_11hip_rocprim7__merge17predicate_wrapperIxxNSC_4lessIxEEEEEE10hipError_tPvRmT0_T1_T2_T3_T4_T5_mmT6_P12ihipStream_tbEUlT_E0_NS1_11comp_targetILNS1_3genE9ELNS1_11target_archE1100ELNS1_3gpuE3ELNS1_3repE0EEENS1_30default_config_static_selectorELNS0_4arch9wavefront6targetE0EEEvS10_.has_recursion, 0
	.set _ZN7rocprim17ROCPRIM_400000_NS6detail17trampoline_kernelINS0_14default_configENS1_21merge_config_selectorINS0_5tupleIJxxEEENS0_10empty_typeEEEZNS1_10merge_implIS3_NS0_12zip_iteratorINS5_IJN6thrust23THRUST_200600_302600_NS6detail15normal_iteratorINSC_10device_ptrIKxEEEESI_EEEEESK_NSA_INS5_IJNSE_INSF_IxEEEESM_EEEEEPS7_SP_SP_NSC_11hip_rocprim7__merge17predicate_wrapperIxxNSC_4lessIxEEEEEE10hipError_tPvRmT0_T1_T2_T3_T4_T5_mmT6_P12ihipStream_tbEUlT_E0_NS1_11comp_targetILNS1_3genE9ELNS1_11target_archE1100ELNS1_3gpuE3ELNS1_3repE0EEENS1_30default_config_static_selectorELNS0_4arch9wavefront6targetE0EEEvS10_.has_indirect_call, 0
	.section	.AMDGPU.csdata,"",@progbits
; Kernel info:
; codeLenInByte = 0
; TotalNumSgprs: 0
; NumVgprs: 0
; ScratchSize: 0
; MemoryBound: 0
; FloatMode: 240
; IeeeMode: 1
; LDSByteSize: 0 bytes/workgroup (compile time only)
; SGPRBlocks: 0
; VGPRBlocks: 0
; NumSGPRsForWavesPerEU: 1
; NumVGPRsForWavesPerEU: 1
; Occupancy: 16
; WaveLimiterHint : 0
; COMPUTE_PGM_RSRC2:SCRATCH_EN: 0
; COMPUTE_PGM_RSRC2:USER_SGPR: 6
; COMPUTE_PGM_RSRC2:TRAP_HANDLER: 0
; COMPUTE_PGM_RSRC2:TGID_X_EN: 1
; COMPUTE_PGM_RSRC2:TGID_Y_EN: 0
; COMPUTE_PGM_RSRC2:TGID_Z_EN: 0
; COMPUTE_PGM_RSRC2:TIDIG_COMP_CNT: 0
	.section	.text._ZN7rocprim17ROCPRIM_400000_NS6detail17trampoline_kernelINS0_14default_configENS1_21merge_config_selectorINS0_5tupleIJxxEEENS0_10empty_typeEEEZNS1_10merge_implIS3_NS0_12zip_iteratorINS5_IJN6thrust23THRUST_200600_302600_NS6detail15normal_iteratorINSC_10device_ptrIKxEEEESI_EEEEESK_NSA_INS5_IJNSE_INSF_IxEEEESM_EEEEEPS7_SP_SP_NSC_11hip_rocprim7__merge17predicate_wrapperIxxNSC_4lessIxEEEEEE10hipError_tPvRmT0_T1_T2_T3_T4_T5_mmT6_P12ihipStream_tbEUlT_E0_NS1_11comp_targetILNS1_3genE8ELNS1_11target_archE1030ELNS1_3gpuE2ELNS1_3repE0EEENS1_30default_config_static_selectorELNS0_4arch9wavefront6targetE0EEEvS10_,"axG",@progbits,_ZN7rocprim17ROCPRIM_400000_NS6detail17trampoline_kernelINS0_14default_configENS1_21merge_config_selectorINS0_5tupleIJxxEEENS0_10empty_typeEEEZNS1_10merge_implIS3_NS0_12zip_iteratorINS5_IJN6thrust23THRUST_200600_302600_NS6detail15normal_iteratorINSC_10device_ptrIKxEEEESI_EEEEESK_NSA_INS5_IJNSE_INSF_IxEEEESM_EEEEEPS7_SP_SP_NSC_11hip_rocprim7__merge17predicate_wrapperIxxNSC_4lessIxEEEEEE10hipError_tPvRmT0_T1_T2_T3_T4_T5_mmT6_P12ihipStream_tbEUlT_E0_NS1_11comp_targetILNS1_3genE8ELNS1_11target_archE1030ELNS1_3gpuE2ELNS1_3repE0EEENS1_30default_config_static_selectorELNS0_4arch9wavefront6targetE0EEEvS10_,comdat
	.protected	_ZN7rocprim17ROCPRIM_400000_NS6detail17trampoline_kernelINS0_14default_configENS1_21merge_config_selectorINS0_5tupleIJxxEEENS0_10empty_typeEEEZNS1_10merge_implIS3_NS0_12zip_iteratorINS5_IJN6thrust23THRUST_200600_302600_NS6detail15normal_iteratorINSC_10device_ptrIKxEEEESI_EEEEESK_NSA_INS5_IJNSE_INSF_IxEEEESM_EEEEEPS7_SP_SP_NSC_11hip_rocprim7__merge17predicate_wrapperIxxNSC_4lessIxEEEEEE10hipError_tPvRmT0_T1_T2_T3_T4_T5_mmT6_P12ihipStream_tbEUlT_E0_NS1_11comp_targetILNS1_3genE8ELNS1_11target_archE1030ELNS1_3gpuE2ELNS1_3repE0EEENS1_30default_config_static_selectorELNS0_4arch9wavefront6targetE0EEEvS10_ ; -- Begin function _ZN7rocprim17ROCPRIM_400000_NS6detail17trampoline_kernelINS0_14default_configENS1_21merge_config_selectorINS0_5tupleIJxxEEENS0_10empty_typeEEEZNS1_10merge_implIS3_NS0_12zip_iteratorINS5_IJN6thrust23THRUST_200600_302600_NS6detail15normal_iteratorINSC_10device_ptrIKxEEEESI_EEEEESK_NSA_INS5_IJNSE_INSF_IxEEEESM_EEEEEPS7_SP_SP_NSC_11hip_rocprim7__merge17predicate_wrapperIxxNSC_4lessIxEEEEEE10hipError_tPvRmT0_T1_T2_T3_T4_T5_mmT6_P12ihipStream_tbEUlT_E0_NS1_11comp_targetILNS1_3genE8ELNS1_11target_archE1030ELNS1_3gpuE2ELNS1_3repE0EEENS1_30default_config_static_selectorELNS0_4arch9wavefront6targetE0EEEvS10_
	.globl	_ZN7rocprim17ROCPRIM_400000_NS6detail17trampoline_kernelINS0_14default_configENS1_21merge_config_selectorINS0_5tupleIJxxEEENS0_10empty_typeEEEZNS1_10merge_implIS3_NS0_12zip_iteratorINS5_IJN6thrust23THRUST_200600_302600_NS6detail15normal_iteratorINSC_10device_ptrIKxEEEESI_EEEEESK_NSA_INS5_IJNSE_INSF_IxEEEESM_EEEEEPS7_SP_SP_NSC_11hip_rocprim7__merge17predicate_wrapperIxxNSC_4lessIxEEEEEE10hipError_tPvRmT0_T1_T2_T3_T4_T5_mmT6_P12ihipStream_tbEUlT_E0_NS1_11comp_targetILNS1_3genE8ELNS1_11target_archE1030ELNS1_3gpuE2ELNS1_3repE0EEENS1_30default_config_static_selectorELNS0_4arch9wavefront6targetE0EEEvS10_
	.p2align	8
	.type	_ZN7rocprim17ROCPRIM_400000_NS6detail17trampoline_kernelINS0_14default_configENS1_21merge_config_selectorINS0_5tupleIJxxEEENS0_10empty_typeEEEZNS1_10merge_implIS3_NS0_12zip_iteratorINS5_IJN6thrust23THRUST_200600_302600_NS6detail15normal_iteratorINSC_10device_ptrIKxEEEESI_EEEEESK_NSA_INS5_IJNSE_INSF_IxEEEESM_EEEEEPS7_SP_SP_NSC_11hip_rocprim7__merge17predicate_wrapperIxxNSC_4lessIxEEEEEE10hipError_tPvRmT0_T1_T2_T3_T4_T5_mmT6_P12ihipStream_tbEUlT_E0_NS1_11comp_targetILNS1_3genE8ELNS1_11target_archE1030ELNS1_3gpuE2ELNS1_3repE0EEENS1_30default_config_static_selectorELNS0_4arch9wavefront6targetE0EEEvS10_,@function
_ZN7rocprim17ROCPRIM_400000_NS6detail17trampoline_kernelINS0_14default_configENS1_21merge_config_selectorINS0_5tupleIJxxEEENS0_10empty_typeEEEZNS1_10merge_implIS3_NS0_12zip_iteratorINS5_IJN6thrust23THRUST_200600_302600_NS6detail15normal_iteratorINSC_10device_ptrIKxEEEESI_EEEEESK_NSA_INS5_IJNSE_INSF_IxEEEESM_EEEEEPS7_SP_SP_NSC_11hip_rocprim7__merge17predicate_wrapperIxxNSC_4lessIxEEEEEE10hipError_tPvRmT0_T1_T2_T3_T4_T5_mmT6_P12ihipStream_tbEUlT_E0_NS1_11comp_targetILNS1_3genE8ELNS1_11target_archE1030ELNS1_3gpuE2ELNS1_3repE0EEENS1_30default_config_static_selectorELNS0_4arch9wavefront6targetE0EEEvS10_: ; @_ZN7rocprim17ROCPRIM_400000_NS6detail17trampoline_kernelINS0_14default_configENS1_21merge_config_selectorINS0_5tupleIJxxEEENS0_10empty_typeEEEZNS1_10merge_implIS3_NS0_12zip_iteratorINS5_IJN6thrust23THRUST_200600_302600_NS6detail15normal_iteratorINSC_10device_ptrIKxEEEESI_EEEEESK_NSA_INS5_IJNSE_INSF_IxEEEESM_EEEEEPS7_SP_SP_NSC_11hip_rocprim7__merge17predicate_wrapperIxxNSC_4lessIxEEEEEE10hipError_tPvRmT0_T1_T2_T3_T4_T5_mmT6_P12ihipStream_tbEUlT_E0_NS1_11comp_targetILNS1_3genE8ELNS1_11target_archE1030ELNS1_3gpuE2ELNS1_3repE0EEENS1_30default_config_static_selectorELNS0_4arch9wavefront6targetE0EEEvS10_
; %bb.0:
	s_clause 0x2
	s_load_dwordx4 s[0:3], s[4:5], 0x58
	s_load_dwordx8 s[8:15], s[4:5], 0x8
	s_load_dwordx4 s[16:19], s[4:5], 0x28
	s_mov_b32 s23, 0
	v_mov_b32_e32 v1, 0
	s_mov_b32 s25, s23
	s_waitcnt lgkmcnt(0)
	s_add_i32 s20, s2, s0
	s_add_i32 s0, s20, 0x7ff
	s_lshr_b32 s0, s0, 11
	s_min_u32 s1, s6, s0
	s_lshl_b32 s1, s1, 2
	s_load_dword s22, s[8:9], s1 offset:0x0
	s_add_i32 s1, s6, 1
	s_min_u32 s0, s1, s0
	s_lshl_b32 s0, s0, 2
	s_load_dword s9, s[8:9], s0 offset:0x0
	s_lshl_b32 s8, s6, 11
	s_add_i32 s0, s8, 0x800
	s_min_u32 s21, s20, s0
	s_waitcnt lgkmcnt(0)
	s_lshl_b64 s[2:3], s[22:23], 3
	s_sub_i32 s24, s8, s22
	s_add_u32 s0, s10, s2
	s_addc_u32 s1, s11, s3
	s_add_u32 s2, s12, s2
	s_addc_u32 s3, s13, s3
	s_lshl_b64 s[10:11], s[24:25], 3
	s_add_u32 s6, s14, s10
	s_addc_u32 s7, s15, s11
	s_add_u32 s10, s16, s10
	s_addc_u32 s11, s17, s11
	s_add_i32 s12, s24, s9
	s_sub_i32 s9, s9, s22
	s_sub_i32 s14, s21, s12
	s_mov_b32 s15, exec_lo
	s_add_u32 s12, s14, s9
	s_addc_u32 s13, 0, 0
	v_cmpx_le_u32_e64 s9, v0
	s_xor_b32 s15, exec_lo, s15
	s_cbranch_execz .LBB224_4
; %bb.1:
	s_mov_b32 s16, exec_lo
	v_cmpx_gt_u64_e64 s[12:13], v[0:1]
	s_cbranch_execz .LBB224_3
; %bb.2:
	v_subrev_nc_u32_e32 v1, s9, v0
	v_lshlrev_b32_e32 v5, 4, v0
	v_lshlrev_b32_e32 v3, 3, v1
	s_clause 0x1
	global_load_dwordx2 v[1:2], v3, s[6:7]
	global_load_dwordx2 v[3:4], v3, s[10:11]
	s_waitcnt vmcnt(0)
	ds_write_b128 v5, v[1:4]
.LBB224_3:
	s_or_b32 exec_lo, exec_lo, s16
.LBB224_4:
	s_or_saveexec_b32 s15, s15
	v_lshlrev_b32_e32 v41, 3, v0
	v_lshlrev_b32_e32 v42, 4, v0
	s_xor_b32 exec_lo, exec_lo, s15
	s_cbranch_execz .LBB224_6
; %bb.5:
	s_clause 0x1
	global_load_dwordx2 v[1:2], v41, s[0:1]
	global_load_dwordx2 v[3:4], v41, s[2:3]
	s_waitcnt vmcnt(0)
	ds_write_b128 v42, v[1:4]
.LBB224_6:
	s_or_b32 exec_lo, exec_lo, s15
	v_or_b32_e32 v33, 0x100, v0
	v_mov_b32_e32 v34, 0
	s_mov_b32 s15, exec_lo
	v_cmpx_le_u32_e64 s9, v33
	s_xor_b32 s15, exec_lo, s15
	s_cbranch_execz .LBB224_10
; %bb.7:
	s_mov_b32 s16, exec_lo
	v_cmpx_gt_u64_e64 s[12:13], v[33:34]
	s_cbranch_execz .LBB224_9
; %bb.8:
	v_subrev_nc_u32_e32 v1, s9, v33
	v_lshlrev_b32_e32 v3, 3, v1
	s_clause 0x1
	global_load_dwordx2 v[1:2], v3, s[6:7]
	global_load_dwordx2 v[3:4], v3, s[10:11]
	s_waitcnt vmcnt(0)
	ds_write_b128 v42, v[1:4] offset:4096
.LBB224_9:
	s_or_b32 exec_lo, exec_lo, s16
.LBB224_10:
	s_andn2_saveexec_b32 s15, s15
	s_cbranch_execz .LBB224_12
; %bb.11:
	v_lshlrev_b32_e32 v3, 3, v33
	s_clause 0x1
	global_load_dwordx2 v[1:2], v3, s[0:1]
	global_load_dwordx2 v[3:4], v3, s[2:3]
	s_waitcnt vmcnt(0)
	ds_write_b128 v42, v[1:4] offset:4096
.LBB224_12:
	s_or_b32 exec_lo, exec_lo, s15
	v_or_b32_e32 v34, 0x200, v0
	v_mov_b32_e32 v35, 0
	s_mov_b32 s15, exec_lo
	v_cmpx_le_u32_e64 s9, v34
	s_xor_b32 s15, exec_lo, s15
	s_cbranch_execz .LBB224_16
; %bb.13:
	s_mov_b32 s16, exec_lo
	v_cmpx_gt_u64_e64 s[12:13], v[34:35]
	s_cbranch_execz .LBB224_15
; %bb.14:
	v_subrev_nc_u32_e32 v1, s9, v34
	v_lshlrev_b32_e32 v3, 3, v1
	s_clause 0x1
	global_load_dwordx2 v[1:2], v3, s[6:7]
	global_load_dwordx2 v[3:4], v3, s[10:11]
	s_waitcnt vmcnt(0)
	ds_write_b128 v42, v[1:4] offset:8192
.LBB224_15:
	s_or_b32 exec_lo, exec_lo, s16
.LBB224_16:
	s_andn2_saveexec_b32 s15, s15
	s_cbranch_execz .LBB224_18
; %bb.17:
	v_lshlrev_b32_e32 v3, 3, v34
	s_clause 0x1
	global_load_dwordx2 v[1:2], v3, s[0:1]
	global_load_dwordx2 v[3:4], v3, s[2:3]
	s_waitcnt vmcnt(0)
	ds_write_b128 v42, v[1:4] offset:8192
.LBB224_18:
	;; [unrolled: 32-line block ×6, first 2 shown]
	s_or_b32 exec_lo, exec_lo, s15
	v_or_b32_e32 v39, 0x700, v0
	v_mov_b32_e32 v40, 0
	s_mov_b32 s15, exec_lo
	v_cmpx_le_u32_e64 s9, v39
	s_xor_b32 s15, exec_lo, s15
	s_cbranch_execz .LBB224_46
; %bb.43:
	v_cmp_gt_u64_e32 vcc_lo, s[12:13], v[39:40]
	s_and_saveexec_b32 s12, vcc_lo
	s_cbranch_execz .LBB224_45
; %bb.44:
	v_subrev_nc_u32_e32 v1, s9, v39
	v_lshlrev_b32_e32 v3, 3, v1
	s_clause 0x1
	global_load_dwordx2 v[1:2], v3, s[6:7]
	global_load_dwordx2 v[3:4], v3, s[10:11]
	s_waitcnt vmcnt(0)
	ds_write_b128 v42, v[1:4] offset:28672
.LBB224_45:
	s_or_b32 exec_lo, exec_lo, s12
.LBB224_46:
	s_or_saveexec_b32 s6, s15
	s_load_dwordx2 s[10:11], s[4:5], 0x38
	s_xor_b32 exec_lo, exec_lo, s6
	s_cbranch_execz .LBB224_48
; %bb.47:
	v_lshlrev_b32_e32 v3, 3, v39
	s_clause 0x1
	global_load_dwordx2 v[1:2], v3, s[0:1]
	global_load_dwordx2 v[3:4], v3, s[2:3]
	s_waitcnt vmcnt(0)
	ds_write_b128 v42, v[1:4] offset:28672
.LBB224_48:
	s_or_b32 exec_lo, exec_lo, s6
	v_sub_nc_u32_e64 v40, v41, s14 clamp
	v_min_u32_e32 v1, s9, v41
	s_mov_b32 s0, exec_lo
	s_waitcnt lgkmcnt(0)
	s_barrier
	buffer_gl0_inv
	v_cmpx_lt_u32_e64 v40, v1
	s_cbranch_execz .LBB224_52
; %bb.49:
	v_lshlrev_b32_e32 v2, 4, v41
	s_mov_b32 s1, 0
	v_lshl_add_u32 v2, s9, 4, v2
	.p2align	6
.LBB224_50:                             ; =>This Inner Loop Header: Depth=1
	v_add_nc_u32_e32 v3, v1, v40
	v_lshrrev_b32_e32 v7, 1, v3
	v_not_b32_e32 v3, v7
	v_lshlrev_b32_e32 v4, 4, v7
	v_lshl_add_u32 v5, v3, 4, v2
	ds_read_b64 v[3:4], v4
	ds_read_b64 v[5:6], v5
	s_waitcnt lgkmcnt(0)
	v_cmp_lt_i64_e32 vcc_lo, v[5:6], v[3:4]
	v_add_nc_u32_e32 v3, 1, v7
	v_cndmask_b32_e32 v1, v1, v7, vcc_lo
	v_cndmask_b32_e32 v40, v3, v40, vcc_lo
	v_cmp_ge_u32_e32 vcc_lo, v40, v1
	s_or_b32 s1, vcc_lo, s1
	s_andn2_b32 exec_lo, exec_lo, s1
	s_cbranch_execnz .LBB224_50
; %bb.51:
	s_or_b32 exec_lo, exec_lo, s1
.LBB224_52:
	s_or_b32 exec_lo, exec_lo, s0
	v_add_nc_u32_e32 v1, s9, v41
	s_add_i32 s14, s14, s9
	v_cmp_ge_u32_e32 vcc_lo, s9, v40
	v_mov_b32_e32 v11, 0
	v_mov_b32_e32 v3, 0
	v_sub_nc_u32_e32 v43, v1, v40
	v_mov_b32_e32 v7, 0
	v_mov_b32_e32 v23, 0
	;; [unrolled: 1-line block ×4, first 2 shown]
	v_cmp_ge_u32_e64 s0, s14, v43
	v_mov_b32_e32 v19, 0
	v_mov_b32_e32 v31, 0
	;; [unrolled: 1-line block ×26, first 2 shown]
	s_or_b32 s0, vcc_lo, s0
	s_and_saveexec_b32 s7, s0
	s_cbranch_execz .LBB224_58
; %bb.53:
	v_mov_b32_e32 v7, 0
	v_mov_b32_e32 v3, 0
	;; [unrolled: 1-line block ×6, first 2 shown]
	v_cmp_gt_u32_e32 vcc_lo, s9, v40
	s_and_saveexec_b32 s0, vcc_lo
; %bb.54:
	v_lshlrev_b32_e32 v1, 4, v40
	ds_read_b128 v[1:4], v1
; %bb.55:
	s_or_b32 exec_lo, exec_lo, s0
	v_mov_b32_e32 v5, 0
	v_cmp_le_u32_e64 s0, s14, v43
	v_mov_b32_e32 v6, 0
	s_mov_b32 s2, exec_lo
	v_cmpx_gt_u32_e64 s14, v43
; %bb.56:
	v_lshlrev_b32_e32 v5, 4, v43
	ds_read_b128 v[5:8], v5
; %bb.57:
	s_or_b32 exec_lo, exec_lo, s2
	s_waitcnt lgkmcnt(0)
	v_cmp_ge_i64_e64 s1, v[5:6], v[1:2]
	v_mov_b32_e32 v61, s9
	s_and_b32 s1, vcc_lo, s1
	s_or_b32 vcc_lo, s0, s1
	v_cndmask_b32_e32 v9, v43, v40, vcc_lo
	v_cndmask_b32_e32 v10, s14, v61, vcc_lo
	v_add_nc_u32_e32 v9, 1, v9
	v_add_nc_u32_e32 v10, -1, v10
	v_min_u32_e32 v10, v9, v10
	v_lshlrev_b32_e32 v10, 4, v10
	ds_read_b128 v[11:14], v10
	v_cndmask_b32_e32 v10, v40, v9, vcc_lo
	v_cndmask_b32_e32 v9, v9, v43, vcc_lo
	v_cmp_gt_u32_e64 s1, s9, v10
	v_cmp_le_u32_e64 s2, s14, v9
	s_waitcnt lgkmcnt(0)
	v_cndmask_b32_e32 v32, v12, v6, vcc_lo
	v_cndmask_b32_e32 v31, v11, v5, vcc_lo
	;; [unrolled: 1-line block ×4, first 2 shown]
	v_cmp_ge_i64_e64 s0, v[31:32], v[47:48]
	s_and_b32 s0, s1, s0
	s_or_b32 s0, s2, s0
	v_cndmask_b32_e64 v11, v9, v10, s0
	v_cndmask_b32_e64 v12, s14, v61, s0
	v_add_nc_u32_e32 v11, 1, v11
	v_add_nc_u32_e32 v12, -1, v12
	v_cndmask_b32_e64 v10, v10, v11, s0
	v_min_u32_e32 v12, v11, v12
	v_cndmask_b32_e64 v9, v11, v9, s0
	v_cmp_gt_u32_e64 s2, s9, v10
	v_lshlrev_b32_e32 v12, 4, v12
	v_cmp_le_u32_e64 s3, s14, v9
	ds_read_b128 v[15:18], v12
	s_waitcnt lgkmcnt(0)
	v_cndmask_b32_e64 v50, v16, v32, s0
	v_cndmask_b32_e64 v49, v15, v31, s0
	v_cndmask_b32_e64 v16, v48, v16, s0
	v_cndmask_b32_e64 v15, v47, v15, s0
	v_cmp_ge_i64_e64 s1, v[49:50], v[15:16]
	s_and_b32 s1, s2, s1
	s_or_b32 s1, s3, s1
	v_cndmask_b32_e64 v11, v9, v10, s1
	v_cndmask_b32_e64 v12, s14, v61, s1
	v_add_nc_u32_e32 v11, 1, v11
	v_add_nc_u32_e32 v12, -1, v12
	v_cndmask_b32_e64 v10, v10, v11, s1
	v_min_u32_e32 v12, v11, v12
	v_cndmask_b32_e64 v9, v11, v9, s1
	v_cmp_gt_u32_e64 s3, s9, v10
	v_lshlrev_b32_e32 v12, 4, v12
	v_cmp_le_u32_e64 s4, s14, v9
	ds_read_b128 v[19:22], v12
	s_waitcnt lgkmcnt(0)
	v_cndmask_b32_e64 v52, v20, v50, s1
	v_cndmask_b32_e64 v51, v19, v49, s1
	v_cndmask_b32_e64 v20, v16, v20, s1
	v_cndmask_b32_e64 v19, v15, v19, s1
	v_cmp_ge_i64_e64 s2, v[51:52], v[19:20]
	s_and_b32 s2, s3, s2
	s_or_b32 s2, s4, s2
	v_cndmask_b32_e64 v11, v9, v10, s2
	v_cndmask_b32_e64 v12, s14, v61, s2
	v_add_nc_u32_e32 v11, 1, v11
	v_add_nc_u32_e32 v12, -1, v12
	v_cndmask_b32_e64 v10, v10, v11, s2
	v_min_u32_e32 v12, v11, v12
	v_cndmask_b32_e64 v9, v11, v9, s2
	v_cmp_gt_u32_e64 s4, s9, v10
	v_lshlrev_b32_e32 v12, 4, v12
	v_cmp_le_u32_e64 s5, s14, v9
	ds_read_b128 v[23:26], v12
	s_waitcnt lgkmcnt(0)
	v_cndmask_b32_e64 v54, v24, v52, s2
	v_cndmask_b32_e64 v53, v23, v51, s2
	v_cndmask_b32_e64 v56, v20, v24, s2
	v_cndmask_b32_e64 v55, v19, v23, s2
	v_cmp_ge_i64_e64 s3, v[53:54], v[55:56]
	s_and_b32 s3, s4, s3
	s_or_b32 s3, s5, s3
	v_cndmask_b32_e64 v11, v9, v10, s3
	v_cndmask_b32_e64 v12, s14, v61, s3
	v_add_nc_u32_e32 v11, 1, v11
	v_add_nc_u32_e32 v12, -1, v12
	v_cndmask_b32_e64 v23, v10, v11, s3
	v_min_u32_e32 v12, v11, v12
	v_cndmask_b32_e64 v24, v11, v9, s3
	v_cndmask_b32_e32 v11, v7, v3, vcc_lo
	v_cmp_gt_u32_e64 s5, s9, v23
	v_lshlrev_b32_e32 v12, 4, v12
	v_cmp_le_u32_e64 s6, s14, v24
	ds_read_b128 v[27:30], v12
	v_cndmask_b32_e32 v12, v8, v4, vcc_lo
	s_waitcnt lgkmcnt(0)
	v_cndmask_b32_e64 v58, v28, v54, s3
	v_cndmask_b32_e64 v57, v27, v53, s3
	;; [unrolled: 1-line block ×4, first 2 shown]
	v_cmp_ge_i64_e64 s4, v[57:58], v[59:60]
	s_and_b32 s4, s5, s4
	s_or_b32 s4, s6, s4
	v_cndmask_b32_e64 v9, v24, v23, s4
	v_cndmask_b32_e64 v10, s14, v61, s4
	v_add_nc_u32_e32 v27, 1, v9
	v_add_nc_u32_e32 v9, -1, v10
	v_cndmask_b32_e32 v10, v6, v2, vcc_lo
	v_cndmask_b32_e64 v2, v32, v48, s0
	v_cndmask_b32_e32 v6, v14, v8, vcc_lo
	v_cndmask_b32_e64 v40, v23, v27, s4
	v_min_u32_e32 v9, v27, v9
	v_cndmask_b32_e64 v62, v27, v24, s4
	v_cndmask_b32_e32 v8, v4, v14, vcc_lo
	v_cndmask_b32_e64 v14, v18, v6, s0
	v_cmp_gt_u32_e64 s5, s9, v40
	v_lshlrev_b32_e32 v9, 4, v9
	v_cmp_le_u32_e64 s6, s14, v62
	v_cndmask_b32_e64 v4, v6, v8, s0
	v_cndmask_b32_e64 v18, v8, v18, s0
	;; [unrolled: 1-line block ×3, first 2 shown]
	ds_read_b128 v[43:46], v9
	v_cndmask_b32_e32 v9, v5, v1, vcc_lo
	v_cndmask_b32_e64 v1, v31, v47, s0
	v_cndmask_b32_e32 v5, v13, v7, vcc_lo
	v_cndmask_b32_e32 v7, v3, v13, vcc_lo
	v_cndmask_b32_e64 v8, v14, v18, s1
	v_cndmask_b32_e64 v14, v22, v14, s1
	;; [unrolled: 1-line block ×14, first 2 shown]
	s_waitcnt lgkmcnt(0)
	v_cndmask_b32_e64 v32, v44, v58, s4
	v_cndmask_b32_e64 v31, v43, v57, s4
	;; [unrolled: 1-line block ×6, first 2 shown]
	v_cmp_ge_i64_e32 vcc_lo, v[31:32], v[43:44]
	s_and_b32 s5, s5, vcc_lo
	s_or_b32 vcc_lo, s6, s5
	v_cndmask_b32_e32 v7, v62, v40, vcc_lo
	v_cndmask_b32_e32 v23, s14, v61, vcc_lo
	v_add_nc_u32_e32 v61, 1, v7
	v_add_nc_u32_e32 v15, -1, v23
	v_cndmask_b32_e64 v7, v13, v17, s1
	v_cndmask_b32_e64 v13, v21, v13, s1
	;; [unrolled: 1-line block ×4, first 2 shown]
	v_min_u32_e32 v15, v61, v15
	v_cndmask_b32_e64 v19, v16, v30, s3
	v_cndmask_b32_e32 v40, v40, v61, vcc_lo
	v_cndmask_b32_e64 v23, v13, v17, s2
	v_cndmask_b32_e64 v13, v25, v13, s2
	v_lshlrev_b32_e32 v15, 4, v15
	v_cndmask_b32_e64 v16, v18, v19, s4
	v_cndmask_b32_e32 v18, v32, v44, vcc_lo
	v_cndmask_b32_e64 v46, v19, v46, s4
	v_cmp_gt_u32_e64 s1, s9, v40
	ds_read_b128 v[47:50], v15
	v_cndmask_b32_e64 v15, v17, v25, s2
	v_cndmask_b32_e64 v17, v29, v13, s3
	;; [unrolled: 1-line block ×8, first 2 shown]
	v_cndmask_b32_e32 v17, v31, v43, vcc_lo
	v_cndmask_b32_e64 v45, v20, v45, s4
	v_cndmask_b32_e32 v20, v52, v46, vcc_lo
	v_cndmask_b32_e32 v19, v51, v45, vcc_lo
	s_waitcnt lgkmcnt(0)
	v_cndmask_b32_e32 v30, v48, v32, vcc_lo
	v_cndmask_b32_e32 v29, v47, v31, vcc_lo
	;; [unrolled: 1-line block ×8, first 2 shown]
	v_cmp_ge_i64_e64 s0, v[29:30], v[31:32]
	v_cmp_le_u32_e64 s2, s14, v43
	v_cndmask_b32_e32 v43, v50, v52, vcc_lo
	s_and_b32 s0, s1, s0
	s_or_b32 vcc_lo, s2, s0
	v_cndmask_b32_e32 v30, v30, v32, vcc_lo
	v_cndmask_b32_e32 v29, v29, v31, vcc_lo
	;; [unrolled: 1-line block ×4, first 2 shown]
.LBB224_58:
	s_or_b32 exec_lo, exec_lo, s7
	v_lshlrev_b32_e32 v40, 2, v0
	s_mov_b32 s9, 0
	s_sub_i32 s4, s20, s8
	s_lshl_b64 s[2:3], s[8:9], 3
	v_and_b32_e32 v40, 0x3f0, v40
	s_add_u32 s0, s18, s2
	s_barrier
	buffer_gl0_inv
	s_addc_u32 s1, s19, s3
	v_lshl_add_u32 v40, v41, 4, v40
	s_add_u32 s2, s10, s2
	s_addc_u32 s3, s11, s3
	s_cmpk_gt_u32 s4, 0x7ff
	ds_write_b128 v40, v[9:12]
	ds_write_b128 v40, v[1:4] offset:16
	ds_write_b128 v40, v[5:8] offset:32
	;; [unrolled: 1-line block ×4, first 2 shown]
	v_lshrrev_b32_e32 v11, 1, v33
	v_lshrrev_b32_e32 v10, 1, v34
	;; [unrolled: 1-line block ×7, first 2 shown]
	ds_write_b128 v40, v[13:16] offset:80
	ds_write_b128 v40, v[17:20] offset:96
	;; [unrolled: 1-line block ×3, first 2 shown]
	s_waitcnt lgkmcnt(0)
	s_cbranch_scc0 .LBB224_60
; %bb.59:
	v_lshrrev_b32_e32 v1, 1, v0
	s_barrier
	buffer_gl0_inv
	v_and_b32_e32 v2, 0xf0, v11
	v_and_b32_e32 v3, 0x1f0, v10
	;; [unrolled: 1-line block ×7, first 2 shown]
	v_add_nc_u32_e32 v1, v1, v42
	v_and_b32_e32 v19, 0x3f0, v5
	v_add_co_u32 v32, s5, s0, v41
	v_add_nc_u32_e32 v43, v17, v42
	ds_read_b128 v[12:15], v1
	v_add_nc_u32_e32 v1, v2, v42
	v_add_nc_u32_e32 v2, v3, v42
	;; [unrolled: 1-line block ×6, first 2 shown]
	ds_read_b128 v[16:19], v2 offset:8192
	ds_read_b128 v[20:23], v3 offset:12288
	;; [unrolled: 1-line block ×7, first 2 shown]
	v_add_co_ci_u32_e64 v40, null, s1, 0, s5
	v_add_co_u32 v53, s5, s2, v41
	v_add_co_ci_u32_e64 v54, null, s3, 0, s5
	s_mov_b32 s9, -1
	s_waitcnt lgkmcnt(7)
	global_store_dwordx2 v41, v[12:13], s[0:1]
	global_store_dwordx2 v41, v[14:15], s[2:3]
	v_add_co_u32 v12, vcc_lo, v32, 0x1000
	v_add_co_ci_u32_e64 v13, null, 0, v40, vcc_lo
	v_add_co_u32 v14, vcc_lo, v53, 0x1000
	v_add_co_ci_u32_e64 v15, null, 0, v54, vcc_lo
	;; [unrolled: 2-line block ×3, first 2 shown]
	s_waitcnt lgkmcnt(4)
	global_store_dwordx2 v[12:13], v[24:25], off offset:-2048
	global_store_dwordx2 v[14:15], v[26:27], off offset:-2048
	global_store_dwordx2 v[12:13], v[16:17], off
	global_store_dwordx2 v[14:15], v[18:19], off
	global_store_dwordx2 v[51:52], v[20:21], off offset:-2048
	v_add_co_u32 v12, vcc_lo, v53, 0x2000
	v_add_co_ci_u32_e64 v13, null, 0, v54, vcc_lo
	v_add_co_u32 v14, vcc_lo, v32, 0x3000
	v_add_co_ci_u32_e64 v15, null, 0, v40, vcc_lo
	;; [unrolled: 2-line block ×3, first 2 shown]
	global_store_dwordx2 v[12:13], v[22:23], off offset:-2048
	s_waitcnt lgkmcnt(3)
	global_store_dwordx2 v[51:52], v[28:29], off
	global_store_dwordx2 v[12:13], v[30:31], off
	s_waitcnt lgkmcnt(2)
	global_store_dwordx2 v[14:15], v[43:44], off offset:-2048
	global_store_dwordx2 v[16:17], v[45:46], off offset:-2048
	s_waitcnt lgkmcnt(1)
	global_store_dwordx2 v[14:15], v[47:48], off
	global_store_dwordx2 v[16:17], v[49:50], off
	s_cbranch_execz .LBB224_61
	s_branch .LBB224_70
.LBB224_60:
                                        ; implicit-def: $vgpr3_vgpr4
.LBB224_61:
	s_waitcnt lgkmcnt(0)
	v_and_b32_e32 v1, 0xf0, v11
	v_and_b32_e32 v2, 0x1f0, v10
	;; [unrolled: 1-line block ×5, first 2 shown]
	v_add_nc_u32_e32 v1, v1, v42
	v_add_nc_u32_e32 v2, v2, v42
	s_barrier
	s_waitcnt_vscnt null, 0x0
	buffer_gl0_inv
	v_add_nc_u32_e32 v3, v3, v42
	ds_read_b128 v[25:28], v1 offset:4096
	ds_read_b128 v[21:24], v2 offset:8192
	v_and_b32_e32 v1, 0x3f0, v6
	v_and_b32_e32 v2, 0x3f0, v5
	v_add_nc_u32_e32 v4, v4, v42
	v_add_nc_u32_e32 v5, v7, v42
	v_add_co_u32 v31, s5, s0, v41
	v_add_nc_u32_e32 v1, v1, v42
	v_add_nc_u32_e32 v2, v2, v42
	ds_read_b128 v[17:20], v3 offset:12288
	ds_read_b128 v[13:16], v4 offset:16384
	;; [unrolled: 1-line block ×5, first 2 shown]
	v_add_co_ci_u32_e64 v32, null, s1, 0, s5
	v_add_co_u32 v29, s5, s2, v41
	v_add_co_ci_u32_e64 v30, null, s3, 0, s5
	s_mov_b32 s5, exec_lo
	v_cmpx_gt_u32_e64 s4, v0
	s_cbranch_execnz .LBB224_73
; %bb.62:
	s_or_b32 exec_lo, exec_lo, s5
	s_mov_b32 s5, exec_lo
	v_cmpx_gt_u32_e64 s4, v33
	s_cbranch_execnz .LBB224_74
.LBB224_63:
	s_or_b32 exec_lo, exec_lo, s5
	s_mov_b32 s5, exec_lo
	v_cmpx_gt_u32_e64 s4, v34
	s_cbranch_execnz .LBB224_75
.LBB224_64:
	s_or_b32 exec_lo, exec_lo, s5
	s_mov_b32 s5, exec_lo
	v_cmpx_gt_u32_e64 s4, v35
	s_cbranch_execnz .LBB224_76
.LBB224_65:
	s_or_b32 exec_lo, exec_lo, s5
	s_mov_b32 s5, exec_lo
	v_cmpx_gt_u32_e64 s4, v36
	s_cbranch_execnz .LBB224_77
.LBB224_66:
	s_or_b32 exec_lo, exec_lo, s5
	s_mov_b32 s5, exec_lo
	v_cmpx_gt_u32_e64 s4, v37
	s_cbranch_execnz .LBB224_78
.LBB224_67:
	s_or_b32 exec_lo, exec_lo, s5
	s_mov_b32 s5, exec_lo
	v_cmpx_gt_u32_e64 s4, v38
	s_cbranch_execz .LBB224_69
.LBB224_68:
	s_waitcnt lgkmcnt(2)
	v_add_co_u32 v9, vcc_lo, 0x3000, v31
	v_add_co_ci_u32_e64 v10, null, 0, v32, vcc_lo
	v_add_co_u32 v11, vcc_lo, 0x3000, v29
	v_add_co_ci_u32_e64 v12, null, 0, v30, vcc_lo
	s_waitcnt lgkmcnt(1)
	global_store_dwordx2 v[9:10], v[5:6], off
	global_store_dwordx2 v[11:12], v[7:8], off
.LBB224_69:
	s_or_b32 exec_lo, exec_lo, s5
	v_cmp_gt_u32_e64 s9, s4, v39
.LBB224_70:
	s_and_saveexec_b32 s4, s9
	s_cbranch_execnz .LBB224_72
; %bb.71:
	s_endpgm
.LBB224_72:
	v_add_co_u32 v0, s0, s0, v41
	s_waitcnt lgkmcnt(1)
	v_add_co_ci_u32_e64 v6, null, s1, 0, s0
	v_add_co_u32 v7, s0, s2, v41
	v_add_co_ci_u32_e64 v8, null, s3, 0, s0
	v_add_co_u32 v5, vcc_lo, 0x3800, v0
	v_add_co_ci_u32_e64 v6, null, 0, v6, vcc_lo
	v_add_co_u32 v7, vcc_lo, 0x3800, v7
	v_add_co_ci_u32_e64 v8, null, 0, v8, vcc_lo
	s_waitcnt lgkmcnt(0)
	global_store_dwordx2 v[5:6], v[1:2], off
	global_store_dwordx2 v[7:8], v[3:4], off
	s_endpgm
.LBB224_73:
	v_lshrrev_b32_e32 v40, 1, v0
	v_and_b32_e32 v40, 0x70, v40
	v_lshl_add_u32 v0, v0, 4, v40
	ds_read_b128 v[42:45], v0
	s_waitcnt lgkmcnt(0)
	global_store_dwordx2 v[31:32], v[42:43], off
	global_store_dwordx2 v[29:30], v[44:45], off
	s_or_b32 exec_lo, exec_lo, s5
	s_mov_b32 s5, exec_lo
	v_cmpx_gt_u32_e64 s4, v33
	s_cbranch_execz .LBB224_63
.LBB224_74:
	v_add_co_u32 v42, vcc_lo, 0x800, v31
	v_add_co_ci_u32_e64 v43, null, 0, v32, vcc_lo
	v_add_co_u32 v44, vcc_lo, 0x800, v29
	v_add_co_ci_u32_e64 v45, null, 0, v30, vcc_lo
	s_waitcnt lgkmcnt(6)
	global_store_dwordx2 v[42:43], v[25:26], off
	global_store_dwordx2 v[44:45], v[27:28], off
	s_or_b32 exec_lo, exec_lo, s5
	s_mov_b32 s5, exec_lo
	v_cmpx_gt_u32_e64 s4, v34
	s_cbranch_execz .LBB224_64
.LBB224_75:
	s_waitcnt lgkmcnt(6)
	v_add_co_u32 v25, vcc_lo, 0x1000, v31
	v_add_co_ci_u32_e64 v26, null, 0, v32, vcc_lo
	v_add_co_u32 v27, vcc_lo, 0x1000, v29
	v_add_co_ci_u32_e64 v28, null, 0, v30, vcc_lo
	s_waitcnt lgkmcnt(5)
	global_store_dwordx2 v[25:26], v[21:22], off
	global_store_dwordx2 v[27:28], v[23:24], off
	s_or_b32 exec_lo, exec_lo, s5
	s_mov_b32 s5, exec_lo
	v_cmpx_gt_u32_e64 s4, v35
	s_cbranch_execz .LBB224_65
.LBB224_76:
	s_waitcnt lgkmcnt(5)
	v_add_co_u32 v21, vcc_lo, 0x1800, v31
	v_add_co_ci_u32_e64 v22, null, 0, v32, vcc_lo
	v_add_co_u32 v23, vcc_lo, 0x1800, v29
	v_add_co_ci_u32_e64 v24, null, 0, v30, vcc_lo
	s_waitcnt lgkmcnt(4)
	global_store_dwordx2 v[21:22], v[17:18], off
	global_store_dwordx2 v[23:24], v[19:20], off
	s_or_b32 exec_lo, exec_lo, s5
	s_mov_b32 s5, exec_lo
	v_cmpx_gt_u32_e64 s4, v36
	s_cbranch_execz .LBB224_66
.LBB224_77:
	s_waitcnt lgkmcnt(4)
	v_add_co_u32 v17, vcc_lo, 0x2000, v31
	v_add_co_ci_u32_e64 v18, null, 0, v32, vcc_lo
	v_add_co_u32 v19, vcc_lo, 0x2000, v29
	v_add_co_ci_u32_e64 v20, null, 0, v30, vcc_lo
	s_waitcnt lgkmcnt(3)
	global_store_dwordx2 v[17:18], v[13:14], off
	global_store_dwordx2 v[19:20], v[15:16], off
	s_or_b32 exec_lo, exec_lo, s5
	s_mov_b32 s5, exec_lo
	v_cmpx_gt_u32_e64 s4, v37
	s_cbranch_execz .LBB224_67
.LBB224_78:
	s_waitcnt lgkmcnt(3)
	v_add_co_u32 v13, vcc_lo, 0x2800, v31
	v_add_co_ci_u32_e64 v14, null, 0, v32, vcc_lo
	v_add_co_u32 v15, vcc_lo, 0x2800, v29
	v_add_co_ci_u32_e64 v16, null, 0, v30, vcc_lo
	s_waitcnt lgkmcnt(2)
	global_store_dwordx2 v[13:14], v[9:10], off
	global_store_dwordx2 v[15:16], v[11:12], off
	s_or_b32 exec_lo, exec_lo, s5
	s_mov_b32 s5, exec_lo
	v_cmpx_gt_u32_e64 s4, v38
	s_cbranch_execnz .LBB224_68
	s_branch .LBB224_69
	.section	.rodata,"a",@progbits
	.p2align	6, 0x0
	.amdhsa_kernel _ZN7rocprim17ROCPRIM_400000_NS6detail17trampoline_kernelINS0_14default_configENS1_21merge_config_selectorINS0_5tupleIJxxEEENS0_10empty_typeEEEZNS1_10merge_implIS3_NS0_12zip_iteratorINS5_IJN6thrust23THRUST_200600_302600_NS6detail15normal_iteratorINSC_10device_ptrIKxEEEESI_EEEEESK_NSA_INS5_IJNSE_INSF_IxEEEESM_EEEEEPS7_SP_SP_NSC_11hip_rocprim7__merge17predicate_wrapperIxxNSC_4lessIxEEEEEE10hipError_tPvRmT0_T1_T2_T3_T4_T5_mmT6_P12ihipStream_tbEUlT_E0_NS1_11comp_targetILNS1_3genE8ELNS1_11target_archE1030ELNS1_3gpuE2ELNS1_3repE0EEENS1_30default_config_static_selectorELNS0_4arch9wavefront6targetE0EEEvS10_
		.amdhsa_group_segment_fixed_size 33792
		.amdhsa_private_segment_fixed_size 0
		.amdhsa_kernarg_size 112
		.amdhsa_user_sgpr_count 6
		.amdhsa_user_sgpr_private_segment_buffer 1
		.amdhsa_user_sgpr_dispatch_ptr 0
		.amdhsa_user_sgpr_queue_ptr 0
		.amdhsa_user_sgpr_kernarg_segment_ptr 1
		.amdhsa_user_sgpr_dispatch_id 0
		.amdhsa_user_sgpr_flat_scratch_init 0
		.amdhsa_user_sgpr_private_segment_size 0
		.amdhsa_wavefront_size32 1
		.amdhsa_uses_dynamic_stack 0
		.amdhsa_system_sgpr_private_segment_wavefront_offset 0
		.amdhsa_system_sgpr_workgroup_id_x 1
		.amdhsa_system_sgpr_workgroup_id_y 0
		.amdhsa_system_sgpr_workgroup_id_z 0
		.amdhsa_system_sgpr_workgroup_info 0
		.amdhsa_system_vgpr_workitem_id 0
		.amdhsa_next_free_vgpr 145
		.amdhsa_next_free_sgpr 26
		.amdhsa_reserve_vcc 1
		.amdhsa_reserve_flat_scratch 0
		.amdhsa_float_round_mode_32 0
		.amdhsa_float_round_mode_16_64 0
		.amdhsa_float_denorm_mode_32 3
		.amdhsa_float_denorm_mode_16_64 3
		.amdhsa_dx10_clamp 1
		.amdhsa_ieee_mode 1
		.amdhsa_fp16_overflow 0
		.amdhsa_workgroup_processor_mode 1
		.amdhsa_memory_ordered 1
		.amdhsa_forward_progress 1
		.amdhsa_shared_vgpr_count 0
		.amdhsa_exception_fp_ieee_invalid_op 0
		.amdhsa_exception_fp_denorm_src 0
		.amdhsa_exception_fp_ieee_div_zero 0
		.amdhsa_exception_fp_ieee_overflow 0
		.amdhsa_exception_fp_ieee_underflow 0
		.amdhsa_exception_fp_ieee_inexact 0
		.amdhsa_exception_int_div_zero 0
	.end_amdhsa_kernel
	.section	.text._ZN7rocprim17ROCPRIM_400000_NS6detail17trampoline_kernelINS0_14default_configENS1_21merge_config_selectorINS0_5tupleIJxxEEENS0_10empty_typeEEEZNS1_10merge_implIS3_NS0_12zip_iteratorINS5_IJN6thrust23THRUST_200600_302600_NS6detail15normal_iteratorINSC_10device_ptrIKxEEEESI_EEEEESK_NSA_INS5_IJNSE_INSF_IxEEEESM_EEEEEPS7_SP_SP_NSC_11hip_rocprim7__merge17predicate_wrapperIxxNSC_4lessIxEEEEEE10hipError_tPvRmT0_T1_T2_T3_T4_T5_mmT6_P12ihipStream_tbEUlT_E0_NS1_11comp_targetILNS1_3genE8ELNS1_11target_archE1030ELNS1_3gpuE2ELNS1_3repE0EEENS1_30default_config_static_selectorELNS0_4arch9wavefront6targetE0EEEvS10_,"axG",@progbits,_ZN7rocprim17ROCPRIM_400000_NS6detail17trampoline_kernelINS0_14default_configENS1_21merge_config_selectorINS0_5tupleIJxxEEENS0_10empty_typeEEEZNS1_10merge_implIS3_NS0_12zip_iteratorINS5_IJN6thrust23THRUST_200600_302600_NS6detail15normal_iteratorINSC_10device_ptrIKxEEEESI_EEEEESK_NSA_INS5_IJNSE_INSF_IxEEEESM_EEEEEPS7_SP_SP_NSC_11hip_rocprim7__merge17predicate_wrapperIxxNSC_4lessIxEEEEEE10hipError_tPvRmT0_T1_T2_T3_T4_T5_mmT6_P12ihipStream_tbEUlT_E0_NS1_11comp_targetILNS1_3genE8ELNS1_11target_archE1030ELNS1_3gpuE2ELNS1_3repE0EEENS1_30default_config_static_selectorELNS0_4arch9wavefront6targetE0EEEvS10_,comdat
.Lfunc_end224:
	.size	_ZN7rocprim17ROCPRIM_400000_NS6detail17trampoline_kernelINS0_14default_configENS1_21merge_config_selectorINS0_5tupleIJxxEEENS0_10empty_typeEEEZNS1_10merge_implIS3_NS0_12zip_iteratorINS5_IJN6thrust23THRUST_200600_302600_NS6detail15normal_iteratorINSC_10device_ptrIKxEEEESI_EEEEESK_NSA_INS5_IJNSE_INSF_IxEEEESM_EEEEEPS7_SP_SP_NSC_11hip_rocprim7__merge17predicate_wrapperIxxNSC_4lessIxEEEEEE10hipError_tPvRmT0_T1_T2_T3_T4_T5_mmT6_P12ihipStream_tbEUlT_E0_NS1_11comp_targetILNS1_3genE8ELNS1_11target_archE1030ELNS1_3gpuE2ELNS1_3repE0EEENS1_30default_config_static_selectorELNS0_4arch9wavefront6targetE0EEEvS10_, .Lfunc_end224-_ZN7rocprim17ROCPRIM_400000_NS6detail17trampoline_kernelINS0_14default_configENS1_21merge_config_selectorINS0_5tupleIJxxEEENS0_10empty_typeEEEZNS1_10merge_implIS3_NS0_12zip_iteratorINS5_IJN6thrust23THRUST_200600_302600_NS6detail15normal_iteratorINSC_10device_ptrIKxEEEESI_EEEEESK_NSA_INS5_IJNSE_INSF_IxEEEESM_EEEEEPS7_SP_SP_NSC_11hip_rocprim7__merge17predicate_wrapperIxxNSC_4lessIxEEEEEE10hipError_tPvRmT0_T1_T2_T3_T4_T5_mmT6_P12ihipStream_tbEUlT_E0_NS1_11comp_targetILNS1_3genE8ELNS1_11target_archE1030ELNS1_3gpuE2ELNS1_3repE0EEENS1_30default_config_static_selectorELNS0_4arch9wavefront6targetE0EEEvS10_
                                        ; -- End function
	.set _ZN7rocprim17ROCPRIM_400000_NS6detail17trampoline_kernelINS0_14default_configENS1_21merge_config_selectorINS0_5tupleIJxxEEENS0_10empty_typeEEEZNS1_10merge_implIS3_NS0_12zip_iteratorINS5_IJN6thrust23THRUST_200600_302600_NS6detail15normal_iteratorINSC_10device_ptrIKxEEEESI_EEEEESK_NSA_INS5_IJNSE_INSF_IxEEEESM_EEEEEPS7_SP_SP_NSC_11hip_rocprim7__merge17predicate_wrapperIxxNSC_4lessIxEEEEEE10hipError_tPvRmT0_T1_T2_T3_T4_T5_mmT6_P12ihipStream_tbEUlT_E0_NS1_11comp_targetILNS1_3genE8ELNS1_11target_archE1030ELNS1_3gpuE2ELNS1_3repE0EEENS1_30default_config_static_selectorELNS0_4arch9wavefront6targetE0EEEvS10_.num_vgpr, 63
	.set _ZN7rocprim17ROCPRIM_400000_NS6detail17trampoline_kernelINS0_14default_configENS1_21merge_config_selectorINS0_5tupleIJxxEEENS0_10empty_typeEEEZNS1_10merge_implIS3_NS0_12zip_iteratorINS5_IJN6thrust23THRUST_200600_302600_NS6detail15normal_iteratorINSC_10device_ptrIKxEEEESI_EEEEESK_NSA_INS5_IJNSE_INSF_IxEEEESM_EEEEEPS7_SP_SP_NSC_11hip_rocprim7__merge17predicate_wrapperIxxNSC_4lessIxEEEEEE10hipError_tPvRmT0_T1_T2_T3_T4_T5_mmT6_P12ihipStream_tbEUlT_E0_NS1_11comp_targetILNS1_3genE8ELNS1_11target_archE1030ELNS1_3gpuE2ELNS1_3repE0EEENS1_30default_config_static_selectorELNS0_4arch9wavefront6targetE0EEEvS10_.num_agpr, 0
	.set _ZN7rocprim17ROCPRIM_400000_NS6detail17trampoline_kernelINS0_14default_configENS1_21merge_config_selectorINS0_5tupleIJxxEEENS0_10empty_typeEEEZNS1_10merge_implIS3_NS0_12zip_iteratorINS5_IJN6thrust23THRUST_200600_302600_NS6detail15normal_iteratorINSC_10device_ptrIKxEEEESI_EEEEESK_NSA_INS5_IJNSE_INSF_IxEEEESM_EEEEEPS7_SP_SP_NSC_11hip_rocprim7__merge17predicate_wrapperIxxNSC_4lessIxEEEEEE10hipError_tPvRmT0_T1_T2_T3_T4_T5_mmT6_P12ihipStream_tbEUlT_E0_NS1_11comp_targetILNS1_3genE8ELNS1_11target_archE1030ELNS1_3gpuE2ELNS1_3repE0EEENS1_30default_config_static_selectorELNS0_4arch9wavefront6targetE0EEEvS10_.numbered_sgpr, 26
	.set _ZN7rocprim17ROCPRIM_400000_NS6detail17trampoline_kernelINS0_14default_configENS1_21merge_config_selectorINS0_5tupleIJxxEEENS0_10empty_typeEEEZNS1_10merge_implIS3_NS0_12zip_iteratorINS5_IJN6thrust23THRUST_200600_302600_NS6detail15normal_iteratorINSC_10device_ptrIKxEEEESI_EEEEESK_NSA_INS5_IJNSE_INSF_IxEEEESM_EEEEEPS7_SP_SP_NSC_11hip_rocprim7__merge17predicate_wrapperIxxNSC_4lessIxEEEEEE10hipError_tPvRmT0_T1_T2_T3_T4_T5_mmT6_P12ihipStream_tbEUlT_E0_NS1_11comp_targetILNS1_3genE8ELNS1_11target_archE1030ELNS1_3gpuE2ELNS1_3repE0EEENS1_30default_config_static_selectorELNS0_4arch9wavefront6targetE0EEEvS10_.num_named_barrier, 0
	.set _ZN7rocprim17ROCPRIM_400000_NS6detail17trampoline_kernelINS0_14default_configENS1_21merge_config_selectorINS0_5tupleIJxxEEENS0_10empty_typeEEEZNS1_10merge_implIS3_NS0_12zip_iteratorINS5_IJN6thrust23THRUST_200600_302600_NS6detail15normal_iteratorINSC_10device_ptrIKxEEEESI_EEEEESK_NSA_INS5_IJNSE_INSF_IxEEEESM_EEEEEPS7_SP_SP_NSC_11hip_rocprim7__merge17predicate_wrapperIxxNSC_4lessIxEEEEEE10hipError_tPvRmT0_T1_T2_T3_T4_T5_mmT6_P12ihipStream_tbEUlT_E0_NS1_11comp_targetILNS1_3genE8ELNS1_11target_archE1030ELNS1_3gpuE2ELNS1_3repE0EEENS1_30default_config_static_selectorELNS0_4arch9wavefront6targetE0EEEvS10_.private_seg_size, 0
	.set _ZN7rocprim17ROCPRIM_400000_NS6detail17trampoline_kernelINS0_14default_configENS1_21merge_config_selectorINS0_5tupleIJxxEEENS0_10empty_typeEEEZNS1_10merge_implIS3_NS0_12zip_iteratorINS5_IJN6thrust23THRUST_200600_302600_NS6detail15normal_iteratorINSC_10device_ptrIKxEEEESI_EEEEESK_NSA_INS5_IJNSE_INSF_IxEEEESM_EEEEEPS7_SP_SP_NSC_11hip_rocprim7__merge17predicate_wrapperIxxNSC_4lessIxEEEEEE10hipError_tPvRmT0_T1_T2_T3_T4_T5_mmT6_P12ihipStream_tbEUlT_E0_NS1_11comp_targetILNS1_3genE8ELNS1_11target_archE1030ELNS1_3gpuE2ELNS1_3repE0EEENS1_30default_config_static_selectorELNS0_4arch9wavefront6targetE0EEEvS10_.uses_vcc, 1
	.set _ZN7rocprim17ROCPRIM_400000_NS6detail17trampoline_kernelINS0_14default_configENS1_21merge_config_selectorINS0_5tupleIJxxEEENS0_10empty_typeEEEZNS1_10merge_implIS3_NS0_12zip_iteratorINS5_IJN6thrust23THRUST_200600_302600_NS6detail15normal_iteratorINSC_10device_ptrIKxEEEESI_EEEEESK_NSA_INS5_IJNSE_INSF_IxEEEESM_EEEEEPS7_SP_SP_NSC_11hip_rocprim7__merge17predicate_wrapperIxxNSC_4lessIxEEEEEE10hipError_tPvRmT0_T1_T2_T3_T4_T5_mmT6_P12ihipStream_tbEUlT_E0_NS1_11comp_targetILNS1_3genE8ELNS1_11target_archE1030ELNS1_3gpuE2ELNS1_3repE0EEENS1_30default_config_static_selectorELNS0_4arch9wavefront6targetE0EEEvS10_.uses_flat_scratch, 0
	.set _ZN7rocprim17ROCPRIM_400000_NS6detail17trampoline_kernelINS0_14default_configENS1_21merge_config_selectorINS0_5tupleIJxxEEENS0_10empty_typeEEEZNS1_10merge_implIS3_NS0_12zip_iteratorINS5_IJN6thrust23THRUST_200600_302600_NS6detail15normal_iteratorINSC_10device_ptrIKxEEEESI_EEEEESK_NSA_INS5_IJNSE_INSF_IxEEEESM_EEEEEPS7_SP_SP_NSC_11hip_rocprim7__merge17predicate_wrapperIxxNSC_4lessIxEEEEEE10hipError_tPvRmT0_T1_T2_T3_T4_T5_mmT6_P12ihipStream_tbEUlT_E0_NS1_11comp_targetILNS1_3genE8ELNS1_11target_archE1030ELNS1_3gpuE2ELNS1_3repE0EEENS1_30default_config_static_selectorELNS0_4arch9wavefront6targetE0EEEvS10_.has_dyn_sized_stack, 0
	.set _ZN7rocprim17ROCPRIM_400000_NS6detail17trampoline_kernelINS0_14default_configENS1_21merge_config_selectorINS0_5tupleIJxxEEENS0_10empty_typeEEEZNS1_10merge_implIS3_NS0_12zip_iteratorINS5_IJN6thrust23THRUST_200600_302600_NS6detail15normal_iteratorINSC_10device_ptrIKxEEEESI_EEEEESK_NSA_INS5_IJNSE_INSF_IxEEEESM_EEEEEPS7_SP_SP_NSC_11hip_rocprim7__merge17predicate_wrapperIxxNSC_4lessIxEEEEEE10hipError_tPvRmT0_T1_T2_T3_T4_T5_mmT6_P12ihipStream_tbEUlT_E0_NS1_11comp_targetILNS1_3genE8ELNS1_11target_archE1030ELNS1_3gpuE2ELNS1_3repE0EEENS1_30default_config_static_selectorELNS0_4arch9wavefront6targetE0EEEvS10_.has_recursion, 0
	.set _ZN7rocprim17ROCPRIM_400000_NS6detail17trampoline_kernelINS0_14default_configENS1_21merge_config_selectorINS0_5tupleIJxxEEENS0_10empty_typeEEEZNS1_10merge_implIS3_NS0_12zip_iteratorINS5_IJN6thrust23THRUST_200600_302600_NS6detail15normal_iteratorINSC_10device_ptrIKxEEEESI_EEEEESK_NSA_INS5_IJNSE_INSF_IxEEEESM_EEEEEPS7_SP_SP_NSC_11hip_rocprim7__merge17predicate_wrapperIxxNSC_4lessIxEEEEEE10hipError_tPvRmT0_T1_T2_T3_T4_T5_mmT6_P12ihipStream_tbEUlT_E0_NS1_11comp_targetILNS1_3genE8ELNS1_11target_archE1030ELNS1_3gpuE2ELNS1_3repE0EEENS1_30default_config_static_selectorELNS0_4arch9wavefront6targetE0EEEvS10_.has_indirect_call, 0
	.section	.AMDGPU.csdata,"",@progbits
; Kernel info:
; codeLenInByte = 4616
; TotalNumSgprs: 28
; NumVgprs: 63
; ScratchSize: 0
; MemoryBound: 0
; FloatMode: 240
; IeeeMode: 1
; LDSByteSize: 33792 bytes/workgroup (compile time only)
; SGPRBlocks: 0
; VGPRBlocks: 18
; NumSGPRsForWavesPerEU: 28
; NumVGPRsForWavesPerEU: 145
; Occupancy: 6
; WaveLimiterHint : 1
; COMPUTE_PGM_RSRC2:SCRATCH_EN: 0
; COMPUTE_PGM_RSRC2:USER_SGPR: 6
; COMPUTE_PGM_RSRC2:TRAP_HANDLER: 0
; COMPUTE_PGM_RSRC2:TGID_X_EN: 1
; COMPUTE_PGM_RSRC2:TGID_Y_EN: 0
; COMPUTE_PGM_RSRC2:TGID_Z_EN: 0
; COMPUTE_PGM_RSRC2:TIDIG_COMP_CNT: 0
	.section	.text._ZN7rocprim17ROCPRIM_400000_NS6detail17trampoline_kernelINS0_14default_configENS1_22reduce_config_selectorIN6thrust23THRUST_200600_302600_NS5tupleIblNS6_9null_typeES8_S8_S8_S8_S8_S8_S8_EEEEZNS1_11reduce_implILb1ES3_NS6_12zip_iteratorINS7_INS6_11hip_rocprim26transform_input_iterator_tIbNSD_35transform_pair_of_input_iterators_tIbNS6_6detail15normal_iteratorINS6_10device_ptrIKxEEEESL_NS6_8equal_toIxEEEENSG_9not_fun_tINSD_8identityEEEEENSD_19counting_iterator_tIlEES8_S8_S8_S8_S8_S8_S8_S8_EEEEPS9_S9_NSD_9__find_if7functorIS9_EEEE10hipError_tPvRmT1_T2_T3_mT4_P12ihipStream_tbEUlT_E0_NS1_11comp_targetILNS1_3genE0ELNS1_11target_archE4294967295ELNS1_3gpuE0ELNS1_3repE0EEENS1_30default_config_static_selectorELNS0_4arch9wavefront6targetE0EEEvS14_,"axG",@progbits,_ZN7rocprim17ROCPRIM_400000_NS6detail17trampoline_kernelINS0_14default_configENS1_22reduce_config_selectorIN6thrust23THRUST_200600_302600_NS5tupleIblNS6_9null_typeES8_S8_S8_S8_S8_S8_S8_EEEEZNS1_11reduce_implILb1ES3_NS6_12zip_iteratorINS7_INS6_11hip_rocprim26transform_input_iterator_tIbNSD_35transform_pair_of_input_iterators_tIbNS6_6detail15normal_iteratorINS6_10device_ptrIKxEEEESL_NS6_8equal_toIxEEEENSG_9not_fun_tINSD_8identityEEEEENSD_19counting_iterator_tIlEES8_S8_S8_S8_S8_S8_S8_S8_EEEEPS9_S9_NSD_9__find_if7functorIS9_EEEE10hipError_tPvRmT1_T2_T3_mT4_P12ihipStream_tbEUlT_E0_NS1_11comp_targetILNS1_3genE0ELNS1_11target_archE4294967295ELNS1_3gpuE0ELNS1_3repE0EEENS1_30default_config_static_selectorELNS0_4arch9wavefront6targetE0EEEvS14_,comdat
	.protected	_ZN7rocprim17ROCPRIM_400000_NS6detail17trampoline_kernelINS0_14default_configENS1_22reduce_config_selectorIN6thrust23THRUST_200600_302600_NS5tupleIblNS6_9null_typeES8_S8_S8_S8_S8_S8_S8_EEEEZNS1_11reduce_implILb1ES3_NS6_12zip_iteratorINS7_INS6_11hip_rocprim26transform_input_iterator_tIbNSD_35transform_pair_of_input_iterators_tIbNS6_6detail15normal_iteratorINS6_10device_ptrIKxEEEESL_NS6_8equal_toIxEEEENSG_9not_fun_tINSD_8identityEEEEENSD_19counting_iterator_tIlEES8_S8_S8_S8_S8_S8_S8_S8_EEEEPS9_S9_NSD_9__find_if7functorIS9_EEEE10hipError_tPvRmT1_T2_T3_mT4_P12ihipStream_tbEUlT_E0_NS1_11comp_targetILNS1_3genE0ELNS1_11target_archE4294967295ELNS1_3gpuE0ELNS1_3repE0EEENS1_30default_config_static_selectorELNS0_4arch9wavefront6targetE0EEEvS14_ ; -- Begin function _ZN7rocprim17ROCPRIM_400000_NS6detail17trampoline_kernelINS0_14default_configENS1_22reduce_config_selectorIN6thrust23THRUST_200600_302600_NS5tupleIblNS6_9null_typeES8_S8_S8_S8_S8_S8_S8_EEEEZNS1_11reduce_implILb1ES3_NS6_12zip_iteratorINS7_INS6_11hip_rocprim26transform_input_iterator_tIbNSD_35transform_pair_of_input_iterators_tIbNS6_6detail15normal_iteratorINS6_10device_ptrIKxEEEESL_NS6_8equal_toIxEEEENSG_9not_fun_tINSD_8identityEEEEENSD_19counting_iterator_tIlEES8_S8_S8_S8_S8_S8_S8_S8_EEEEPS9_S9_NSD_9__find_if7functorIS9_EEEE10hipError_tPvRmT1_T2_T3_mT4_P12ihipStream_tbEUlT_E0_NS1_11comp_targetILNS1_3genE0ELNS1_11target_archE4294967295ELNS1_3gpuE0ELNS1_3repE0EEENS1_30default_config_static_selectorELNS0_4arch9wavefront6targetE0EEEvS14_
	.globl	_ZN7rocprim17ROCPRIM_400000_NS6detail17trampoline_kernelINS0_14default_configENS1_22reduce_config_selectorIN6thrust23THRUST_200600_302600_NS5tupleIblNS6_9null_typeES8_S8_S8_S8_S8_S8_S8_EEEEZNS1_11reduce_implILb1ES3_NS6_12zip_iteratorINS7_INS6_11hip_rocprim26transform_input_iterator_tIbNSD_35transform_pair_of_input_iterators_tIbNS6_6detail15normal_iteratorINS6_10device_ptrIKxEEEESL_NS6_8equal_toIxEEEENSG_9not_fun_tINSD_8identityEEEEENSD_19counting_iterator_tIlEES8_S8_S8_S8_S8_S8_S8_S8_EEEEPS9_S9_NSD_9__find_if7functorIS9_EEEE10hipError_tPvRmT1_T2_T3_mT4_P12ihipStream_tbEUlT_E0_NS1_11comp_targetILNS1_3genE0ELNS1_11target_archE4294967295ELNS1_3gpuE0ELNS1_3repE0EEENS1_30default_config_static_selectorELNS0_4arch9wavefront6targetE0EEEvS14_
	.p2align	8
	.type	_ZN7rocprim17ROCPRIM_400000_NS6detail17trampoline_kernelINS0_14default_configENS1_22reduce_config_selectorIN6thrust23THRUST_200600_302600_NS5tupleIblNS6_9null_typeES8_S8_S8_S8_S8_S8_S8_EEEEZNS1_11reduce_implILb1ES3_NS6_12zip_iteratorINS7_INS6_11hip_rocprim26transform_input_iterator_tIbNSD_35transform_pair_of_input_iterators_tIbNS6_6detail15normal_iteratorINS6_10device_ptrIKxEEEESL_NS6_8equal_toIxEEEENSG_9not_fun_tINSD_8identityEEEEENSD_19counting_iterator_tIlEES8_S8_S8_S8_S8_S8_S8_S8_EEEEPS9_S9_NSD_9__find_if7functorIS9_EEEE10hipError_tPvRmT1_T2_T3_mT4_P12ihipStream_tbEUlT_E0_NS1_11comp_targetILNS1_3genE0ELNS1_11target_archE4294967295ELNS1_3gpuE0ELNS1_3repE0EEENS1_30default_config_static_selectorELNS0_4arch9wavefront6targetE0EEEvS14_,@function
_ZN7rocprim17ROCPRIM_400000_NS6detail17trampoline_kernelINS0_14default_configENS1_22reduce_config_selectorIN6thrust23THRUST_200600_302600_NS5tupleIblNS6_9null_typeES8_S8_S8_S8_S8_S8_S8_EEEEZNS1_11reduce_implILb1ES3_NS6_12zip_iteratorINS7_INS6_11hip_rocprim26transform_input_iterator_tIbNSD_35transform_pair_of_input_iterators_tIbNS6_6detail15normal_iteratorINS6_10device_ptrIKxEEEESL_NS6_8equal_toIxEEEENSG_9not_fun_tINSD_8identityEEEEENSD_19counting_iterator_tIlEES8_S8_S8_S8_S8_S8_S8_S8_EEEEPS9_S9_NSD_9__find_if7functorIS9_EEEE10hipError_tPvRmT1_T2_T3_mT4_P12ihipStream_tbEUlT_E0_NS1_11comp_targetILNS1_3genE0ELNS1_11target_archE4294967295ELNS1_3gpuE0ELNS1_3repE0EEENS1_30default_config_static_selectorELNS0_4arch9wavefront6targetE0EEEvS14_: ; @_ZN7rocprim17ROCPRIM_400000_NS6detail17trampoline_kernelINS0_14default_configENS1_22reduce_config_selectorIN6thrust23THRUST_200600_302600_NS5tupleIblNS6_9null_typeES8_S8_S8_S8_S8_S8_S8_EEEEZNS1_11reduce_implILb1ES3_NS6_12zip_iteratorINS7_INS6_11hip_rocprim26transform_input_iterator_tIbNSD_35transform_pair_of_input_iterators_tIbNS6_6detail15normal_iteratorINS6_10device_ptrIKxEEEESL_NS6_8equal_toIxEEEENSG_9not_fun_tINSD_8identityEEEEENSD_19counting_iterator_tIlEES8_S8_S8_S8_S8_S8_S8_S8_EEEEPS9_S9_NSD_9__find_if7functorIS9_EEEE10hipError_tPvRmT1_T2_T3_mT4_P12ihipStream_tbEUlT_E0_NS1_11comp_targetILNS1_3genE0ELNS1_11target_archE4294967295ELNS1_3gpuE0ELNS1_3repE0EEENS1_30default_config_static_selectorELNS0_4arch9wavefront6targetE0EEEvS14_
; %bb.0:
	.section	.rodata,"a",@progbits
	.p2align	6, 0x0
	.amdhsa_kernel _ZN7rocprim17ROCPRIM_400000_NS6detail17trampoline_kernelINS0_14default_configENS1_22reduce_config_selectorIN6thrust23THRUST_200600_302600_NS5tupleIblNS6_9null_typeES8_S8_S8_S8_S8_S8_S8_EEEEZNS1_11reduce_implILb1ES3_NS6_12zip_iteratorINS7_INS6_11hip_rocprim26transform_input_iterator_tIbNSD_35transform_pair_of_input_iterators_tIbNS6_6detail15normal_iteratorINS6_10device_ptrIKxEEEESL_NS6_8equal_toIxEEEENSG_9not_fun_tINSD_8identityEEEEENSD_19counting_iterator_tIlEES8_S8_S8_S8_S8_S8_S8_S8_EEEEPS9_S9_NSD_9__find_if7functorIS9_EEEE10hipError_tPvRmT1_T2_T3_mT4_P12ihipStream_tbEUlT_E0_NS1_11comp_targetILNS1_3genE0ELNS1_11target_archE4294967295ELNS1_3gpuE0ELNS1_3repE0EEENS1_30default_config_static_selectorELNS0_4arch9wavefront6targetE0EEEvS14_
		.amdhsa_group_segment_fixed_size 0
		.amdhsa_private_segment_fixed_size 0
		.amdhsa_kernarg_size 104
		.amdhsa_user_sgpr_count 6
		.amdhsa_user_sgpr_private_segment_buffer 1
		.amdhsa_user_sgpr_dispatch_ptr 0
		.amdhsa_user_sgpr_queue_ptr 0
		.amdhsa_user_sgpr_kernarg_segment_ptr 1
		.amdhsa_user_sgpr_dispatch_id 0
		.amdhsa_user_sgpr_flat_scratch_init 0
		.amdhsa_user_sgpr_private_segment_size 0
		.amdhsa_wavefront_size32 1
		.amdhsa_uses_dynamic_stack 0
		.amdhsa_system_sgpr_private_segment_wavefront_offset 0
		.amdhsa_system_sgpr_workgroup_id_x 1
		.amdhsa_system_sgpr_workgroup_id_y 0
		.amdhsa_system_sgpr_workgroup_id_z 0
		.amdhsa_system_sgpr_workgroup_info 0
		.amdhsa_system_vgpr_workitem_id 0
		.amdhsa_next_free_vgpr 1
		.amdhsa_next_free_sgpr 1
		.amdhsa_reserve_vcc 0
		.amdhsa_reserve_flat_scratch 0
		.amdhsa_float_round_mode_32 0
		.amdhsa_float_round_mode_16_64 0
		.amdhsa_float_denorm_mode_32 3
		.amdhsa_float_denorm_mode_16_64 3
		.amdhsa_dx10_clamp 1
		.amdhsa_ieee_mode 1
		.amdhsa_fp16_overflow 0
		.amdhsa_workgroup_processor_mode 1
		.amdhsa_memory_ordered 1
		.amdhsa_forward_progress 1
		.amdhsa_shared_vgpr_count 0
		.amdhsa_exception_fp_ieee_invalid_op 0
		.amdhsa_exception_fp_denorm_src 0
		.amdhsa_exception_fp_ieee_div_zero 0
		.amdhsa_exception_fp_ieee_overflow 0
		.amdhsa_exception_fp_ieee_underflow 0
		.amdhsa_exception_fp_ieee_inexact 0
		.amdhsa_exception_int_div_zero 0
	.end_amdhsa_kernel
	.section	.text._ZN7rocprim17ROCPRIM_400000_NS6detail17trampoline_kernelINS0_14default_configENS1_22reduce_config_selectorIN6thrust23THRUST_200600_302600_NS5tupleIblNS6_9null_typeES8_S8_S8_S8_S8_S8_S8_EEEEZNS1_11reduce_implILb1ES3_NS6_12zip_iteratorINS7_INS6_11hip_rocprim26transform_input_iterator_tIbNSD_35transform_pair_of_input_iterators_tIbNS6_6detail15normal_iteratorINS6_10device_ptrIKxEEEESL_NS6_8equal_toIxEEEENSG_9not_fun_tINSD_8identityEEEEENSD_19counting_iterator_tIlEES8_S8_S8_S8_S8_S8_S8_S8_EEEEPS9_S9_NSD_9__find_if7functorIS9_EEEE10hipError_tPvRmT1_T2_T3_mT4_P12ihipStream_tbEUlT_E0_NS1_11comp_targetILNS1_3genE0ELNS1_11target_archE4294967295ELNS1_3gpuE0ELNS1_3repE0EEENS1_30default_config_static_selectorELNS0_4arch9wavefront6targetE0EEEvS14_,"axG",@progbits,_ZN7rocprim17ROCPRIM_400000_NS6detail17trampoline_kernelINS0_14default_configENS1_22reduce_config_selectorIN6thrust23THRUST_200600_302600_NS5tupleIblNS6_9null_typeES8_S8_S8_S8_S8_S8_S8_EEEEZNS1_11reduce_implILb1ES3_NS6_12zip_iteratorINS7_INS6_11hip_rocprim26transform_input_iterator_tIbNSD_35transform_pair_of_input_iterators_tIbNS6_6detail15normal_iteratorINS6_10device_ptrIKxEEEESL_NS6_8equal_toIxEEEENSG_9not_fun_tINSD_8identityEEEEENSD_19counting_iterator_tIlEES8_S8_S8_S8_S8_S8_S8_S8_EEEEPS9_S9_NSD_9__find_if7functorIS9_EEEE10hipError_tPvRmT1_T2_T3_mT4_P12ihipStream_tbEUlT_E0_NS1_11comp_targetILNS1_3genE0ELNS1_11target_archE4294967295ELNS1_3gpuE0ELNS1_3repE0EEENS1_30default_config_static_selectorELNS0_4arch9wavefront6targetE0EEEvS14_,comdat
.Lfunc_end225:
	.size	_ZN7rocprim17ROCPRIM_400000_NS6detail17trampoline_kernelINS0_14default_configENS1_22reduce_config_selectorIN6thrust23THRUST_200600_302600_NS5tupleIblNS6_9null_typeES8_S8_S8_S8_S8_S8_S8_EEEEZNS1_11reduce_implILb1ES3_NS6_12zip_iteratorINS7_INS6_11hip_rocprim26transform_input_iterator_tIbNSD_35transform_pair_of_input_iterators_tIbNS6_6detail15normal_iteratorINS6_10device_ptrIKxEEEESL_NS6_8equal_toIxEEEENSG_9not_fun_tINSD_8identityEEEEENSD_19counting_iterator_tIlEES8_S8_S8_S8_S8_S8_S8_S8_EEEEPS9_S9_NSD_9__find_if7functorIS9_EEEE10hipError_tPvRmT1_T2_T3_mT4_P12ihipStream_tbEUlT_E0_NS1_11comp_targetILNS1_3genE0ELNS1_11target_archE4294967295ELNS1_3gpuE0ELNS1_3repE0EEENS1_30default_config_static_selectorELNS0_4arch9wavefront6targetE0EEEvS14_, .Lfunc_end225-_ZN7rocprim17ROCPRIM_400000_NS6detail17trampoline_kernelINS0_14default_configENS1_22reduce_config_selectorIN6thrust23THRUST_200600_302600_NS5tupleIblNS6_9null_typeES8_S8_S8_S8_S8_S8_S8_EEEEZNS1_11reduce_implILb1ES3_NS6_12zip_iteratorINS7_INS6_11hip_rocprim26transform_input_iterator_tIbNSD_35transform_pair_of_input_iterators_tIbNS6_6detail15normal_iteratorINS6_10device_ptrIKxEEEESL_NS6_8equal_toIxEEEENSG_9not_fun_tINSD_8identityEEEEENSD_19counting_iterator_tIlEES8_S8_S8_S8_S8_S8_S8_S8_EEEEPS9_S9_NSD_9__find_if7functorIS9_EEEE10hipError_tPvRmT1_T2_T3_mT4_P12ihipStream_tbEUlT_E0_NS1_11comp_targetILNS1_3genE0ELNS1_11target_archE4294967295ELNS1_3gpuE0ELNS1_3repE0EEENS1_30default_config_static_selectorELNS0_4arch9wavefront6targetE0EEEvS14_
                                        ; -- End function
	.set _ZN7rocprim17ROCPRIM_400000_NS6detail17trampoline_kernelINS0_14default_configENS1_22reduce_config_selectorIN6thrust23THRUST_200600_302600_NS5tupleIblNS6_9null_typeES8_S8_S8_S8_S8_S8_S8_EEEEZNS1_11reduce_implILb1ES3_NS6_12zip_iteratorINS7_INS6_11hip_rocprim26transform_input_iterator_tIbNSD_35transform_pair_of_input_iterators_tIbNS6_6detail15normal_iteratorINS6_10device_ptrIKxEEEESL_NS6_8equal_toIxEEEENSG_9not_fun_tINSD_8identityEEEEENSD_19counting_iterator_tIlEES8_S8_S8_S8_S8_S8_S8_S8_EEEEPS9_S9_NSD_9__find_if7functorIS9_EEEE10hipError_tPvRmT1_T2_T3_mT4_P12ihipStream_tbEUlT_E0_NS1_11comp_targetILNS1_3genE0ELNS1_11target_archE4294967295ELNS1_3gpuE0ELNS1_3repE0EEENS1_30default_config_static_selectorELNS0_4arch9wavefront6targetE0EEEvS14_.num_vgpr, 0
	.set _ZN7rocprim17ROCPRIM_400000_NS6detail17trampoline_kernelINS0_14default_configENS1_22reduce_config_selectorIN6thrust23THRUST_200600_302600_NS5tupleIblNS6_9null_typeES8_S8_S8_S8_S8_S8_S8_EEEEZNS1_11reduce_implILb1ES3_NS6_12zip_iteratorINS7_INS6_11hip_rocprim26transform_input_iterator_tIbNSD_35transform_pair_of_input_iterators_tIbNS6_6detail15normal_iteratorINS6_10device_ptrIKxEEEESL_NS6_8equal_toIxEEEENSG_9not_fun_tINSD_8identityEEEEENSD_19counting_iterator_tIlEES8_S8_S8_S8_S8_S8_S8_S8_EEEEPS9_S9_NSD_9__find_if7functorIS9_EEEE10hipError_tPvRmT1_T2_T3_mT4_P12ihipStream_tbEUlT_E0_NS1_11comp_targetILNS1_3genE0ELNS1_11target_archE4294967295ELNS1_3gpuE0ELNS1_3repE0EEENS1_30default_config_static_selectorELNS0_4arch9wavefront6targetE0EEEvS14_.num_agpr, 0
	.set _ZN7rocprim17ROCPRIM_400000_NS6detail17trampoline_kernelINS0_14default_configENS1_22reduce_config_selectorIN6thrust23THRUST_200600_302600_NS5tupleIblNS6_9null_typeES8_S8_S8_S8_S8_S8_S8_EEEEZNS1_11reduce_implILb1ES3_NS6_12zip_iteratorINS7_INS6_11hip_rocprim26transform_input_iterator_tIbNSD_35transform_pair_of_input_iterators_tIbNS6_6detail15normal_iteratorINS6_10device_ptrIKxEEEESL_NS6_8equal_toIxEEEENSG_9not_fun_tINSD_8identityEEEEENSD_19counting_iterator_tIlEES8_S8_S8_S8_S8_S8_S8_S8_EEEEPS9_S9_NSD_9__find_if7functorIS9_EEEE10hipError_tPvRmT1_T2_T3_mT4_P12ihipStream_tbEUlT_E0_NS1_11comp_targetILNS1_3genE0ELNS1_11target_archE4294967295ELNS1_3gpuE0ELNS1_3repE0EEENS1_30default_config_static_selectorELNS0_4arch9wavefront6targetE0EEEvS14_.numbered_sgpr, 0
	.set _ZN7rocprim17ROCPRIM_400000_NS6detail17trampoline_kernelINS0_14default_configENS1_22reduce_config_selectorIN6thrust23THRUST_200600_302600_NS5tupleIblNS6_9null_typeES8_S8_S8_S8_S8_S8_S8_EEEEZNS1_11reduce_implILb1ES3_NS6_12zip_iteratorINS7_INS6_11hip_rocprim26transform_input_iterator_tIbNSD_35transform_pair_of_input_iterators_tIbNS6_6detail15normal_iteratorINS6_10device_ptrIKxEEEESL_NS6_8equal_toIxEEEENSG_9not_fun_tINSD_8identityEEEEENSD_19counting_iterator_tIlEES8_S8_S8_S8_S8_S8_S8_S8_EEEEPS9_S9_NSD_9__find_if7functorIS9_EEEE10hipError_tPvRmT1_T2_T3_mT4_P12ihipStream_tbEUlT_E0_NS1_11comp_targetILNS1_3genE0ELNS1_11target_archE4294967295ELNS1_3gpuE0ELNS1_3repE0EEENS1_30default_config_static_selectorELNS0_4arch9wavefront6targetE0EEEvS14_.num_named_barrier, 0
	.set _ZN7rocprim17ROCPRIM_400000_NS6detail17trampoline_kernelINS0_14default_configENS1_22reduce_config_selectorIN6thrust23THRUST_200600_302600_NS5tupleIblNS6_9null_typeES8_S8_S8_S8_S8_S8_S8_EEEEZNS1_11reduce_implILb1ES3_NS6_12zip_iteratorINS7_INS6_11hip_rocprim26transform_input_iterator_tIbNSD_35transform_pair_of_input_iterators_tIbNS6_6detail15normal_iteratorINS6_10device_ptrIKxEEEESL_NS6_8equal_toIxEEEENSG_9not_fun_tINSD_8identityEEEEENSD_19counting_iterator_tIlEES8_S8_S8_S8_S8_S8_S8_S8_EEEEPS9_S9_NSD_9__find_if7functorIS9_EEEE10hipError_tPvRmT1_T2_T3_mT4_P12ihipStream_tbEUlT_E0_NS1_11comp_targetILNS1_3genE0ELNS1_11target_archE4294967295ELNS1_3gpuE0ELNS1_3repE0EEENS1_30default_config_static_selectorELNS0_4arch9wavefront6targetE0EEEvS14_.private_seg_size, 0
	.set _ZN7rocprim17ROCPRIM_400000_NS6detail17trampoline_kernelINS0_14default_configENS1_22reduce_config_selectorIN6thrust23THRUST_200600_302600_NS5tupleIblNS6_9null_typeES8_S8_S8_S8_S8_S8_S8_EEEEZNS1_11reduce_implILb1ES3_NS6_12zip_iteratorINS7_INS6_11hip_rocprim26transform_input_iterator_tIbNSD_35transform_pair_of_input_iterators_tIbNS6_6detail15normal_iteratorINS6_10device_ptrIKxEEEESL_NS6_8equal_toIxEEEENSG_9not_fun_tINSD_8identityEEEEENSD_19counting_iterator_tIlEES8_S8_S8_S8_S8_S8_S8_S8_EEEEPS9_S9_NSD_9__find_if7functorIS9_EEEE10hipError_tPvRmT1_T2_T3_mT4_P12ihipStream_tbEUlT_E0_NS1_11comp_targetILNS1_3genE0ELNS1_11target_archE4294967295ELNS1_3gpuE0ELNS1_3repE0EEENS1_30default_config_static_selectorELNS0_4arch9wavefront6targetE0EEEvS14_.uses_vcc, 0
	.set _ZN7rocprim17ROCPRIM_400000_NS6detail17trampoline_kernelINS0_14default_configENS1_22reduce_config_selectorIN6thrust23THRUST_200600_302600_NS5tupleIblNS6_9null_typeES8_S8_S8_S8_S8_S8_S8_EEEEZNS1_11reduce_implILb1ES3_NS6_12zip_iteratorINS7_INS6_11hip_rocprim26transform_input_iterator_tIbNSD_35transform_pair_of_input_iterators_tIbNS6_6detail15normal_iteratorINS6_10device_ptrIKxEEEESL_NS6_8equal_toIxEEEENSG_9not_fun_tINSD_8identityEEEEENSD_19counting_iterator_tIlEES8_S8_S8_S8_S8_S8_S8_S8_EEEEPS9_S9_NSD_9__find_if7functorIS9_EEEE10hipError_tPvRmT1_T2_T3_mT4_P12ihipStream_tbEUlT_E0_NS1_11comp_targetILNS1_3genE0ELNS1_11target_archE4294967295ELNS1_3gpuE0ELNS1_3repE0EEENS1_30default_config_static_selectorELNS0_4arch9wavefront6targetE0EEEvS14_.uses_flat_scratch, 0
	.set _ZN7rocprim17ROCPRIM_400000_NS6detail17trampoline_kernelINS0_14default_configENS1_22reduce_config_selectorIN6thrust23THRUST_200600_302600_NS5tupleIblNS6_9null_typeES8_S8_S8_S8_S8_S8_S8_EEEEZNS1_11reduce_implILb1ES3_NS6_12zip_iteratorINS7_INS6_11hip_rocprim26transform_input_iterator_tIbNSD_35transform_pair_of_input_iterators_tIbNS6_6detail15normal_iteratorINS6_10device_ptrIKxEEEESL_NS6_8equal_toIxEEEENSG_9not_fun_tINSD_8identityEEEEENSD_19counting_iterator_tIlEES8_S8_S8_S8_S8_S8_S8_S8_EEEEPS9_S9_NSD_9__find_if7functorIS9_EEEE10hipError_tPvRmT1_T2_T3_mT4_P12ihipStream_tbEUlT_E0_NS1_11comp_targetILNS1_3genE0ELNS1_11target_archE4294967295ELNS1_3gpuE0ELNS1_3repE0EEENS1_30default_config_static_selectorELNS0_4arch9wavefront6targetE0EEEvS14_.has_dyn_sized_stack, 0
	.set _ZN7rocprim17ROCPRIM_400000_NS6detail17trampoline_kernelINS0_14default_configENS1_22reduce_config_selectorIN6thrust23THRUST_200600_302600_NS5tupleIblNS6_9null_typeES8_S8_S8_S8_S8_S8_S8_EEEEZNS1_11reduce_implILb1ES3_NS6_12zip_iteratorINS7_INS6_11hip_rocprim26transform_input_iterator_tIbNSD_35transform_pair_of_input_iterators_tIbNS6_6detail15normal_iteratorINS6_10device_ptrIKxEEEESL_NS6_8equal_toIxEEEENSG_9not_fun_tINSD_8identityEEEEENSD_19counting_iterator_tIlEES8_S8_S8_S8_S8_S8_S8_S8_EEEEPS9_S9_NSD_9__find_if7functorIS9_EEEE10hipError_tPvRmT1_T2_T3_mT4_P12ihipStream_tbEUlT_E0_NS1_11comp_targetILNS1_3genE0ELNS1_11target_archE4294967295ELNS1_3gpuE0ELNS1_3repE0EEENS1_30default_config_static_selectorELNS0_4arch9wavefront6targetE0EEEvS14_.has_recursion, 0
	.set _ZN7rocprim17ROCPRIM_400000_NS6detail17trampoline_kernelINS0_14default_configENS1_22reduce_config_selectorIN6thrust23THRUST_200600_302600_NS5tupleIblNS6_9null_typeES8_S8_S8_S8_S8_S8_S8_EEEEZNS1_11reduce_implILb1ES3_NS6_12zip_iteratorINS7_INS6_11hip_rocprim26transform_input_iterator_tIbNSD_35transform_pair_of_input_iterators_tIbNS6_6detail15normal_iteratorINS6_10device_ptrIKxEEEESL_NS6_8equal_toIxEEEENSG_9not_fun_tINSD_8identityEEEEENSD_19counting_iterator_tIlEES8_S8_S8_S8_S8_S8_S8_S8_EEEEPS9_S9_NSD_9__find_if7functorIS9_EEEE10hipError_tPvRmT1_T2_T3_mT4_P12ihipStream_tbEUlT_E0_NS1_11comp_targetILNS1_3genE0ELNS1_11target_archE4294967295ELNS1_3gpuE0ELNS1_3repE0EEENS1_30default_config_static_selectorELNS0_4arch9wavefront6targetE0EEEvS14_.has_indirect_call, 0
	.section	.AMDGPU.csdata,"",@progbits
; Kernel info:
; codeLenInByte = 0
; TotalNumSgprs: 0
; NumVgprs: 0
; ScratchSize: 0
; MemoryBound: 0
; FloatMode: 240
; IeeeMode: 1
; LDSByteSize: 0 bytes/workgroup (compile time only)
; SGPRBlocks: 0
; VGPRBlocks: 0
; NumSGPRsForWavesPerEU: 1
; NumVGPRsForWavesPerEU: 1
; Occupancy: 16
; WaveLimiterHint : 0
; COMPUTE_PGM_RSRC2:SCRATCH_EN: 0
; COMPUTE_PGM_RSRC2:USER_SGPR: 6
; COMPUTE_PGM_RSRC2:TRAP_HANDLER: 0
; COMPUTE_PGM_RSRC2:TGID_X_EN: 1
; COMPUTE_PGM_RSRC2:TGID_Y_EN: 0
; COMPUTE_PGM_RSRC2:TGID_Z_EN: 0
; COMPUTE_PGM_RSRC2:TIDIG_COMP_CNT: 0
	.section	.text._ZN7rocprim17ROCPRIM_400000_NS6detail17trampoline_kernelINS0_14default_configENS1_22reduce_config_selectorIN6thrust23THRUST_200600_302600_NS5tupleIblNS6_9null_typeES8_S8_S8_S8_S8_S8_S8_EEEEZNS1_11reduce_implILb1ES3_NS6_12zip_iteratorINS7_INS6_11hip_rocprim26transform_input_iterator_tIbNSD_35transform_pair_of_input_iterators_tIbNS6_6detail15normal_iteratorINS6_10device_ptrIKxEEEESL_NS6_8equal_toIxEEEENSG_9not_fun_tINSD_8identityEEEEENSD_19counting_iterator_tIlEES8_S8_S8_S8_S8_S8_S8_S8_EEEEPS9_S9_NSD_9__find_if7functorIS9_EEEE10hipError_tPvRmT1_T2_T3_mT4_P12ihipStream_tbEUlT_E0_NS1_11comp_targetILNS1_3genE5ELNS1_11target_archE942ELNS1_3gpuE9ELNS1_3repE0EEENS1_30default_config_static_selectorELNS0_4arch9wavefront6targetE0EEEvS14_,"axG",@progbits,_ZN7rocprim17ROCPRIM_400000_NS6detail17trampoline_kernelINS0_14default_configENS1_22reduce_config_selectorIN6thrust23THRUST_200600_302600_NS5tupleIblNS6_9null_typeES8_S8_S8_S8_S8_S8_S8_EEEEZNS1_11reduce_implILb1ES3_NS6_12zip_iteratorINS7_INS6_11hip_rocprim26transform_input_iterator_tIbNSD_35transform_pair_of_input_iterators_tIbNS6_6detail15normal_iteratorINS6_10device_ptrIKxEEEESL_NS6_8equal_toIxEEEENSG_9not_fun_tINSD_8identityEEEEENSD_19counting_iterator_tIlEES8_S8_S8_S8_S8_S8_S8_S8_EEEEPS9_S9_NSD_9__find_if7functorIS9_EEEE10hipError_tPvRmT1_T2_T3_mT4_P12ihipStream_tbEUlT_E0_NS1_11comp_targetILNS1_3genE5ELNS1_11target_archE942ELNS1_3gpuE9ELNS1_3repE0EEENS1_30default_config_static_selectorELNS0_4arch9wavefront6targetE0EEEvS14_,comdat
	.protected	_ZN7rocprim17ROCPRIM_400000_NS6detail17trampoline_kernelINS0_14default_configENS1_22reduce_config_selectorIN6thrust23THRUST_200600_302600_NS5tupleIblNS6_9null_typeES8_S8_S8_S8_S8_S8_S8_EEEEZNS1_11reduce_implILb1ES3_NS6_12zip_iteratorINS7_INS6_11hip_rocprim26transform_input_iterator_tIbNSD_35transform_pair_of_input_iterators_tIbNS6_6detail15normal_iteratorINS6_10device_ptrIKxEEEESL_NS6_8equal_toIxEEEENSG_9not_fun_tINSD_8identityEEEEENSD_19counting_iterator_tIlEES8_S8_S8_S8_S8_S8_S8_S8_EEEEPS9_S9_NSD_9__find_if7functorIS9_EEEE10hipError_tPvRmT1_T2_T3_mT4_P12ihipStream_tbEUlT_E0_NS1_11comp_targetILNS1_3genE5ELNS1_11target_archE942ELNS1_3gpuE9ELNS1_3repE0EEENS1_30default_config_static_selectorELNS0_4arch9wavefront6targetE0EEEvS14_ ; -- Begin function _ZN7rocprim17ROCPRIM_400000_NS6detail17trampoline_kernelINS0_14default_configENS1_22reduce_config_selectorIN6thrust23THRUST_200600_302600_NS5tupleIblNS6_9null_typeES8_S8_S8_S8_S8_S8_S8_EEEEZNS1_11reduce_implILb1ES3_NS6_12zip_iteratorINS7_INS6_11hip_rocprim26transform_input_iterator_tIbNSD_35transform_pair_of_input_iterators_tIbNS6_6detail15normal_iteratorINS6_10device_ptrIKxEEEESL_NS6_8equal_toIxEEEENSG_9not_fun_tINSD_8identityEEEEENSD_19counting_iterator_tIlEES8_S8_S8_S8_S8_S8_S8_S8_EEEEPS9_S9_NSD_9__find_if7functorIS9_EEEE10hipError_tPvRmT1_T2_T3_mT4_P12ihipStream_tbEUlT_E0_NS1_11comp_targetILNS1_3genE5ELNS1_11target_archE942ELNS1_3gpuE9ELNS1_3repE0EEENS1_30default_config_static_selectorELNS0_4arch9wavefront6targetE0EEEvS14_
	.globl	_ZN7rocprim17ROCPRIM_400000_NS6detail17trampoline_kernelINS0_14default_configENS1_22reduce_config_selectorIN6thrust23THRUST_200600_302600_NS5tupleIblNS6_9null_typeES8_S8_S8_S8_S8_S8_S8_EEEEZNS1_11reduce_implILb1ES3_NS6_12zip_iteratorINS7_INS6_11hip_rocprim26transform_input_iterator_tIbNSD_35transform_pair_of_input_iterators_tIbNS6_6detail15normal_iteratorINS6_10device_ptrIKxEEEESL_NS6_8equal_toIxEEEENSG_9not_fun_tINSD_8identityEEEEENSD_19counting_iterator_tIlEES8_S8_S8_S8_S8_S8_S8_S8_EEEEPS9_S9_NSD_9__find_if7functorIS9_EEEE10hipError_tPvRmT1_T2_T3_mT4_P12ihipStream_tbEUlT_E0_NS1_11comp_targetILNS1_3genE5ELNS1_11target_archE942ELNS1_3gpuE9ELNS1_3repE0EEENS1_30default_config_static_selectorELNS0_4arch9wavefront6targetE0EEEvS14_
	.p2align	8
	.type	_ZN7rocprim17ROCPRIM_400000_NS6detail17trampoline_kernelINS0_14default_configENS1_22reduce_config_selectorIN6thrust23THRUST_200600_302600_NS5tupleIblNS6_9null_typeES8_S8_S8_S8_S8_S8_S8_EEEEZNS1_11reduce_implILb1ES3_NS6_12zip_iteratorINS7_INS6_11hip_rocprim26transform_input_iterator_tIbNSD_35transform_pair_of_input_iterators_tIbNS6_6detail15normal_iteratorINS6_10device_ptrIKxEEEESL_NS6_8equal_toIxEEEENSG_9not_fun_tINSD_8identityEEEEENSD_19counting_iterator_tIlEES8_S8_S8_S8_S8_S8_S8_S8_EEEEPS9_S9_NSD_9__find_if7functorIS9_EEEE10hipError_tPvRmT1_T2_T3_mT4_P12ihipStream_tbEUlT_E0_NS1_11comp_targetILNS1_3genE5ELNS1_11target_archE942ELNS1_3gpuE9ELNS1_3repE0EEENS1_30default_config_static_selectorELNS0_4arch9wavefront6targetE0EEEvS14_,@function
_ZN7rocprim17ROCPRIM_400000_NS6detail17trampoline_kernelINS0_14default_configENS1_22reduce_config_selectorIN6thrust23THRUST_200600_302600_NS5tupleIblNS6_9null_typeES8_S8_S8_S8_S8_S8_S8_EEEEZNS1_11reduce_implILb1ES3_NS6_12zip_iteratorINS7_INS6_11hip_rocprim26transform_input_iterator_tIbNSD_35transform_pair_of_input_iterators_tIbNS6_6detail15normal_iteratorINS6_10device_ptrIKxEEEESL_NS6_8equal_toIxEEEENSG_9not_fun_tINSD_8identityEEEEENSD_19counting_iterator_tIlEES8_S8_S8_S8_S8_S8_S8_S8_EEEEPS9_S9_NSD_9__find_if7functorIS9_EEEE10hipError_tPvRmT1_T2_T3_mT4_P12ihipStream_tbEUlT_E0_NS1_11comp_targetILNS1_3genE5ELNS1_11target_archE942ELNS1_3gpuE9ELNS1_3repE0EEENS1_30default_config_static_selectorELNS0_4arch9wavefront6targetE0EEEvS14_: ; @_ZN7rocprim17ROCPRIM_400000_NS6detail17trampoline_kernelINS0_14default_configENS1_22reduce_config_selectorIN6thrust23THRUST_200600_302600_NS5tupleIblNS6_9null_typeES8_S8_S8_S8_S8_S8_S8_EEEEZNS1_11reduce_implILb1ES3_NS6_12zip_iteratorINS7_INS6_11hip_rocprim26transform_input_iterator_tIbNSD_35transform_pair_of_input_iterators_tIbNS6_6detail15normal_iteratorINS6_10device_ptrIKxEEEESL_NS6_8equal_toIxEEEENSG_9not_fun_tINSD_8identityEEEEENSD_19counting_iterator_tIlEES8_S8_S8_S8_S8_S8_S8_S8_EEEEPS9_S9_NSD_9__find_if7functorIS9_EEEE10hipError_tPvRmT1_T2_T3_mT4_P12ihipStream_tbEUlT_E0_NS1_11comp_targetILNS1_3genE5ELNS1_11target_archE942ELNS1_3gpuE9ELNS1_3repE0EEENS1_30default_config_static_selectorELNS0_4arch9wavefront6targetE0EEEvS14_
; %bb.0:
	.section	.rodata,"a",@progbits
	.p2align	6, 0x0
	.amdhsa_kernel _ZN7rocprim17ROCPRIM_400000_NS6detail17trampoline_kernelINS0_14default_configENS1_22reduce_config_selectorIN6thrust23THRUST_200600_302600_NS5tupleIblNS6_9null_typeES8_S8_S8_S8_S8_S8_S8_EEEEZNS1_11reduce_implILb1ES3_NS6_12zip_iteratorINS7_INS6_11hip_rocprim26transform_input_iterator_tIbNSD_35transform_pair_of_input_iterators_tIbNS6_6detail15normal_iteratorINS6_10device_ptrIKxEEEESL_NS6_8equal_toIxEEEENSG_9not_fun_tINSD_8identityEEEEENSD_19counting_iterator_tIlEES8_S8_S8_S8_S8_S8_S8_S8_EEEEPS9_S9_NSD_9__find_if7functorIS9_EEEE10hipError_tPvRmT1_T2_T3_mT4_P12ihipStream_tbEUlT_E0_NS1_11comp_targetILNS1_3genE5ELNS1_11target_archE942ELNS1_3gpuE9ELNS1_3repE0EEENS1_30default_config_static_selectorELNS0_4arch9wavefront6targetE0EEEvS14_
		.amdhsa_group_segment_fixed_size 0
		.amdhsa_private_segment_fixed_size 0
		.amdhsa_kernarg_size 104
		.amdhsa_user_sgpr_count 6
		.amdhsa_user_sgpr_private_segment_buffer 1
		.amdhsa_user_sgpr_dispatch_ptr 0
		.amdhsa_user_sgpr_queue_ptr 0
		.amdhsa_user_sgpr_kernarg_segment_ptr 1
		.amdhsa_user_sgpr_dispatch_id 0
		.amdhsa_user_sgpr_flat_scratch_init 0
		.amdhsa_user_sgpr_private_segment_size 0
		.amdhsa_wavefront_size32 1
		.amdhsa_uses_dynamic_stack 0
		.amdhsa_system_sgpr_private_segment_wavefront_offset 0
		.amdhsa_system_sgpr_workgroup_id_x 1
		.amdhsa_system_sgpr_workgroup_id_y 0
		.amdhsa_system_sgpr_workgroup_id_z 0
		.amdhsa_system_sgpr_workgroup_info 0
		.amdhsa_system_vgpr_workitem_id 0
		.amdhsa_next_free_vgpr 1
		.amdhsa_next_free_sgpr 1
		.amdhsa_reserve_vcc 0
		.amdhsa_reserve_flat_scratch 0
		.amdhsa_float_round_mode_32 0
		.amdhsa_float_round_mode_16_64 0
		.amdhsa_float_denorm_mode_32 3
		.amdhsa_float_denorm_mode_16_64 3
		.amdhsa_dx10_clamp 1
		.amdhsa_ieee_mode 1
		.amdhsa_fp16_overflow 0
		.amdhsa_workgroup_processor_mode 1
		.amdhsa_memory_ordered 1
		.amdhsa_forward_progress 1
		.amdhsa_shared_vgpr_count 0
		.amdhsa_exception_fp_ieee_invalid_op 0
		.amdhsa_exception_fp_denorm_src 0
		.amdhsa_exception_fp_ieee_div_zero 0
		.amdhsa_exception_fp_ieee_overflow 0
		.amdhsa_exception_fp_ieee_underflow 0
		.amdhsa_exception_fp_ieee_inexact 0
		.amdhsa_exception_int_div_zero 0
	.end_amdhsa_kernel
	.section	.text._ZN7rocprim17ROCPRIM_400000_NS6detail17trampoline_kernelINS0_14default_configENS1_22reduce_config_selectorIN6thrust23THRUST_200600_302600_NS5tupleIblNS6_9null_typeES8_S8_S8_S8_S8_S8_S8_EEEEZNS1_11reduce_implILb1ES3_NS6_12zip_iteratorINS7_INS6_11hip_rocprim26transform_input_iterator_tIbNSD_35transform_pair_of_input_iterators_tIbNS6_6detail15normal_iteratorINS6_10device_ptrIKxEEEESL_NS6_8equal_toIxEEEENSG_9not_fun_tINSD_8identityEEEEENSD_19counting_iterator_tIlEES8_S8_S8_S8_S8_S8_S8_S8_EEEEPS9_S9_NSD_9__find_if7functorIS9_EEEE10hipError_tPvRmT1_T2_T3_mT4_P12ihipStream_tbEUlT_E0_NS1_11comp_targetILNS1_3genE5ELNS1_11target_archE942ELNS1_3gpuE9ELNS1_3repE0EEENS1_30default_config_static_selectorELNS0_4arch9wavefront6targetE0EEEvS14_,"axG",@progbits,_ZN7rocprim17ROCPRIM_400000_NS6detail17trampoline_kernelINS0_14default_configENS1_22reduce_config_selectorIN6thrust23THRUST_200600_302600_NS5tupleIblNS6_9null_typeES8_S8_S8_S8_S8_S8_S8_EEEEZNS1_11reduce_implILb1ES3_NS6_12zip_iteratorINS7_INS6_11hip_rocprim26transform_input_iterator_tIbNSD_35transform_pair_of_input_iterators_tIbNS6_6detail15normal_iteratorINS6_10device_ptrIKxEEEESL_NS6_8equal_toIxEEEENSG_9not_fun_tINSD_8identityEEEEENSD_19counting_iterator_tIlEES8_S8_S8_S8_S8_S8_S8_S8_EEEEPS9_S9_NSD_9__find_if7functorIS9_EEEE10hipError_tPvRmT1_T2_T3_mT4_P12ihipStream_tbEUlT_E0_NS1_11comp_targetILNS1_3genE5ELNS1_11target_archE942ELNS1_3gpuE9ELNS1_3repE0EEENS1_30default_config_static_selectorELNS0_4arch9wavefront6targetE0EEEvS14_,comdat
.Lfunc_end226:
	.size	_ZN7rocprim17ROCPRIM_400000_NS6detail17trampoline_kernelINS0_14default_configENS1_22reduce_config_selectorIN6thrust23THRUST_200600_302600_NS5tupleIblNS6_9null_typeES8_S8_S8_S8_S8_S8_S8_EEEEZNS1_11reduce_implILb1ES3_NS6_12zip_iteratorINS7_INS6_11hip_rocprim26transform_input_iterator_tIbNSD_35transform_pair_of_input_iterators_tIbNS6_6detail15normal_iteratorINS6_10device_ptrIKxEEEESL_NS6_8equal_toIxEEEENSG_9not_fun_tINSD_8identityEEEEENSD_19counting_iterator_tIlEES8_S8_S8_S8_S8_S8_S8_S8_EEEEPS9_S9_NSD_9__find_if7functorIS9_EEEE10hipError_tPvRmT1_T2_T3_mT4_P12ihipStream_tbEUlT_E0_NS1_11comp_targetILNS1_3genE5ELNS1_11target_archE942ELNS1_3gpuE9ELNS1_3repE0EEENS1_30default_config_static_selectorELNS0_4arch9wavefront6targetE0EEEvS14_, .Lfunc_end226-_ZN7rocprim17ROCPRIM_400000_NS6detail17trampoline_kernelINS0_14default_configENS1_22reduce_config_selectorIN6thrust23THRUST_200600_302600_NS5tupleIblNS6_9null_typeES8_S8_S8_S8_S8_S8_S8_EEEEZNS1_11reduce_implILb1ES3_NS6_12zip_iteratorINS7_INS6_11hip_rocprim26transform_input_iterator_tIbNSD_35transform_pair_of_input_iterators_tIbNS6_6detail15normal_iteratorINS6_10device_ptrIKxEEEESL_NS6_8equal_toIxEEEENSG_9not_fun_tINSD_8identityEEEEENSD_19counting_iterator_tIlEES8_S8_S8_S8_S8_S8_S8_S8_EEEEPS9_S9_NSD_9__find_if7functorIS9_EEEE10hipError_tPvRmT1_T2_T3_mT4_P12ihipStream_tbEUlT_E0_NS1_11comp_targetILNS1_3genE5ELNS1_11target_archE942ELNS1_3gpuE9ELNS1_3repE0EEENS1_30default_config_static_selectorELNS0_4arch9wavefront6targetE0EEEvS14_
                                        ; -- End function
	.set _ZN7rocprim17ROCPRIM_400000_NS6detail17trampoline_kernelINS0_14default_configENS1_22reduce_config_selectorIN6thrust23THRUST_200600_302600_NS5tupleIblNS6_9null_typeES8_S8_S8_S8_S8_S8_S8_EEEEZNS1_11reduce_implILb1ES3_NS6_12zip_iteratorINS7_INS6_11hip_rocprim26transform_input_iterator_tIbNSD_35transform_pair_of_input_iterators_tIbNS6_6detail15normal_iteratorINS6_10device_ptrIKxEEEESL_NS6_8equal_toIxEEEENSG_9not_fun_tINSD_8identityEEEEENSD_19counting_iterator_tIlEES8_S8_S8_S8_S8_S8_S8_S8_EEEEPS9_S9_NSD_9__find_if7functorIS9_EEEE10hipError_tPvRmT1_T2_T3_mT4_P12ihipStream_tbEUlT_E0_NS1_11comp_targetILNS1_3genE5ELNS1_11target_archE942ELNS1_3gpuE9ELNS1_3repE0EEENS1_30default_config_static_selectorELNS0_4arch9wavefront6targetE0EEEvS14_.num_vgpr, 0
	.set _ZN7rocprim17ROCPRIM_400000_NS6detail17trampoline_kernelINS0_14default_configENS1_22reduce_config_selectorIN6thrust23THRUST_200600_302600_NS5tupleIblNS6_9null_typeES8_S8_S8_S8_S8_S8_S8_EEEEZNS1_11reduce_implILb1ES3_NS6_12zip_iteratorINS7_INS6_11hip_rocprim26transform_input_iterator_tIbNSD_35transform_pair_of_input_iterators_tIbNS6_6detail15normal_iteratorINS6_10device_ptrIKxEEEESL_NS6_8equal_toIxEEEENSG_9not_fun_tINSD_8identityEEEEENSD_19counting_iterator_tIlEES8_S8_S8_S8_S8_S8_S8_S8_EEEEPS9_S9_NSD_9__find_if7functorIS9_EEEE10hipError_tPvRmT1_T2_T3_mT4_P12ihipStream_tbEUlT_E0_NS1_11comp_targetILNS1_3genE5ELNS1_11target_archE942ELNS1_3gpuE9ELNS1_3repE0EEENS1_30default_config_static_selectorELNS0_4arch9wavefront6targetE0EEEvS14_.num_agpr, 0
	.set _ZN7rocprim17ROCPRIM_400000_NS6detail17trampoline_kernelINS0_14default_configENS1_22reduce_config_selectorIN6thrust23THRUST_200600_302600_NS5tupleIblNS6_9null_typeES8_S8_S8_S8_S8_S8_S8_EEEEZNS1_11reduce_implILb1ES3_NS6_12zip_iteratorINS7_INS6_11hip_rocprim26transform_input_iterator_tIbNSD_35transform_pair_of_input_iterators_tIbNS6_6detail15normal_iteratorINS6_10device_ptrIKxEEEESL_NS6_8equal_toIxEEEENSG_9not_fun_tINSD_8identityEEEEENSD_19counting_iterator_tIlEES8_S8_S8_S8_S8_S8_S8_S8_EEEEPS9_S9_NSD_9__find_if7functorIS9_EEEE10hipError_tPvRmT1_T2_T3_mT4_P12ihipStream_tbEUlT_E0_NS1_11comp_targetILNS1_3genE5ELNS1_11target_archE942ELNS1_3gpuE9ELNS1_3repE0EEENS1_30default_config_static_selectorELNS0_4arch9wavefront6targetE0EEEvS14_.numbered_sgpr, 0
	.set _ZN7rocprim17ROCPRIM_400000_NS6detail17trampoline_kernelINS0_14default_configENS1_22reduce_config_selectorIN6thrust23THRUST_200600_302600_NS5tupleIblNS6_9null_typeES8_S8_S8_S8_S8_S8_S8_EEEEZNS1_11reduce_implILb1ES3_NS6_12zip_iteratorINS7_INS6_11hip_rocprim26transform_input_iterator_tIbNSD_35transform_pair_of_input_iterators_tIbNS6_6detail15normal_iteratorINS6_10device_ptrIKxEEEESL_NS6_8equal_toIxEEEENSG_9not_fun_tINSD_8identityEEEEENSD_19counting_iterator_tIlEES8_S8_S8_S8_S8_S8_S8_S8_EEEEPS9_S9_NSD_9__find_if7functorIS9_EEEE10hipError_tPvRmT1_T2_T3_mT4_P12ihipStream_tbEUlT_E0_NS1_11comp_targetILNS1_3genE5ELNS1_11target_archE942ELNS1_3gpuE9ELNS1_3repE0EEENS1_30default_config_static_selectorELNS0_4arch9wavefront6targetE0EEEvS14_.num_named_barrier, 0
	.set _ZN7rocprim17ROCPRIM_400000_NS6detail17trampoline_kernelINS0_14default_configENS1_22reduce_config_selectorIN6thrust23THRUST_200600_302600_NS5tupleIblNS6_9null_typeES8_S8_S8_S8_S8_S8_S8_EEEEZNS1_11reduce_implILb1ES3_NS6_12zip_iteratorINS7_INS6_11hip_rocprim26transform_input_iterator_tIbNSD_35transform_pair_of_input_iterators_tIbNS6_6detail15normal_iteratorINS6_10device_ptrIKxEEEESL_NS6_8equal_toIxEEEENSG_9not_fun_tINSD_8identityEEEEENSD_19counting_iterator_tIlEES8_S8_S8_S8_S8_S8_S8_S8_EEEEPS9_S9_NSD_9__find_if7functorIS9_EEEE10hipError_tPvRmT1_T2_T3_mT4_P12ihipStream_tbEUlT_E0_NS1_11comp_targetILNS1_3genE5ELNS1_11target_archE942ELNS1_3gpuE9ELNS1_3repE0EEENS1_30default_config_static_selectorELNS0_4arch9wavefront6targetE0EEEvS14_.private_seg_size, 0
	.set _ZN7rocprim17ROCPRIM_400000_NS6detail17trampoline_kernelINS0_14default_configENS1_22reduce_config_selectorIN6thrust23THRUST_200600_302600_NS5tupleIblNS6_9null_typeES8_S8_S8_S8_S8_S8_S8_EEEEZNS1_11reduce_implILb1ES3_NS6_12zip_iteratorINS7_INS6_11hip_rocprim26transform_input_iterator_tIbNSD_35transform_pair_of_input_iterators_tIbNS6_6detail15normal_iteratorINS6_10device_ptrIKxEEEESL_NS6_8equal_toIxEEEENSG_9not_fun_tINSD_8identityEEEEENSD_19counting_iterator_tIlEES8_S8_S8_S8_S8_S8_S8_S8_EEEEPS9_S9_NSD_9__find_if7functorIS9_EEEE10hipError_tPvRmT1_T2_T3_mT4_P12ihipStream_tbEUlT_E0_NS1_11comp_targetILNS1_3genE5ELNS1_11target_archE942ELNS1_3gpuE9ELNS1_3repE0EEENS1_30default_config_static_selectorELNS0_4arch9wavefront6targetE0EEEvS14_.uses_vcc, 0
	.set _ZN7rocprim17ROCPRIM_400000_NS6detail17trampoline_kernelINS0_14default_configENS1_22reduce_config_selectorIN6thrust23THRUST_200600_302600_NS5tupleIblNS6_9null_typeES8_S8_S8_S8_S8_S8_S8_EEEEZNS1_11reduce_implILb1ES3_NS6_12zip_iteratorINS7_INS6_11hip_rocprim26transform_input_iterator_tIbNSD_35transform_pair_of_input_iterators_tIbNS6_6detail15normal_iteratorINS6_10device_ptrIKxEEEESL_NS6_8equal_toIxEEEENSG_9not_fun_tINSD_8identityEEEEENSD_19counting_iterator_tIlEES8_S8_S8_S8_S8_S8_S8_S8_EEEEPS9_S9_NSD_9__find_if7functorIS9_EEEE10hipError_tPvRmT1_T2_T3_mT4_P12ihipStream_tbEUlT_E0_NS1_11comp_targetILNS1_3genE5ELNS1_11target_archE942ELNS1_3gpuE9ELNS1_3repE0EEENS1_30default_config_static_selectorELNS0_4arch9wavefront6targetE0EEEvS14_.uses_flat_scratch, 0
	.set _ZN7rocprim17ROCPRIM_400000_NS6detail17trampoline_kernelINS0_14default_configENS1_22reduce_config_selectorIN6thrust23THRUST_200600_302600_NS5tupleIblNS6_9null_typeES8_S8_S8_S8_S8_S8_S8_EEEEZNS1_11reduce_implILb1ES3_NS6_12zip_iteratorINS7_INS6_11hip_rocprim26transform_input_iterator_tIbNSD_35transform_pair_of_input_iterators_tIbNS6_6detail15normal_iteratorINS6_10device_ptrIKxEEEESL_NS6_8equal_toIxEEEENSG_9not_fun_tINSD_8identityEEEEENSD_19counting_iterator_tIlEES8_S8_S8_S8_S8_S8_S8_S8_EEEEPS9_S9_NSD_9__find_if7functorIS9_EEEE10hipError_tPvRmT1_T2_T3_mT4_P12ihipStream_tbEUlT_E0_NS1_11comp_targetILNS1_3genE5ELNS1_11target_archE942ELNS1_3gpuE9ELNS1_3repE0EEENS1_30default_config_static_selectorELNS0_4arch9wavefront6targetE0EEEvS14_.has_dyn_sized_stack, 0
	.set _ZN7rocprim17ROCPRIM_400000_NS6detail17trampoline_kernelINS0_14default_configENS1_22reduce_config_selectorIN6thrust23THRUST_200600_302600_NS5tupleIblNS6_9null_typeES8_S8_S8_S8_S8_S8_S8_EEEEZNS1_11reduce_implILb1ES3_NS6_12zip_iteratorINS7_INS6_11hip_rocprim26transform_input_iterator_tIbNSD_35transform_pair_of_input_iterators_tIbNS6_6detail15normal_iteratorINS6_10device_ptrIKxEEEESL_NS6_8equal_toIxEEEENSG_9not_fun_tINSD_8identityEEEEENSD_19counting_iterator_tIlEES8_S8_S8_S8_S8_S8_S8_S8_EEEEPS9_S9_NSD_9__find_if7functorIS9_EEEE10hipError_tPvRmT1_T2_T3_mT4_P12ihipStream_tbEUlT_E0_NS1_11comp_targetILNS1_3genE5ELNS1_11target_archE942ELNS1_3gpuE9ELNS1_3repE0EEENS1_30default_config_static_selectorELNS0_4arch9wavefront6targetE0EEEvS14_.has_recursion, 0
	.set _ZN7rocprim17ROCPRIM_400000_NS6detail17trampoline_kernelINS0_14default_configENS1_22reduce_config_selectorIN6thrust23THRUST_200600_302600_NS5tupleIblNS6_9null_typeES8_S8_S8_S8_S8_S8_S8_EEEEZNS1_11reduce_implILb1ES3_NS6_12zip_iteratorINS7_INS6_11hip_rocprim26transform_input_iterator_tIbNSD_35transform_pair_of_input_iterators_tIbNS6_6detail15normal_iteratorINS6_10device_ptrIKxEEEESL_NS6_8equal_toIxEEEENSG_9not_fun_tINSD_8identityEEEEENSD_19counting_iterator_tIlEES8_S8_S8_S8_S8_S8_S8_S8_EEEEPS9_S9_NSD_9__find_if7functorIS9_EEEE10hipError_tPvRmT1_T2_T3_mT4_P12ihipStream_tbEUlT_E0_NS1_11comp_targetILNS1_3genE5ELNS1_11target_archE942ELNS1_3gpuE9ELNS1_3repE0EEENS1_30default_config_static_selectorELNS0_4arch9wavefront6targetE0EEEvS14_.has_indirect_call, 0
	.section	.AMDGPU.csdata,"",@progbits
; Kernel info:
; codeLenInByte = 0
; TotalNumSgprs: 0
; NumVgprs: 0
; ScratchSize: 0
; MemoryBound: 0
; FloatMode: 240
; IeeeMode: 1
; LDSByteSize: 0 bytes/workgroup (compile time only)
; SGPRBlocks: 0
; VGPRBlocks: 0
; NumSGPRsForWavesPerEU: 1
; NumVGPRsForWavesPerEU: 1
; Occupancy: 16
; WaveLimiterHint : 0
; COMPUTE_PGM_RSRC2:SCRATCH_EN: 0
; COMPUTE_PGM_RSRC2:USER_SGPR: 6
; COMPUTE_PGM_RSRC2:TRAP_HANDLER: 0
; COMPUTE_PGM_RSRC2:TGID_X_EN: 1
; COMPUTE_PGM_RSRC2:TGID_Y_EN: 0
; COMPUTE_PGM_RSRC2:TGID_Z_EN: 0
; COMPUTE_PGM_RSRC2:TIDIG_COMP_CNT: 0
	.section	.text._ZN7rocprim17ROCPRIM_400000_NS6detail17trampoline_kernelINS0_14default_configENS1_22reduce_config_selectorIN6thrust23THRUST_200600_302600_NS5tupleIblNS6_9null_typeES8_S8_S8_S8_S8_S8_S8_EEEEZNS1_11reduce_implILb1ES3_NS6_12zip_iteratorINS7_INS6_11hip_rocprim26transform_input_iterator_tIbNSD_35transform_pair_of_input_iterators_tIbNS6_6detail15normal_iteratorINS6_10device_ptrIKxEEEESL_NS6_8equal_toIxEEEENSG_9not_fun_tINSD_8identityEEEEENSD_19counting_iterator_tIlEES8_S8_S8_S8_S8_S8_S8_S8_EEEEPS9_S9_NSD_9__find_if7functorIS9_EEEE10hipError_tPvRmT1_T2_T3_mT4_P12ihipStream_tbEUlT_E0_NS1_11comp_targetILNS1_3genE4ELNS1_11target_archE910ELNS1_3gpuE8ELNS1_3repE0EEENS1_30default_config_static_selectorELNS0_4arch9wavefront6targetE0EEEvS14_,"axG",@progbits,_ZN7rocprim17ROCPRIM_400000_NS6detail17trampoline_kernelINS0_14default_configENS1_22reduce_config_selectorIN6thrust23THRUST_200600_302600_NS5tupleIblNS6_9null_typeES8_S8_S8_S8_S8_S8_S8_EEEEZNS1_11reduce_implILb1ES3_NS6_12zip_iteratorINS7_INS6_11hip_rocprim26transform_input_iterator_tIbNSD_35transform_pair_of_input_iterators_tIbNS6_6detail15normal_iteratorINS6_10device_ptrIKxEEEESL_NS6_8equal_toIxEEEENSG_9not_fun_tINSD_8identityEEEEENSD_19counting_iterator_tIlEES8_S8_S8_S8_S8_S8_S8_S8_EEEEPS9_S9_NSD_9__find_if7functorIS9_EEEE10hipError_tPvRmT1_T2_T3_mT4_P12ihipStream_tbEUlT_E0_NS1_11comp_targetILNS1_3genE4ELNS1_11target_archE910ELNS1_3gpuE8ELNS1_3repE0EEENS1_30default_config_static_selectorELNS0_4arch9wavefront6targetE0EEEvS14_,comdat
	.protected	_ZN7rocprim17ROCPRIM_400000_NS6detail17trampoline_kernelINS0_14default_configENS1_22reduce_config_selectorIN6thrust23THRUST_200600_302600_NS5tupleIblNS6_9null_typeES8_S8_S8_S8_S8_S8_S8_EEEEZNS1_11reduce_implILb1ES3_NS6_12zip_iteratorINS7_INS6_11hip_rocprim26transform_input_iterator_tIbNSD_35transform_pair_of_input_iterators_tIbNS6_6detail15normal_iteratorINS6_10device_ptrIKxEEEESL_NS6_8equal_toIxEEEENSG_9not_fun_tINSD_8identityEEEEENSD_19counting_iterator_tIlEES8_S8_S8_S8_S8_S8_S8_S8_EEEEPS9_S9_NSD_9__find_if7functorIS9_EEEE10hipError_tPvRmT1_T2_T3_mT4_P12ihipStream_tbEUlT_E0_NS1_11comp_targetILNS1_3genE4ELNS1_11target_archE910ELNS1_3gpuE8ELNS1_3repE0EEENS1_30default_config_static_selectorELNS0_4arch9wavefront6targetE0EEEvS14_ ; -- Begin function _ZN7rocprim17ROCPRIM_400000_NS6detail17trampoline_kernelINS0_14default_configENS1_22reduce_config_selectorIN6thrust23THRUST_200600_302600_NS5tupleIblNS6_9null_typeES8_S8_S8_S8_S8_S8_S8_EEEEZNS1_11reduce_implILb1ES3_NS6_12zip_iteratorINS7_INS6_11hip_rocprim26transform_input_iterator_tIbNSD_35transform_pair_of_input_iterators_tIbNS6_6detail15normal_iteratorINS6_10device_ptrIKxEEEESL_NS6_8equal_toIxEEEENSG_9not_fun_tINSD_8identityEEEEENSD_19counting_iterator_tIlEES8_S8_S8_S8_S8_S8_S8_S8_EEEEPS9_S9_NSD_9__find_if7functorIS9_EEEE10hipError_tPvRmT1_T2_T3_mT4_P12ihipStream_tbEUlT_E0_NS1_11comp_targetILNS1_3genE4ELNS1_11target_archE910ELNS1_3gpuE8ELNS1_3repE0EEENS1_30default_config_static_selectorELNS0_4arch9wavefront6targetE0EEEvS14_
	.globl	_ZN7rocprim17ROCPRIM_400000_NS6detail17trampoline_kernelINS0_14default_configENS1_22reduce_config_selectorIN6thrust23THRUST_200600_302600_NS5tupleIblNS6_9null_typeES8_S8_S8_S8_S8_S8_S8_EEEEZNS1_11reduce_implILb1ES3_NS6_12zip_iteratorINS7_INS6_11hip_rocprim26transform_input_iterator_tIbNSD_35transform_pair_of_input_iterators_tIbNS6_6detail15normal_iteratorINS6_10device_ptrIKxEEEESL_NS6_8equal_toIxEEEENSG_9not_fun_tINSD_8identityEEEEENSD_19counting_iterator_tIlEES8_S8_S8_S8_S8_S8_S8_S8_EEEEPS9_S9_NSD_9__find_if7functorIS9_EEEE10hipError_tPvRmT1_T2_T3_mT4_P12ihipStream_tbEUlT_E0_NS1_11comp_targetILNS1_3genE4ELNS1_11target_archE910ELNS1_3gpuE8ELNS1_3repE0EEENS1_30default_config_static_selectorELNS0_4arch9wavefront6targetE0EEEvS14_
	.p2align	8
	.type	_ZN7rocprim17ROCPRIM_400000_NS6detail17trampoline_kernelINS0_14default_configENS1_22reduce_config_selectorIN6thrust23THRUST_200600_302600_NS5tupleIblNS6_9null_typeES8_S8_S8_S8_S8_S8_S8_EEEEZNS1_11reduce_implILb1ES3_NS6_12zip_iteratorINS7_INS6_11hip_rocprim26transform_input_iterator_tIbNSD_35transform_pair_of_input_iterators_tIbNS6_6detail15normal_iteratorINS6_10device_ptrIKxEEEESL_NS6_8equal_toIxEEEENSG_9not_fun_tINSD_8identityEEEEENSD_19counting_iterator_tIlEES8_S8_S8_S8_S8_S8_S8_S8_EEEEPS9_S9_NSD_9__find_if7functorIS9_EEEE10hipError_tPvRmT1_T2_T3_mT4_P12ihipStream_tbEUlT_E0_NS1_11comp_targetILNS1_3genE4ELNS1_11target_archE910ELNS1_3gpuE8ELNS1_3repE0EEENS1_30default_config_static_selectorELNS0_4arch9wavefront6targetE0EEEvS14_,@function
_ZN7rocprim17ROCPRIM_400000_NS6detail17trampoline_kernelINS0_14default_configENS1_22reduce_config_selectorIN6thrust23THRUST_200600_302600_NS5tupleIblNS6_9null_typeES8_S8_S8_S8_S8_S8_S8_EEEEZNS1_11reduce_implILb1ES3_NS6_12zip_iteratorINS7_INS6_11hip_rocprim26transform_input_iterator_tIbNSD_35transform_pair_of_input_iterators_tIbNS6_6detail15normal_iteratorINS6_10device_ptrIKxEEEESL_NS6_8equal_toIxEEEENSG_9not_fun_tINSD_8identityEEEEENSD_19counting_iterator_tIlEES8_S8_S8_S8_S8_S8_S8_S8_EEEEPS9_S9_NSD_9__find_if7functorIS9_EEEE10hipError_tPvRmT1_T2_T3_mT4_P12ihipStream_tbEUlT_E0_NS1_11comp_targetILNS1_3genE4ELNS1_11target_archE910ELNS1_3gpuE8ELNS1_3repE0EEENS1_30default_config_static_selectorELNS0_4arch9wavefront6targetE0EEEvS14_: ; @_ZN7rocprim17ROCPRIM_400000_NS6detail17trampoline_kernelINS0_14default_configENS1_22reduce_config_selectorIN6thrust23THRUST_200600_302600_NS5tupleIblNS6_9null_typeES8_S8_S8_S8_S8_S8_S8_EEEEZNS1_11reduce_implILb1ES3_NS6_12zip_iteratorINS7_INS6_11hip_rocprim26transform_input_iterator_tIbNSD_35transform_pair_of_input_iterators_tIbNS6_6detail15normal_iteratorINS6_10device_ptrIKxEEEESL_NS6_8equal_toIxEEEENSG_9not_fun_tINSD_8identityEEEEENSD_19counting_iterator_tIlEES8_S8_S8_S8_S8_S8_S8_S8_EEEEPS9_S9_NSD_9__find_if7functorIS9_EEEE10hipError_tPvRmT1_T2_T3_mT4_P12ihipStream_tbEUlT_E0_NS1_11comp_targetILNS1_3genE4ELNS1_11target_archE910ELNS1_3gpuE8ELNS1_3repE0EEENS1_30default_config_static_selectorELNS0_4arch9wavefront6targetE0EEEvS14_
; %bb.0:
	.section	.rodata,"a",@progbits
	.p2align	6, 0x0
	.amdhsa_kernel _ZN7rocprim17ROCPRIM_400000_NS6detail17trampoline_kernelINS0_14default_configENS1_22reduce_config_selectorIN6thrust23THRUST_200600_302600_NS5tupleIblNS6_9null_typeES8_S8_S8_S8_S8_S8_S8_EEEEZNS1_11reduce_implILb1ES3_NS6_12zip_iteratorINS7_INS6_11hip_rocprim26transform_input_iterator_tIbNSD_35transform_pair_of_input_iterators_tIbNS6_6detail15normal_iteratorINS6_10device_ptrIKxEEEESL_NS6_8equal_toIxEEEENSG_9not_fun_tINSD_8identityEEEEENSD_19counting_iterator_tIlEES8_S8_S8_S8_S8_S8_S8_S8_EEEEPS9_S9_NSD_9__find_if7functorIS9_EEEE10hipError_tPvRmT1_T2_T3_mT4_P12ihipStream_tbEUlT_E0_NS1_11comp_targetILNS1_3genE4ELNS1_11target_archE910ELNS1_3gpuE8ELNS1_3repE0EEENS1_30default_config_static_selectorELNS0_4arch9wavefront6targetE0EEEvS14_
		.amdhsa_group_segment_fixed_size 0
		.amdhsa_private_segment_fixed_size 0
		.amdhsa_kernarg_size 104
		.amdhsa_user_sgpr_count 6
		.amdhsa_user_sgpr_private_segment_buffer 1
		.amdhsa_user_sgpr_dispatch_ptr 0
		.amdhsa_user_sgpr_queue_ptr 0
		.amdhsa_user_sgpr_kernarg_segment_ptr 1
		.amdhsa_user_sgpr_dispatch_id 0
		.amdhsa_user_sgpr_flat_scratch_init 0
		.amdhsa_user_sgpr_private_segment_size 0
		.amdhsa_wavefront_size32 1
		.amdhsa_uses_dynamic_stack 0
		.amdhsa_system_sgpr_private_segment_wavefront_offset 0
		.amdhsa_system_sgpr_workgroup_id_x 1
		.amdhsa_system_sgpr_workgroup_id_y 0
		.amdhsa_system_sgpr_workgroup_id_z 0
		.amdhsa_system_sgpr_workgroup_info 0
		.amdhsa_system_vgpr_workitem_id 0
		.amdhsa_next_free_vgpr 1
		.amdhsa_next_free_sgpr 1
		.amdhsa_reserve_vcc 0
		.amdhsa_reserve_flat_scratch 0
		.amdhsa_float_round_mode_32 0
		.amdhsa_float_round_mode_16_64 0
		.amdhsa_float_denorm_mode_32 3
		.amdhsa_float_denorm_mode_16_64 3
		.amdhsa_dx10_clamp 1
		.amdhsa_ieee_mode 1
		.amdhsa_fp16_overflow 0
		.amdhsa_workgroup_processor_mode 1
		.amdhsa_memory_ordered 1
		.amdhsa_forward_progress 1
		.amdhsa_shared_vgpr_count 0
		.amdhsa_exception_fp_ieee_invalid_op 0
		.amdhsa_exception_fp_denorm_src 0
		.amdhsa_exception_fp_ieee_div_zero 0
		.amdhsa_exception_fp_ieee_overflow 0
		.amdhsa_exception_fp_ieee_underflow 0
		.amdhsa_exception_fp_ieee_inexact 0
		.amdhsa_exception_int_div_zero 0
	.end_amdhsa_kernel
	.section	.text._ZN7rocprim17ROCPRIM_400000_NS6detail17trampoline_kernelINS0_14default_configENS1_22reduce_config_selectorIN6thrust23THRUST_200600_302600_NS5tupleIblNS6_9null_typeES8_S8_S8_S8_S8_S8_S8_EEEEZNS1_11reduce_implILb1ES3_NS6_12zip_iteratorINS7_INS6_11hip_rocprim26transform_input_iterator_tIbNSD_35transform_pair_of_input_iterators_tIbNS6_6detail15normal_iteratorINS6_10device_ptrIKxEEEESL_NS6_8equal_toIxEEEENSG_9not_fun_tINSD_8identityEEEEENSD_19counting_iterator_tIlEES8_S8_S8_S8_S8_S8_S8_S8_EEEEPS9_S9_NSD_9__find_if7functorIS9_EEEE10hipError_tPvRmT1_T2_T3_mT4_P12ihipStream_tbEUlT_E0_NS1_11comp_targetILNS1_3genE4ELNS1_11target_archE910ELNS1_3gpuE8ELNS1_3repE0EEENS1_30default_config_static_selectorELNS0_4arch9wavefront6targetE0EEEvS14_,"axG",@progbits,_ZN7rocprim17ROCPRIM_400000_NS6detail17trampoline_kernelINS0_14default_configENS1_22reduce_config_selectorIN6thrust23THRUST_200600_302600_NS5tupleIblNS6_9null_typeES8_S8_S8_S8_S8_S8_S8_EEEEZNS1_11reduce_implILb1ES3_NS6_12zip_iteratorINS7_INS6_11hip_rocprim26transform_input_iterator_tIbNSD_35transform_pair_of_input_iterators_tIbNS6_6detail15normal_iteratorINS6_10device_ptrIKxEEEESL_NS6_8equal_toIxEEEENSG_9not_fun_tINSD_8identityEEEEENSD_19counting_iterator_tIlEES8_S8_S8_S8_S8_S8_S8_S8_EEEEPS9_S9_NSD_9__find_if7functorIS9_EEEE10hipError_tPvRmT1_T2_T3_mT4_P12ihipStream_tbEUlT_E0_NS1_11comp_targetILNS1_3genE4ELNS1_11target_archE910ELNS1_3gpuE8ELNS1_3repE0EEENS1_30default_config_static_selectorELNS0_4arch9wavefront6targetE0EEEvS14_,comdat
.Lfunc_end227:
	.size	_ZN7rocprim17ROCPRIM_400000_NS6detail17trampoline_kernelINS0_14default_configENS1_22reduce_config_selectorIN6thrust23THRUST_200600_302600_NS5tupleIblNS6_9null_typeES8_S8_S8_S8_S8_S8_S8_EEEEZNS1_11reduce_implILb1ES3_NS6_12zip_iteratorINS7_INS6_11hip_rocprim26transform_input_iterator_tIbNSD_35transform_pair_of_input_iterators_tIbNS6_6detail15normal_iteratorINS6_10device_ptrIKxEEEESL_NS6_8equal_toIxEEEENSG_9not_fun_tINSD_8identityEEEEENSD_19counting_iterator_tIlEES8_S8_S8_S8_S8_S8_S8_S8_EEEEPS9_S9_NSD_9__find_if7functorIS9_EEEE10hipError_tPvRmT1_T2_T3_mT4_P12ihipStream_tbEUlT_E0_NS1_11comp_targetILNS1_3genE4ELNS1_11target_archE910ELNS1_3gpuE8ELNS1_3repE0EEENS1_30default_config_static_selectorELNS0_4arch9wavefront6targetE0EEEvS14_, .Lfunc_end227-_ZN7rocprim17ROCPRIM_400000_NS6detail17trampoline_kernelINS0_14default_configENS1_22reduce_config_selectorIN6thrust23THRUST_200600_302600_NS5tupleIblNS6_9null_typeES8_S8_S8_S8_S8_S8_S8_EEEEZNS1_11reduce_implILb1ES3_NS6_12zip_iteratorINS7_INS6_11hip_rocprim26transform_input_iterator_tIbNSD_35transform_pair_of_input_iterators_tIbNS6_6detail15normal_iteratorINS6_10device_ptrIKxEEEESL_NS6_8equal_toIxEEEENSG_9not_fun_tINSD_8identityEEEEENSD_19counting_iterator_tIlEES8_S8_S8_S8_S8_S8_S8_S8_EEEEPS9_S9_NSD_9__find_if7functorIS9_EEEE10hipError_tPvRmT1_T2_T3_mT4_P12ihipStream_tbEUlT_E0_NS1_11comp_targetILNS1_3genE4ELNS1_11target_archE910ELNS1_3gpuE8ELNS1_3repE0EEENS1_30default_config_static_selectorELNS0_4arch9wavefront6targetE0EEEvS14_
                                        ; -- End function
	.set _ZN7rocprim17ROCPRIM_400000_NS6detail17trampoline_kernelINS0_14default_configENS1_22reduce_config_selectorIN6thrust23THRUST_200600_302600_NS5tupleIblNS6_9null_typeES8_S8_S8_S8_S8_S8_S8_EEEEZNS1_11reduce_implILb1ES3_NS6_12zip_iteratorINS7_INS6_11hip_rocprim26transform_input_iterator_tIbNSD_35transform_pair_of_input_iterators_tIbNS6_6detail15normal_iteratorINS6_10device_ptrIKxEEEESL_NS6_8equal_toIxEEEENSG_9not_fun_tINSD_8identityEEEEENSD_19counting_iterator_tIlEES8_S8_S8_S8_S8_S8_S8_S8_EEEEPS9_S9_NSD_9__find_if7functorIS9_EEEE10hipError_tPvRmT1_T2_T3_mT4_P12ihipStream_tbEUlT_E0_NS1_11comp_targetILNS1_3genE4ELNS1_11target_archE910ELNS1_3gpuE8ELNS1_3repE0EEENS1_30default_config_static_selectorELNS0_4arch9wavefront6targetE0EEEvS14_.num_vgpr, 0
	.set _ZN7rocprim17ROCPRIM_400000_NS6detail17trampoline_kernelINS0_14default_configENS1_22reduce_config_selectorIN6thrust23THRUST_200600_302600_NS5tupleIblNS6_9null_typeES8_S8_S8_S8_S8_S8_S8_EEEEZNS1_11reduce_implILb1ES3_NS6_12zip_iteratorINS7_INS6_11hip_rocprim26transform_input_iterator_tIbNSD_35transform_pair_of_input_iterators_tIbNS6_6detail15normal_iteratorINS6_10device_ptrIKxEEEESL_NS6_8equal_toIxEEEENSG_9not_fun_tINSD_8identityEEEEENSD_19counting_iterator_tIlEES8_S8_S8_S8_S8_S8_S8_S8_EEEEPS9_S9_NSD_9__find_if7functorIS9_EEEE10hipError_tPvRmT1_T2_T3_mT4_P12ihipStream_tbEUlT_E0_NS1_11comp_targetILNS1_3genE4ELNS1_11target_archE910ELNS1_3gpuE8ELNS1_3repE0EEENS1_30default_config_static_selectorELNS0_4arch9wavefront6targetE0EEEvS14_.num_agpr, 0
	.set _ZN7rocprim17ROCPRIM_400000_NS6detail17trampoline_kernelINS0_14default_configENS1_22reduce_config_selectorIN6thrust23THRUST_200600_302600_NS5tupleIblNS6_9null_typeES8_S8_S8_S8_S8_S8_S8_EEEEZNS1_11reduce_implILb1ES3_NS6_12zip_iteratorINS7_INS6_11hip_rocprim26transform_input_iterator_tIbNSD_35transform_pair_of_input_iterators_tIbNS6_6detail15normal_iteratorINS6_10device_ptrIKxEEEESL_NS6_8equal_toIxEEEENSG_9not_fun_tINSD_8identityEEEEENSD_19counting_iterator_tIlEES8_S8_S8_S8_S8_S8_S8_S8_EEEEPS9_S9_NSD_9__find_if7functorIS9_EEEE10hipError_tPvRmT1_T2_T3_mT4_P12ihipStream_tbEUlT_E0_NS1_11comp_targetILNS1_3genE4ELNS1_11target_archE910ELNS1_3gpuE8ELNS1_3repE0EEENS1_30default_config_static_selectorELNS0_4arch9wavefront6targetE0EEEvS14_.numbered_sgpr, 0
	.set _ZN7rocprim17ROCPRIM_400000_NS6detail17trampoline_kernelINS0_14default_configENS1_22reduce_config_selectorIN6thrust23THRUST_200600_302600_NS5tupleIblNS6_9null_typeES8_S8_S8_S8_S8_S8_S8_EEEEZNS1_11reduce_implILb1ES3_NS6_12zip_iteratorINS7_INS6_11hip_rocprim26transform_input_iterator_tIbNSD_35transform_pair_of_input_iterators_tIbNS6_6detail15normal_iteratorINS6_10device_ptrIKxEEEESL_NS6_8equal_toIxEEEENSG_9not_fun_tINSD_8identityEEEEENSD_19counting_iterator_tIlEES8_S8_S8_S8_S8_S8_S8_S8_EEEEPS9_S9_NSD_9__find_if7functorIS9_EEEE10hipError_tPvRmT1_T2_T3_mT4_P12ihipStream_tbEUlT_E0_NS1_11comp_targetILNS1_3genE4ELNS1_11target_archE910ELNS1_3gpuE8ELNS1_3repE0EEENS1_30default_config_static_selectorELNS0_4arch9wavefront6targetE0EEEvS14_.num_named_barrier, 0
	.set _ZN7rocprim17ROCPRIM_400000_NS6detail17trampoline_kernelINS0_14default_configENS1_22reduce_config_selectorIN6thrust23THRUST_200600_302600_NS5tupleIblNS6_9null_typeES8_S8_S8_S8_S8_S8_S8_EEEEZNS1_11reduce_implILb1ES3_NS6_12zip_iteratorINS7_INS6_11hip_rocprim26transform_input_iterator_tIbNSD_35transform_pair_of_input_iterators_tIbNS6_6detail15normal_iteratorINS6_10device_ptrIKxEEEESL_NS6_8equal_toIxEEEENSG_9not_fun_tINSD_8identityEEEEENSD_19counting_iterator_tIlEES8_S8_S8_S8_S8_S8_S8_S8_EEEEPS9_S9_NSD_9__find_if7functorIS9_EEEE10hipError_tPvRmT1_T2_T3_mT4_P12ihipStream_tbEUlT_E0_NS1_11comp_targetILNS1_3genE4ELNS1_11target_archE910ELNS1_3gpuE8ELNS1_3repE0EEENS1_30default_config_static_selectorELNS0_4arch9wavefront6targetE0EEEvS14_.private_seg_size, 0
	.set _ZN7rocprim17ROCPRIM_400000_NS6detail17trampoline_kernelINS0_14default_configENS1_22reduce_config_selectorIN6thrust23THRUST_200600_302600_NS5tupleIblNS6_9null_typeES8_S8_S8_S8_S8_S8_S8_EEEEZNS1_11reduce_implILb1ES3_NS6_12zip_iteratorINS7_INS6_11hip_rocprim26transform_input_iterator_tIbNSD_35transform_pair_of_input_iterators_tIbNS6_6detail15normal_iteratorINS6_10device_ptrIKxEEEESL_NS6_8equal_toIxEEEENSG_9not_fun_tINSD_8identityEEEEENSD_19counting_iterator_tIlEES8_S8_S8_S8_S8_S8_S8_S8_EEEEPS9_S9_NSD_9__find_if7functorIS9_EEEE10hipError_tPvRmT1_T2_T3_mT4_P12ihipStream_tbEUlT_E0_NS1_11comp_targetILNS1_3genE4ELNS1_11target_archE910ELNS1_3gpuE8ELNS1_3repE0EEENS1_30default_config_static_selectorELNS0_4arch9wavefront6targetE0EEEvS14_.uses_vcc, 0
	.set _ZN7rocprim17ROCPRIM_400000_NS6detail17trampoline_kernelINS0_14default_configENS1_22reduce_config_selectorIN6thrust23THRUST_200600_302600_NS5tupleIblNS6_9null_typeES8_S8_S8_S8_S8_S8_S8_EEEEZNS1_11reduce_implILb1ES3_NS6_12zip_iteratorINS7_INS6_11hip_rocprim26transform_input_iterator_tIbNSD_35transform_pair_of_input_iterators_tIbNS6_6detail15normal_iteratorINS6_10device_ptrIKxEEEESL_NS6_8equal_toIxEEEENSG_9not_fun_tINSD_8identityEEEEENSD_19counting_iterator_tIlEES8_S8_S8_S8_S8_S8_S8_S8_EEEEPS9_S9_NSD_9__find_if7functorIS9_EEEE10hipError_tPvRmT1_T2_T3_mT4_P12ihipStream_tbEUlT_E0_NS1_11comp_targetILNS1_3genE4ELNS1_11target_archE910ELNS1_3gpuE8ELNS1_3repE0EEENS1_30default_config_static_selectorELNS0_4arch9wavefront6targetE0EEEvS14_.uses_flat_scratch, 0
	.set _ZN7rocprim17ROCPRIM_400000_NS6detail17trampoline_kernelINS0_14default_configENS1_22reduce_config_selectorIN6thrust23THRUST_200600_302600_NS5tupleIblNS6_9null_typeES8_S8_S8_S8_S8_S8_S8_EEEEZNS1_11reduce_implILb1ES3_NS6_12zip_iteratorINS7_INS6_11hip_rocprim26transform_input_iterator_tIbNSD_35transform_pair_of_input_iterators_tIbNS6_6detail15normal_iteratorINS6_10device_ptrIKxEEEESL_NS6_8equal_toIxEEEENSG_9not_fun_tINSD_8identityEEEEENSD_19counting_iterator_tIlEES8_S8_S8_S8_S8_S8_S8_S8_EEEEPS9_S9_NSD_9__find_if7functorIS9_EEEE10hipError_tPvRmT1_T2_T3_mT4_P12ihipStream_tbEUlT_E0_NS1_11comp_targetILNS1_3genE4ELNS1_11target_archE910ELNS1_3gpuE8ELNS1_3repE0EEENS1_30default_config_static_selectorELNS0_4arch9wavefront6targetE0EEEvS14_.has_dyn_sized_stack, 0
	.set _ZN7rocprim17ROCPRIM_400000_NS6detail17trampoline_kernelINS0_14default_configENS1_22reduce_config_selectorIN6thrust23THRUST_200600_302600_NS5tupleIblNS6_9null_typeES8_S8_S8_S8_S8_S8_S8_EEEEZNS1_11reduce_implILb1ES3_NS6_12zip_iteratorINS7_INS6_11hip_rocprim26transform_input_iterator_tIbNSD_35transform_pair_of_input_iterators_tIbNS6_6detail15normal_iteratorINS6_10device_ptrIKxEEEESL_NS6_8equal_toIxEEEENSG_9not_fun_tINSD_8identityEEEEENSD_19counting_iterator_tIlEES8_S8_S8_S8_S8_S8_S8_S8_EEEEPS9_S9_NSD_9__find_if7functorIS9_EEEE10hipError_tPvRmT1_T2_T3_mT4_P12ihipStream_tbEUlT_E0_NS1_11comp_targetILNS1_3genE4ELNS1_11target_archE910ELNS1_3gpuE8ELNS1_3repE0EEENS1_30default_config_static_selectorELNS0_4arch9wavefront6targetE0EEEvS14_.has_recursion, 0
	.set _ZN7rocprim17ROCPRIM_400000_NS6detail17trampoline_kernelINS0_14default_configENS1_22reduce_config_selectorIN6thrust23THRUST_200600_302600_NS5tupleIblNS6_9null_typeES8_S8_S8_S8_S8_S8_S8_EEEEZNS1_11reduce_implILb1ES3_NS6_12zip_iteratorINS7_INS6_11hip_rocprim26transform_input_iterator_tIbNSD_35transform_pair_of_input_iterators_tIbNS6_6detail15normal_iteratorINS6_10device_ptrIKxEEEESL_NS6_8equal_toIxEEEENSG_9not_fun_tINSD_8identityEEEEENSD_19counting_iterator_tIlEES8_S8_S8_S8_S8_S8_S8_S8_EEEEPS9_S9_NSD_9__find_if7functorIS9_EEEE10hipError_tPvRmT1_T2_T3_mT4_P12ihipStream_tbEUlT_E0_NS1_11comp_targetILNS1_3genE4ELNS1_11target_archE910ELNS1_3gpuE8ELNS1_3repE0EEENS1_30default_config_static_selectorELNS0_4arch9wavefront6targetE0EEEvS14_.has_indirect_call, 0
	.section	.AMDGPU.csdata,"",@progbits
; Kernel info:
; codeLenInByte = 0
; TotalNumSgprs: 0
; NumVgprs: 0
; ScratchSize: 0
; MemoryBound: 0
; FloatMode: 240
; IeeeMode: 1
; LDSByteSize: 0 bytes/workgroup (compile time only)
; SGPRBlocks: 0
; VGPRBlocks: 0
; NumSGPRsForWavesPerEU: 1
; NumVGPRsForWavesPerEU: 1
; Occupancy: 16
; WaveLimiterHint : 0
; COMPUTE_PGM_RSRC2:SCRATCH_EN: 0
; COMPUTE_PGM_RSRC2:USER_SGPR: 6
; COMPUTE_PGM_RSRC2:TRAP_HANDLER: 0
; COMPUTE_PGM_RSRC2:TGID_X_EN: 1
; COMPUTE_PGM_RSRC2:TGID_Y_EN: 0
; COMPUTE_PGM_RSRC2:TGID_Z_EN: 0
; COMPUTE_PGM_RSRC2:TIDIG_COMP_CNT: 0
	.section	.text._ZN7rocprim17ROCPRIM_400000_NS6detail17trampoline_kernelINS0_14default_configENS1_22reduce_config_selectorIN6thrust23THRUST_200600_302600_NS5tupleIblNS6_9null_typeES8_S8_S8_S8_S8_S8_S8_EEEEZNS1_11reduce_implILb1ES3_NS6_12zip_iteratorINS7_INS6_11hip_rocprim26transform_input_iterator_tIbNSD_35transform_pair_of_input_iterators_tIbNS6_6detail15normal_iteratorINS6_10device_ptrIKxEEEESL_NS6_8equal_toIxEEEENSG_9not_fun_tINSD_8identityEEEEENSD_19counting_iterator_tIlEES8_S8_S8_S8_S8_S8_S8_S8_EEEEPS9_S9_NSD_9__find_if7functorIS9_EEEE10hipError_tPvRmT1_T2_T3_mT4_P12ihipStream_tbEUlT_E0_NS1_11comp_targetILNS1_3genE3ELNS1_11target_archE908ELNS1_3gpuE7ELNS1_3repE0EEENS1_30default_config_static_selectorELNS0_4arch9wavefront6targetE0EEEvS14_,"axG",@progbits,_ZN7rocprim17ROCPRIM_400000_NS6detail17trampoline_kernelINS0_14default_configENS1_22reduce_config_selectorIN6thrust23THRUST_200600_302600_NS5tupleIblNS6_9null_typeES8_S8_S8_S8_S8_S8_S8_EEEEZNS1_11reduce_implILb1ES3_NS6_12zip_iteratorINS7_INS6_11hip_rocprim26transform_input_iterator_tIbNSD_35transform_pair_of_input_iterators_tIbNS6_6detail15normal_iteratorINS6_10device_ptrIKxEEEESL_NS6_8equal_toIxEEEENSG_9not_fun_tINSD_8identityEEEEENSD_19counting_iterator_tIlEES8_S8_S8_S8_S8_S8_S8_S8_EEEEPS9_S9_NSD_9__find_if7functorIS9_EEEE10hipError_tPvRmT1_T2_T3_mT4_P12ihipStream_tbEUlT_E0_NS1_11comp_targetILNS1_3genE3ELNS1_11target_archE908ELNS1_3gpuE7ELNS1_3repE0EEENS1_30default_config_static_selectorELNS0_4arch9wavefront6targetE0EEEvS14_,comdat
	.protected	_ZN7rocprim17ROCPRIM_400000_NS6detail17trampoline_kernelINS0_14default_configENS1_22reduce_config_selectorIN6thrust23THRUST_200600_302600_NS5tupleIblNS6_9null_typeES8_S8_S8_S8_S8_S8_S8_EEEEZNS1_11reduce_implILb1ES3_NS6_12zip_iteratorINS7_INS6_11hip_rocprim26transform_input_iterator_tIbNSD_35transform_pair_of_input_iterators_tIbNS6_6detail15normal_iteratorINS6_10device_ptrIKxEEEESL_NS6_8equal_toIxEEEENSG_9not_fun_tINSD_8identityEEEEENSD_19counting_iterator_tIlEES8_S8_S8_S8_S8_S8_S8_S8_EEEEPS9_S9_NSD_9__find_if7functorIS9_EEEE10hipError_tPvRmT1_T2_T3_mT4_P12ihipStream_tbEUlT_E0_NS1_11comp_targetILNS1_3genE3ELNS1_11target_archE908ELNS1_3gpuE7ELNS1_3repE0EEENS1_30default_config_static_selectorELNS0_4arch9wavefront6targetE0EEEvS14_ ; -- Begin function _ZN7rocprim17ROCPRIM_400000_NS6detail17trampoline_kernelINS0_14default_configENS1_22reduce_config_selectorIN6thrust23THRUST_200600_302600_NS5tupleIblNS6_9null_typeES8_S8_S8_S8_S8_S8_S8_EEEEZNS1_11reduce_implILb1ES3_NS6_12zip_iteratorINS7_INS6_11hip_rocprim26transform_input_iterator_tIbNSD_35transform_pair_of_input_iterators_tIbNS6_6detail15normal_iteratorINS6_10device_ptrIKxEEEESL_NS6_8equal_toIxEEEENSG_9not_fun_tINSD_8identityEEEEENSD_19counting_iterator_tIlEES8_S8_S8_S8_S8_S8_S8_S8_EEEEPS9_S9_NSD_9__find_if7functorIS9_EEEE10hipError_tPvRmT1_T2_T3_mT4_P12ihipStream_tbEUlT_E0_NS1_11comp_targetILNS1_3genE3ELNS1_11target_archE908ELNS1_3gpuE7ELNS1_3repE0EEENS1_30default_config_static_selectorELNS0_4arch9wavefront6targetE0EEEvS14_
	.globl	_ZN7rocprim17ROCPRIM_400000_NS6detail17trampoline_kernelINS0_14default_configENS1_22reduce_config_selectorIN6thrust23THRUST_200600_302600_NS5tupleIblNS6_9null_typeES8_S8_S8_S8_S8_S8_S8_EEEEZNS1_11reduce_implILb1ES3_NS6_12zip_iteratorINS7_INS6_11hip_rocprim26transform_input_iterator_tIbNSD_35transform_pair_of_input_iterators_tIbNS6_6detail15normal_iteratorINS6_10device_ptrIKxEEEESL_NS6_8equal_toIxEEEENSG_9not_fun_tINSD_8identityEEEEENSD_19counting_iterator_tIlEES8_S8_S8_S8_S8_S8_S8_S8_EEEEPS9_S9_NSD_9__find_if7functorIS9_EEEE10hipError_tPvRmT1_T2_T3_mT4_P12ihipStream_tbEUlT_E0_NS1_11comp_targetILNS1_3genE3ELNS1_11target_archE908ELNS1_3gpuE7ELNS1_3repE0EEENS1_30default_config_static_selectorELNS0_4arch9wavefront6targetE0EEEvS14_
	.p2align	8
	.type	_ZN7rocprim17ROCPRIM_400000_NS6detail17trampoline_kernelINS0_14default_configENS1_22reduce_config_selectorIN6thrust23THRUST_200600_302600_NS5tupleIblNS6_9null_typeES8_S8_S8_S8_S8_S8_S8_EEEEZNS1_11reduce_implILb1ES3_NS6_12zip_iteratorINS7_INS6_11hip_rocprim26transform_input_iterator_tIbNSD_35transform_pair_of_input_iterators_tIbNS6_6detail15normal_iteratorINS6_10device_ptrIKxEEEESL_NS6_8equal_toIxEEEENSG_9not_fun_tINSD_8identityEEEEENSD_19counting_iterator_tIlEES8_S8_S8_S8_S8_S8_S8_S8_EEEEPS9_S9_NSD_9__find_if7functorIS9_EEEE10hipError_tPvRmT1_T2_T3_mT4_P12ihipStream_tbEUlT_E0_NS1_11comp_targetILNS1_3genE3ELNS1_11target_archE908ELNS1_3gpuE7ELNS1_3repE0EEENS1_30default_config_static_selectorELNS0_4arch9wavefront6targetE0EEEvS14_,@function
_ZN7rocprim17ROCPRIM_400000_NS6detail17trampoline_kernelINS0_14default_configENS1_22reduce_config_selectorIN6thrust23THRUST_200600_302600_NS5tupleIblNS6_9null_typeES8_S8_S8_S8_S8_S8_S8_EEEEZNS1_11reduce_implILb1ES3_NS6_12zip_iteratorINS7_INS6_11hip_rocprim26transform_input_iterator_tIbNSD_35transform_pair_of_input_iterators_tIbNS6_6detail15normal_iteratorINS6_10device_ptrIKxEEEESL_NS6_8equal_toIxEEEENSG_9not_fun_tINSD_8identityEEEEENSD_19counting_iterator_tIlEES8_S8_S8_S8_S8_S8_S8_S8_EEEEPS9_S9_NSD_9__find_if7functorIS9_EEEE10hipError_tPvRmT1_T2_T3_mT4_P12ihipStream_tbEUlT_E0_NS1_11comp_targetILNS1_3genE3ELNS1_11target_archE908ELNS1_3gpuE7ELNS1_3repE0EEENS1_30default_config_static_selectorELNS0_4arch9wavefront6targetE0EEEvS14_: ; @_ZN7rocprim17ROCPRIM_400000_NS6detail17trampoline_kernelINS0_14default_configENS1_22reduce_config_selectorIN6thrust23THRUST_200600_302600_NS5tupleIblNS6_9null_typeES8_S8_S8_S8_S8_S8_S8_EEEEZNS1_11reduce_implILb1ES3_NS6_12zip_iteratorINS7_INS6_11hip_rocprim26transform_input_iterator_tIbNSD_35transform_pair_of_input_iterators_tIbNS6_6detail15normal_iteratorINS6_10device_ptrIKxEEEESL_NS6_8equal_toIxEEEENSG_9not_fun_tINSD_8identityEEEEENSD_19counting_iterator_tIlEES8_S8_S8_S8_S8_S8_S8_S8_EEEEPS9_S9_NSD_9__find_if7functorIS9_EEEE10hipError_tPvRmT1_T2_T3_mT4_P12ihipStream_tbEUlT_E0_NS1_11comp_targetILNS1_3genE3ELNS1_11target_archE908ELNS1_3gpuE7ELNS1_3repE0EEENS1_30default_config_static_selectorELNS0_4arch9wavefront6targetE0EEEvS14_
; %bb.0:
	.section	.rodata,"a",@progbits
	.p2align	6, 0x0
	.amdhsa_kernel _ZN7rocprim17ROCPRIM_400000_NS6detail17trampoline_kernelINS0_14default_configENS1_22reduce_config_selectorIN6thrust23THRUST_200600_302600_NS5tupleIblNS6_9null_typeES8_S8_S8_S8_S8_S8_S8_EEEEZNS1_11reduce_implILb1ES3_NS6_12zip_iteratorINS7_INS6_11hip_rocprim26transform_input_iterator_tIbNSD_35transform_pair_of_input_iterators_tIbNS6_6detail15normal_iteratorINS6_10device_ptrIKxEEEESL_NS6_8equal_toIxEEEENSG_9not_fun_tINSD_8identityEEEEENSD_19counting_iterator_tIlEES8_S8_S8_S8_S8_S8_S8_S8_EEEEPS9_S9_NSD_9__find_if7functorIS9_EEEE10hipError_tPvRmT1_T2_T3_mT4_P12ihipStream_tbEUlT_E0_NS1_11comp_targetILNS1_3genE3ELNS1_11target_archE908ELNS1_3gpuE7ELNS1_3repE0EEENS1_30default_config_static_selectorELNS0_4arch9wavefront6targetE0EEEvS14_
		.amdhsa_group_segment_fixed_size 0
		.amdhsa_private_segment_fixed_size 0
		.amdhsa_kernarg_size 104
		.amdhsa_user_sgpr_count 6
		.amdhsa_user_sgpr_private_segment_buffer 1
		.amdhsa_user_sgpr_dispatch_ptr 0
		.amdhsa_user_sgpr_queue_ptr 0
		.amdhsa_user_sgpr_kernarg_segment_ptr 1
		.amdhsa_user_sgpr_dispatch_id 0
		.amdhsa_user_sgpr_flat_scratch_init 0
		.amdhsa_user_sgpr_private_segment_size 0
		.amdhsa_wavefront_size32 1
		.amdhsa_uses_dynamic_stack 0
		.amdhsa_system_sgpr_private_segment_wavefront_offset 0
		.amdhsa_system_sgpr_workgroup_id_x 1
		.amdhsa_system_sgpr_workgroup_id_y 0
		.amdhsa_system_sgpr_workgroup_id_z 0
		.amdhsa_system_sgpr_workgroup_info 0
		.amdhsa_system_vgpr_workitem_id 0
		.amdhsa_next_free_vgpr 1
		.amdhsa_next_free_sgpr 1
		.amdhsa_reserve_vcc 0
		.amdhsa_reserve_flat_scratch 0
		.amdhsa_float_round_mode_32 0
		.amdhsa_float_round_mode_16_64 0
		.amdhsa_float_denorm_mode_32 3
		.amdhsa_float_denorm_mode_16_64 3
		.amdhsa_dx10_clamp 1
		.amdhsa_ieee_mode 1
		.amdhsa_fp16_overflow 0
		.amdhsa_workgroup_processor_mode 1
		.amdhsa_memory_ordered 1
		.amdhsa_forward_progress 1
		.amdhsa_shared_vgpr_count 0
		.amdhsa_exception_fp_ieee_invalid_op 0
		.amdhsa_exception_fp_denorm_src 0
		.amdhsa_exception_fp_ieee_div_zero 0
		.amdhsa_exception_fp_ieee_overflow 0
		.amdhsa_exception_fp_ieee_underflow 0
		.amdhsa_exception_fp_ieee_inexact 0
		.amdhsa_exception_int_div_zero 0
	.end_amdhsa_kernel
	.section	.text._ZN7rocprim17ROCPRIM_400000_NS6detail17trampoline_kernelINS0_14default_configENS1_22reduce_config_selectorIN6thrust23THRUST_200600_302600_NS5tupleIblNS6_9null_typeES8_S8_S8_S8_S8_S8_S8_EEEEZNS1_11reduce_implILb1ES3_NS6_12zip_iteratorINS7_INS6_11hip_rocprim26transform_input_iterator_tIbNSD_35transform_pair_of_input_iterators_tIbNS6_6detail15normal_iteratorINS6_10device_ptrIKxEEEESL_NS6_8equal_toIxEEEENSG_9not_fun_tINSD_8identityEEEEENSD_19counting_iterator_tIlEES8_S8_S8_S8_S8_S8_S8_S8_EEEEPS9_S9_NSD_9__find_if7functorIS9_EEEE10hipError_tPvRmT1_T2_T3_mT4_P12ihipStream_tbEUlT_E0_NS1_11comp_targetILNS1_3genE3ELNS1_11target_archE908ELNS1_3gpuE7ELNS1_3repE0EEENS1_30default_config_static_selectorELNS0_4arch9wavefront6targetE0EEEvS14_,"axG",@progbits,_ZN7rocprim17ROCPRIM_400000_NS6detail17trampoline_kernelINS0_14default_configENS1_22reduce_config_selectorIN6thrust23THRUST_200600_302600_NS5tupleIblNS6_9null_typeES8_S8_S8_S8_S8_S8_S8_EEEEZNS1_11reduce_implILb1ES3_NS6_12zip_iteratorINS7_INS6_11hip_rocprim26transform_input_iterator_tIbNSD_35transform_pair_of_input_iterators_tIbNS6_6detail15normal_iteratorINS6_10device_ptrIKxEEEESL_NS6_8equal_toIxEEEENSG_9not_fun_tINSD_8identityEEEEENSD_19counting_iterator_tIlEES8_S8_S8_S8_S8_S8_S8_S8_EEEEPS9_S9_NSD_9__find_if7functorIS9_EEEE10hipError_tPvRmT1_T2_T3_mT4_P12ihipStream_tbEUlT_E0_NS1_11comp_targetILNS1_3genE3ELNS1_11target_archE908ELNS1_3gpuE7ELNS1_3repE0EEENS1_30default_config_static_selectorELNS0_4arch9wavefront6targetE0EEEvS14_,comdat
.Lfunc_end228:
	.size	_ZN7rocprim17ROCPRIM_400000_NS6detail17trampoline_kernelINS0_14default_configENS1_22reduce_config_selectorIN6thrust23THRUST_200600_302600_NS5tupleIblNS6_9null_typeES8_S8_S8_S8_S8_S8_S8_EEEEZNS1_11reduce_implILb1ES3_NS6_12zip_iteratorINS7_INS6_11hip_rocprim26transform_input_iterator_tIbNSD_35transform_pair_of_input_iterators_tIbNS6_6detail15normal_iteratorINS6_10device_ptrIKxEEEESL_NS6_8equal_toIxEEEENSG_9not_fun_tINSD_8identityEEEEENSD_19counting_iterator_tIlEES8_S8_S8_S8_S8_S8_S8_S8_EEEEPS9_S9_NSD_9__find_if7functorIS9_EEEE10hipError_tPvRmT1_T2_T3_mT4_P12ihipStream_tbEUlT_E0_NS1_11comp_targetILNS1_3genE3ELNS1_11target_archE908ELNS1_3gpuE7ELNS1_3repE0EEENS1_30default_config_static_selectorELNS0_4arch9wavefront6targetE0EEEvS14_, .Lfunc_end228-_ZN7rocprim17ROCPRIM_400000_NS6detail17trampoline_kernelINS0_14default_configENS1_22reduce_config_selectorIN6thrust23THRUST_200600_302600_NS5tupleIblNS6_9null_typeES8_S8_S8_S8_S8_S8_S8_EEEEZNS1_11reduce_implILb1ES3_NS6_12zip_iteratorINS7_INS6_11hip_rocprim26transform_input_iterator_tIbNSD_35transform_pair_of_input_iterators_tIbNS6_6detail15normal_iteratorINS6_10device_ptrIKxEEEESL_NS6_8equal_toIxEEEENSG_9not_fun_tINSD_8identityEEEEENSD_19counting_iterator_tIlEES8_S8_S8_S8_S8_S8_S8_S8_EEEEPS9_S9_NSD_9__find_if7functorIS9_EEEE10hipError_tPvRmT1_T2_T3_mT4_P12ihipStream_tbEUlT_E0_NS1_11comp_targetILNS1_3genE3ELNS1_11target_archE908ELNS1_3gpuE7ELNS1_3repE0EEENS1_30default_config_static_selectorELNS0_4arch9wavefront6targetE0EEEvS14_
                                        ; -- End function
	.set _ZN7rocprim17ROCPRIM_400000_NS6detail17trampoline_kernelINS0_14default_configENS1_22reduce_config_selectorIN6thrust23THRUST_200600_302600_NS5tupleIblNS6_9null_typeES8_S8_S8_S8_S8_S8_S8_EEEEZNS1_11reduce_implILb1ES3_NS6_12zip_iteratorINS7_INS6_11hip_rocprim26transform_input_iterator_tIbNSD_35transform_pair_of_input_iterators_tIbNS6_6detail15normal_iteratorINS6_10device_ptrIKxEEEESL_NS6_8equal_toIxEEEENSG_9not_fun_tINSD_8identityEEEEENSD_19counting_iterator_tIlEES8_S8_S8_S8_S8_S8_S8_S8_EEEEPS9_S9_NSD_9__find_if7functorIS9_EEEE10hipError_tPvRmT1_T2_T3_mT4_P12ihipStream_tbEUlT_E0_NS1_11comp_targetILNS1_3genE3ELNS1_11target_archE908ELNS1_3gpuE7ELNS1_3repE0EEENS1_30default_config_static_selectorELNS0_4arch9wavefront6targetE0EEEvS14_.num_vgpr, 0
	.set _ZN7rocprim17ROCPRIM_400000_NS6detail17trampoline_kernelINS0_14default_configENS1_22reduce_config_selectorIN6thrust23THRUST_200600_302600_NS5tupleIblNS6_9null_typeES8_S8_S8_S8_S8_S8_S8_EEEEZNS1_11reduce_implILb1ES3_NS6_12zip_iteratorINS7_INS6_11hip_rocprim26transform_input_iterator_tIbNSD_35transform_pair_of_input_iterators_tIbNS6_6detail15normal_iteratorINS6_10device_ptrIKxEEEESL_NS6_8equal_toIxEEEENSG_9not_fun_tINSD_8identityEEEEENSD_19counting_iterator_tIlEES8_S8_S8_S8_S8_S8_S8_S8_EEEEPS9_S9_NSD_9__find_if7functorIS9_EEEE10hipError_tPvRmT1_T2_T3_mT4_P12ihipStream_tbEUlT_E0_NS1_11comp_targetILNS1_3genE3ELNS1_11target_archE908ELNS1_3gpuE7ELNS1_3repE0EEENS1_30default_config_static_selectorELNS0_4arch9wavefront6targetE0EEEvS14_.num_agpr, 0
	.set _ZN7rocprim17ROCPRIM_400000_NS6detail17trampoline_kernelINS0_14default_configENS1_22reduce_config_selectorIN6thrust23THRUST_200600_302600_NS5tupleIblNS6_9null_typeES8_S8_S8_S8_S8_S8_S8_EEEEZNS1_11reduce_implILb1ES3_NS6_12zip_iteratorINS7_INS6_11hip_rocprim26transform_input_iterator_tIbNSD_35transform_pair_of_input_iterators_tIbNS6_6detail15normal_iteratorINS6_10device_ptrIKxEEEESL_NS6_8equal_toIxEEEENSG_9not_fun_tINSD_8identityEEEEENSD_19counting_iterator_tIlEES8_S8_S8_S8_S8_S8_S8_S8_EEEEPS9_S9_NSD_9__find_if7functorIS9_EEEE10hipError_tPvRmT1_T2_T3_mT4_P12ihipStream_tbEUlT_E0_NS1_11comp_targetILNS1_3genE3ELNS1_11target_archE908ELNS1_3gpuE7ELNS1_3repE0EEENS1_30default_config_static_selectorELNS0_4arch9wavefront6targetE0EEEvS14_.numbered_sgpr, 0
	.set _ZN7rocprim17ROCPRIM_400000_NS6detail17trampoline_kernelINS0_14default_configENS1_22reduce_config_selectorIN6thrust23THRUST_200600_302600_NS5tupleIblNS6_9null_typeES8_S8_S8_S8_S8_S8_S8_EEEEZNS1_11reduce_implILb1ES3_NS6_12zip_iteratorINS7_INS6_11hip_rocprim26transform_input_iterator_tIbNSD_35transform_pair_of_input_iterators_tIbNS6_6detail15normal_iteratorINS6_10device_ptrIKxEEEESL_NS6_8equal_toIxEEEENSG_9not_fun_tINSD_8identityEEEEENSD_19counting_iterator_tIlEES8_S8_S8_S8_S8_S8_S8_S8_EEEEPS9_S9_NSD_9__find_if7functorIS9_EEEE10hipError_tPvRmT1_T2_T3_mT4_P12ihipStream_tbEUlT_E0_NS1_11comp_targetILNS1_3genE3ELNS1_11target_archE908ELNS1_3gpuE7ELNS1_3repE0EEENS1_30default_config_static_selectorELNS0_4arch9wavefront6targetE0EEEvS14_.num_named_barrier, 0
	.set _ZN7rocprim17ROCPRIM_400000_NS6detail17trampoline_kernelINS0_14default_configENS1_22reduce_config_selectorIN6thrust23THRUST_200600_302600_NS5tupleIblNS6_9null_typeES8_S8_S8_S8_S8_S8_S8_EEEEZNS1_11reduce_implILb1ES3_NS6_12zip_iteratorINS7_INS6_11hip_rocprim26transform_input_iterator_tIbNSD_35transform_pair_of_input_iterators_tIbNS6_6detail15normal_iteratorINS6_10device_ptrIKxEEEESL_NS6_8equal_toIxEEEENSG_9not_fun_tINSD_8identityEEEEENSD_19counting_iterator_tIlEES8_S8_S8_S8_S8_S8_S8_S8_EEEEPS9_S9_NSD_9__find_if7functorIS9_EEEE10hipError_tPvRmT1_T2_T3_mT4_P12ihipStream_tbEUlT_E0_NS1_11comp_targetILNS1_3genE3ELNS1_11target_archE908ELNS1_3gpuE7ELNS1_3repE0EEENS1_30default_config_static_selectorELNS0_4arch9wavefront6targetE0EEEvS14_.private_seg_size, 0
	.set _ZN7rocprim17ROCPRIM_400000_NS6detail17trampoline_kernelINS0_14default_configENS1_22reduce_config_selectorIN6thrust23THRUST_200600_302600_NS5tupleIblNS6_9null_typeES8_S8_S8_S8_S8_S8_S8_EEEEZNS1_11reduce_implILb1ES3_NS6_12zip_iteratorINS7_INS6_11hip_rocprim26transform_input_iterator_tIbNSD_35transform_pair_of_input_iterators_tIbNS6_6detail15normal_iteratorINS6_10device_ptrIKxEEEESL_NS6_8equal_toIxEEEENSG_9not_fun_tINSD_8identityEEEEENSD_19counting_iterator_tIlEES8_S8_S8_S8_S8_S8_S8_S8_EEEEPS9_S9_NSD_9__find_if7functorIS9_EEEE10hipError_tPvRmT1_T2_T3_mT4_P12ihipStream_tbEUlT_E0_NS1_11comp_targetILNS1_3genE3ELNS1_11target_archE908ELNS1_3gpuE7ELNS1_3repE0EEENS1_30default_config_static_selectorELNS0_4arch9wavefront6targetE0EEEvS14_.uses_vcc, 0
	.set _ZN7rocprim17ROCPRIM_400000_NS6detail17trampoline_kernelINS0_14default_configENS1_22reduce_config_selectorIN6thrust23THRUST_200600_302600_NS5tupleIblNS6_9null_typeES8_S8_S8_S8_S8_S8_S8_EEEEZNS1_11reduce_implILb1ES3_NS6_12zip_iteratorINS7_INS6_11hip_rocprim26transform_input_iterator_tIbNSD_35transform_pair_of_input_iterators_tIbNS6_6detail15normal_iteratorINS6_10device_ptrIKxEEEESL_NS6_8equal_toIxEEEENSG_9not_fun_tINSD_8identityEEEEENSD_19counting_iterator_tIlEES8_S8_S8_S8_S8_S8_S8_S8_EEEEPS9_S9_NSD_9__find_if7functorIS9_EEEE10hipError_tPvRmT1_T2_T3_mT4_P12ihipStream_tbEUlT_E0_NS1_11comp_targetILNS1_3genE3ELNS1_11target_archE908ELNS1_3gpuE7ELNS1_3repE0EEENS1_30default_config_static_selectorELNS0_4arch9wavefront6targetE0EEEvS14_.uses_flat_scratch, 0
	.set _ZN7rocprim17ROCPRIM_400000_NS6detail17trampoline_kernelINS0_14default_configENS1_22reduce_config_selectorIN6thrust23THRUST_200600_302600_NS5tupleIblNS6_9null_typeES8_S8_S8_S8_S8_S8_S8_EEEEZNS1_11reduce_implILb1ES3_NS6_12zip_iteratorINS7_INS6_11hip_rocprim26transform_input_iterator_tIbNSD_35transform_pair_of_input_iterators_tIbNS6_6detail15normal_iteratorINS6_10device_ptrIKxEEEESL_NS6_8equal_toIxEEEENSG_9not_fun_tINSD_8identityEEEEENSD_19counting_iterator_tIlEES8_S8_S8_S8_S8_S8_S8_S8_EEEEPS9_S9_NSD_9__find_if7functorIS9_EEEE10hipError_tPvRmT1_T2_T3_mT4_P12ihipStream_tbEUlT_E0_NS1_11comp_targetILNS1_3genE3ELNS1_11target_archE908ELNS1_3gpuE7ELNS1_3repE0EEENS1_30default_config_static_selectorELNS0_4arch9wavefront6targetE0EEEvS14_.has_dyn_sized_stack, 0
	.set _ZN7rocprim17ROCPRIM_400000_NS6detail17trampoline_kernelINS0_14default_configENS1_22reduce_config_selectorIN6thrust23THRUST_200600_302600_NS5tupleIblNS6_9null_typeES8_S8_S8_S8_S8_S8_S8_EEEEZNS1_11reduce_implILb1ES3_NS6_12zip_iteratorINS7_INS6_11hip_rocprim26transform_input_iterator_tIbNSD_35transform_pair_of_input_iterators_tIbNS6_6detail15normal_iteratorINS6_10device_ptrIKxEEEESL_NS6_8equal_toIxEEEENSG_9not_fun_tINSD_8identityEEEEENSD_19counting_iterator_tIlEES8_S8_S8_S8_S8_S8_S8_S8_EEEEPS9_S9_NSD_9__find_if7functorIS9_EEEE10hipError_tPvRmT1_T2_T3_mT4_P12ihipStream_tbEUlT_E0_NS1_11comp_targetILNS1_3genE3ELNS1_11target_archE908ELNS1_3gpuE7ELNS1_3repE0EEENS1_30default_config_static_selectorELNS0_4arch9wavefront6targetE0EEEvS14_.has_recursion, 0
	.set _ZN7rocprim17ROCPRIM_400000_NS6detail17trampoline_kernelINS0_14default_configENS1_22reduce_config_selectorIN6thrust23THRUST_200600_302600_NS5tupleIblNS6_9null_typeES8_S8_S8_S8_S8_S8_S8_EEEEZNS1_11reduce_implILb1ES3_NS6_12zip_iteratorINS7_INS6_11hip_rocprim26transform_input_iterator_tIbNSD_35transform_pair_of_input_iterators_tIbNS6_6detail15normal_iteratorINS6_10device_ptrIKxEEEESL_NS6_8equal_toIxEEEENSG_9not_fun_tINSD_8identityEEEEENSD_19counting_iterator_tIlEES8_S8_S8_S8_S8_S8_S8_S8_EEEEPS9_S9_NSD_9__find_if7functorIS9_EEEE10hipError_tPvRmT1_T2_T3_mT4_P12ihipStream_tbEUlT_E0_NS1_11comp_targetILNS1_3genE3ELNS1_11target_archE908ELNS1_3gpuE7ELNS1_3repE0EEENS1_30default_config_static_selectorELNS0_4arch9wavefront6targetE0EEEvS14_.has_indirect_call, 0
	.section	.AMDGPU.csdata,"",@progbits
; Kernel info:
; codeLenInByte = 0
; TotalNumSgprs: 0
; NumVgprs: 0
; ScratchSize: 0
; MemoryBound: 0
; FloatMode: 240
; IeeeMode: 1
; LDSByteSize: 0 bytes/workgroup (compile time only)
; SGPRBlocks: 0
; VGPRBlocks: 0
; NumSGPRsForWavesPerEU: 1
; NumVGPRsForWavesPerEU: 1
; Occupancy: 16
; WaveLimiterHint : 0
; COMPUTE_PGM_RSRC2:SCRATCH_EN: 0
; COMPUTE_PGM_RSRC2:USER_SGPR: 6
; COMPUTE_PGM_RSRC2:TRAP_HANDLER: 0
; COMPUTE_PGM_RSRC2:TGID_X_EN: 1
; COMPUTE_PGM_RSRC2:TGID_Y_EN: 0
; COMPUTE_PGM_RSRC2:TGID_Z_EN: 0
; COMPUTE_PGM_RSRC2:TIDIG_COMP_CNT: 0
	.section	.text._ZN7rocprim17ROCPRIM_400000_NS6detail17trampoline_kernelINS0_14default_configENS1_22reduce_config_selectorIN6thrust23THRUST_200600_302600_NS5tupleIblNS6_9null_typeES8_S8_S8_S8_S8_S8_S8_EEEEZNS1_11reduce_implILb1ES3_NS6_12zip_iteratorINS7_INS6_11hip_rocprim26transform_input_iterator_tIbNSD_35transform_pair_of_input_iterators_tIbNS6_6detail15normal_iteratorINS6_10device_ptrIKxEEEESL_NS6_8equal_toIxEEEENSG_9not_fun_tINSD_8identityEEEEENSD_19counting_iterator_tIlEES8_S8_S8_S8_S8_S8_S8_S8_EEEEPS9_S9_NSD_9__find_if7functorIS9_EEEE10hipError_tPvRmT1_T2_T3_mT4_P12ihipStream_tbEUlT_E0_NS1_11comp_targetILNS1_3genE2ELNS1_11target_archE906ELNS1_3gpuE6ELNS1_3repE0EEENS1_30default_config_static_selectorELNS0_4arch9wavefront6targetE0EEEvS14_,"axG",@progbits,_ZN7rocprim17ROCPRIM_400000_NS6detail17trampoline_kernelINS0_14default_configENS1_22reduce_config_selectorIN6thrust23THRUST_200600_302600_NS5tupleIblNS6_9null_typeES8_S8_S8_S8_S8_S8_S8_EEEEZNS1_11reduce_implILb1ES3_NS6_12zip_iteratorINS7_INS6_11hip_rocprim26transform_input_iterator_tIbNSD_35transform_pair_of_input_iterators_tIbNS6_6detail15normal_iteratorINS6_10device_ptrIKxEEEESL_NS6_8equal_toIxEEEENSG_9not_fun_tINSD_8identityEEEEENSD_19counting_iterator_tIlEES8_S8_S8_S8_S8_S8_S8_S8_EEEEPS9_S9_NSD_9__find_if7functorIS9_EEEE10hipError_tPvRmT1_T2_T3_mT4_P12ihipStream_tbEUlT_E0_NS1_11comp_targetILNS1_3genE2ELNS1_11target_archE906ELNS1_3gpuE6ELNS1_3repE0EEENS1_30default_config_static_selectorELNS0_4arch9wavefront6targetE0EEEvS14_,comdat
	.protected	_ZN7rocprim17ROCPRIM_400000_NS6detail17trampoline_kernelINS0_14default_configENS1_22reduce_config_selectorIN6thrust23THRUST_200600_302600_NS5tupleIblNS6_9null_typeES8_S8_S8_S8_S8_S8_S8_EEEEZNS1_11reduce_implILb1ES3_NS6_12zip_iteratorINS7_INS6_11hip_rocprim26transform_input_iterator_tIbNSD_35transform_pair_of_input_iterators_tIbNS6_6detail15normal_iteratorINS6_10device_ptrIKxEEEESL_NS6_8equal_toIxEEEENSG_9not_fun_tINSD_8identityEEEEENSD_19counting_iterator_tIlEES8_S8_S8_S8_S8_S8_S8_S8_EEEEPS9_S9_NSD_9__find_if7functorIS9_EEEE10hipError_tPvRmT1_T2_T3_mT4_P12ihipStream_tbEUlT_E0_NS1_11comp_targetILNS1_3genE2ELNS1_11target_archE906ELNS1_3gpuE6ELNS1_3repE0EEENS1_30default_config_static_selectorELNS0_4arch9wavefront6targetE0EEEvS14_ ; -- Begin function _ZN7rocprim17ROCPRIM_400000_NS6detail17trampoline_kernelINS0_14default_configENS1_22reduce_config_selectorIN6thrust23THRUST_200600_302600_NS5tupleIblNS6_9null_typeES8_S8_S8_S8_S8_S8_S8_EEEEZNS1_11reduce_implILb1ES3_NS6_12zip_iteratorINS7_INS6_11hip_rocprim26transform_input_iterator_tIbNSD_35transform_pair_of_input_iterators_tIbNS6_6detail15normal_iteratorINS6_10device_ptrIKxEEEESL_NS6_8equal_toIxEEEENSG_9not_fun_tINSD_8identityEEEEENSD_19counting_iterator_tIlEES8_S8_S8_S8_S8_S8_S8_S8_EEEEPS9_S9_NSD_9__find_if7functorIS9_EEEE10hipError_tPvRmT1_T2_T3_mT4_P12ihipStream_tbEUlT_E0_NS1_11comp_targetILNS1_3genE2ELNS1_11target_archE906ELNS1_3gpuE6ELNS1_3repE0EEENS1_30default_config_static_selectorELNS0_4arch9wavefront6targetE0EEEvS14_
	.globl	_ZN7rocprim17ROCPRIM_400000_NS6detail17trampoline_kernelINS0_14default_configENS1_22reduce_config_selectorIN6thrust23THRUST_200600_302600_NS5tupleIblNS6_9null_typeES8_S8_S8_S8_S8_S8_S8_EEEEZNS1_11reduce_implILb1ES3_NS6_12zip_iteratorINS7_INS6_11hip_rocprim26transform_input_iterator_tIbNSD_35transform_pair_of_input_iterators_tIbNS6_6detail15normal_iteratorINS6_10device_ptrIKxEEEESL_NS6_8equal_toIxEEEENSG_9not_fun_tINSD_8identityEEEEENSD_19counting_iterator_tIlEES8_S8_S8_S8_S8_S8_S8_S8_EEEEPS9_S9_NSD_9__find_if7functorIS9_EEEE10hipError_tPvRmT1_T2_T3_mT4_P12ihipStream_tbEUlT_E0_NS1_11comp_targetILNS1_3genE2ELNS1_11target_archE906ELNS1_3gpuE6ELNS1_3repE0EEENS1_30default_config_static_selectorELNS0_4arch9wavefront6targetE0EEEvS14_
	.p2align	8
	.type	_ZN7rocprim17ROCPRIM_400000_NS6detail17trampoline_kernelINS0_14default_configENS1_22reduce_config_selectorIN6thrust23THRUST_200600_302600_NS5tupleIblNS6_9null_typeES8_S8_S8_S8_S8_S8_S8_EEEEZNS1_11reduce_implILb1ES3_NS6_12zip_iteratorINS7_INS6_11hip_rocprim26transform_input_iterator_tIbNSD_35transform_pair_of_input_iterators_tIbNS6_6detail15normal_iteratorINS6_10device_ptrIKxEEEESL_NS6_8equal_toIxEEEENSG_9not_fun_tINSD_8identityEEEEENSD_19counting_iterator_tIlEES8_S8_S8_S8_S8_S8_S8_S8_EEEEPS9_S9_NSD_9__find_if7functorIS9_EEEE10hipError_tPvRmT1_T2_T3_mT4_P12ihipStream_tbEUlT_E0_NS1_11comp_targetILNS1_3genE2ELNS1_11target_archE906ELNS1_3gpuE6ELNS1_3repE0EEENS1_30default_config_static_selectorELNS0_4arch9wavefront6targetE0EEEvS14_,@function
_ZN7rocprim17ROCPRIM_400000_NS6detail17trampoline_kernelINS0_14default_configENS1_22reduce_config_selectorIN6thrust23THRUST_200600_302600_NS5tupleIblNS6_9null_typeES8_S8_S8_S8_S8_S8_S8_EEEEZNS1_11reduce_implILb1ES3_NS6_12zip_iteratorINS7_INS6_11hip_rocprim26transform_input_iterator_tIbNSD_35transform_pair_of_input_iterators_tIbNS6_6detail15normal_iteratorINS6_10device_ptrIKxEEEESL_NS6_8equal_toIxEEEENSG_9not_fun_tINSD_8identityEEEEENSD_19counting_iterator_tIlEES8_S8_S8_S8_S8_S8_S8_S8_EEEEPS9_S9_NSD_9__find_if7functorIS9_EEEE10hipError_tPvRmT1_T2_T3_mT4_P12ihipStream_tbEUlT_E0_NS1_11comp_targetILNS1_3genE2ELNS1_11target_archE906ELNS1_3gpuE6ELNS1_3repE0EEENS1_30default_config_static_selectorELNS0_4arch9wavefront6targetE0EEEvS14_: ; @_ZN7rocprim17ROCPRIM_400000_NS6detail17trampoline_kernelINS0_14default_configENS1_22reduce_config_selectorIN6thrust23THRUST_200600_302600_NS5tupleIblNS6_9null_typeES8_S8_S8_S8_S8_S8_S8_EEEEZNS1_11reduce_implILb1ES3_NS6_12zip_iteratorINS7_INS6_11hip_rocprim26transform_input_iterator_tIbNSD_35transform_pair_of_input_iterators_tIbNS6_6detail15normal_iteratorINS6_10device_ptrIKxEEEESL_NS6_8equal_toIxEEEENSG_9not_fun_tINSD_8identityEEEEENSD_19counting_iterator_tIlEES8_S8_S8_S8_S8_S8_S8_S8_EEEEPS9_S9_NSD_9__find_if7functorIS9_EEEE10hipError_tPvRmT1_T2_T3_mT4_P12ihipStream_tbEUlT_E0_NS1_11comp_targetILNS1_3genE2ELNS1_11target_archE906ELNS1_3gpuE6ELNS1_3repE0EEENS1_30default_config_static_selectorELNS0_4arch9wavefront6targetE0EEEvS14_
; %bb.0:
	.section	.rodata,"a",@progbits
	.p2align	6, 0x0
	.amdhsa_kernel _ZN7rocprim17ROCPRIM_400000_NS6detail17trampoline_kernelINS0_14default_configENS1_22reduce_config_selectorIN6thrust23THRUST_200600_302600_NS5tupleIblNS6_9null_typeES8_S8_S8_S8_S8_S8_S8_EEEEZNS1_11reduce_implILb1ES3_NS6_12zip_iteratorINS7_INS6_11hip_rocprim26transform_input_iterator_tIbNSD_35transform_pair_of_input_iterators_tIbNS6_6detail15normal_iteratorINS6_10device_ptrIKxEEEESL_NS6_8equal_toIxEEEENSG_9not_fun_tINSD_8identityEEEEENSD_19counting_iterator_tIlEES8_S8_S8_S8_S8_S8_S8_S8_EEEEPS9_S9_NSD_9__find_if7functorIS9_EEEE10hipError_tPvRmT1_T2_T3_mT4_P12ihipStream_tbEUlT_E0_NS1_11comp_targetILNS1_3genE2ELNS1_11target_archE906ELNS1_3gpuE6ELNS1_3repE0EEENS1_30default_config_static_selectorELNS0_4arch9wavefront6targetE0EEEvS14_
		.amdhsa_group_segment_fixed_size 0
		.amdhsa_private_segment_fixed_size 0
		.amdhsa_kernarg_size 104
		.amdhsa_user_sgpr_count 6
		.amdhsa_user_sgpr_private_segment_buffer 1
		.amdhsa_user_sgpr_dispatch_ptr 0
		.amdhsa_user_sgpr_queue_ptr 0
		.amdhsa_user_sgpr_kernarg_segment_ptr 1
		.amdhsa_user_sgpr_dispatch_id 0
		.amdhsa_user_sgpr_flat_scratch_init 0
		.amdhsa_user_sgpr_private_segment_size 0
		.amdhsa_wavefront_size32 1
		.amdhsa_uses_dynamic_stack 0
		.amdhsa_system_sgpr_private_segment_wavefront_offset 0
		.amdhsa_system_sgpr_workgroup_id_x 1
		.amdhsa_system_sgpr_workgroup_id_y 0
		.amdhsa_system_sgpr_workgroup_id_z 0
		.amdhsa_system_sgpr_workgroup_info 0
		.amdhsa_system_vgpr_workitem_id 0
		.amdhsa_next_free_vgpr 1
		.amdhsa_next_free_sgpr 1
		.amdhsa_reserve_vcc 0
		.amdhsa_reserve_flat_scratch 0
		.amdhsa_float_round_mode_32 0
		.amdhsa_float_round_mode_16_64 0
		.amdhsa_float_denorm_mode_32 3
		.amdhsa_float_denorm_mode_16_64 3
		.amdhsa_dx10_clamp 1
		.amdhsa_ieee_mode 1
		.amdhsa_fp16_overflow 0
		.amdhsa_workgroup_processor_mode 1
		.amdhsa_memory_ordered 1
		.amdhsa_forward_progress 1
		.amdhsa_shared_vgpr_count 0
		.amdhsa_exception_fp_ieee_invalid_op 0
		.amdhsa_exception_fp_denorm_src 0
		.amdhsa_exception_fp_ieee_div_zero 0
		.amdhsa_exception_fp_ieee_overflow 0
		.amdhsa_exception_fp_ieee_underflow 0
		.amdhsa_exception_fp_ieee_inexact 0
		.amdhsa_exception_int_div_zero 0
	.end_amdhsa_kernel
	.section	.text._ZN7rocprim17ROCPRIM_400000_NS6detail17trampoline_kernelINS0_14default_configENS1_22reduce_config_selectorIN6thrust23THRUST_200600_302600_NS5tupleIblNS6_9null_typeES8_S8_S8_S8_S8_S8_S8_EEEEZNS1_11reduce_implILb1ES3_NS6_12zip_iteratorINS7_INS6_11hip_rocprim26transform_input_iterator_tIbNSD_35transform_pair_of_input_iterators_tIbNS6_6detail15normal_iteratorINS6_10device_ptrIKxEEEESL_NS6_8equal_toIxEEEENSG_9not_fun_tINSD_8identityEEEEENSD_19counting_iterator_tIlEES8_S8_S8_S8_S8_S8_S8_S8_EEEEPS9_S9_NSD_9__find_if7functorIS9_EEEE10hipError_tPvRmT1_T2_T3_mT4_P12ihipStream_tbEUlT_E0_NS1_11comp_targetILNS1_3genE2ELNS1_11target_archE906ELNS1_3gpuE6ELNS1_3repE0EEENS1_30default_config_static_selectorELNS0_4arch9wavefront6targetE0EEEvS14_,"axG",@progbits,_ZN7rocprim17ROCPRIM_400000_NS6detail17trampoline_kernelINS0_14default_configENS1_22reduce_config_selectorIN6thrust23THRUST_200600_302600_NS5tupleIblNS6_9null_typeES8_S8_S8_S8_S8_S8_S8_EEEEZNS1_11reduce_implILb1ES3_NS6_12zip_iteratorINS7_INS6_11hip_rocprim26transform_input_iterator_tIbNSD_35transform_pair_of_input_iterators_tIbNS6_6detail15normal_iteratorINS6_10device_ptrIKxEEEESL_NS6_8equal_toIxEEEENSG_9not_fun_tINSD_8identityEEEEENSD_19counting_iterator_tIlEES8_S8_S8_S8_S8_S8_S8_S8_EEEEPS9_S9_NSD_9__find_if7functorIS9_EEEE10hipError_tPvRmT1_T2_T3_mT4_P12ihipStream_tbEUlT_E0_NS1_11comp_targetILNS1_3genE2ELNS1_11target_archE906ELNS1_3gpuE6ELNS1_3repE0EEENS1_30default_config_static_selectorELNS0_4arch9wavefront6targetE0EEEvS14_,comdat
.Lfunc_end229:
	.size	_ZN7rocprim17ROCPRIM_400000_NS6detail17trampoline_kernelINS0_14default_configENS1_22reduce_config_selectorIN6thrust23THRUST_200600_302600_NS5tupleIblNS6_9null_typeES8_S8_S8_S8_S8_S8_S8_EEEEZNS1_11reduce_implILb1ES3_NS6_12zip_iteratorINS7_INS6_11hip_rocprim26transform_input_iterator_tIbNSD_35transform_pair_of_input_iterators_tIbNS6_6detail15normal_iteratorINS6_10device_ptrIKxEEEESL_NS6_8equal_toIxEEEENSG_9not_fun_tINSD_8identityEEEEENSD_19counting_iterator_tIlEES8_S8_S8_S8_S8_S8_S8_S8_EEEEPS9_S9_NSD_9__find_if7functorIS9_EEEE10hipError_tPvRmT1_T2_T3_mT4_P12ihipStream_tbEUlT_E0_NS1_11comp_targetILNS1_3genE2ELNS1_11target_archE906ELNS1_3gpuE6ELNS1_3repE0EEENS1_30default_config_static_selectorELNS0_4arch9wavefront6targetE0EEEvS14_, .Lfunc_end229-_ZN7rocprim17ROCPRIM_400000_NS6detail17trampoline_kernelINS0_14default_configENS1_22reduce_config_selectorIN6thrust23THRUST_200600_302600_NS5tupleIblNS6_9null_typeES8_S8_S8_S8_S8_S8_S8_EEEEZNS1_11reduce_implILb1ES3_NS6_12zip_iteratorINS7_INS6_11hip_rocprim26transform_input_iterator_tIbNSD_35transform_pair_of_input_iterators_tIbNS6_6detail15normal_iteratorINS6_10device_ptrIKxEEEESL_NS6_8equal_toIxEEEENSG_9not_fun_tINSD_8identityEEEEENSD_19counting_iterator_tIlEES8_S8_S8_S8_S8_S8_S8_S8_EEEEPS9_S9_NSD_9__find_if7functorIS9_EEEE10hipError_tPvRmT1_T2_T3_mT4_P12ihipStream_tbEUlT_E0_NS1_11comp_targetILNS1_3genE2ELNS1_11target_archE906ELNS1_3gpuE6ELNS1_3repE0EEENS1_30default_config_static_selectorELNS0_4arch9wavefront6targetE0EEEvS14_
                                        ; -- End function
	.set _ZN7rocprim17ROCPRIM_400000_NS6detail17trampoline_kernelINS0_14default_configENS1_22reduce_config_selectorIN6thrust23THRUST_200600_302600_NS5tupleIblNS6_9null_typeES8_S8_S8_S8_S8_S8_S8_EEEEZNS1_11reduce_implILb1ES3_NS6_12zip_iteratorINS7_INS6_11hip_rocprim26transform_input_iterator_tIbNSD_35transform_pair_of_input_iterators_tIbNS6_6detail15normal_iteratorINS6_10device_ptrIKxEEEESL_NS6_8equal_toIxEEEENSG_9not_fun_tINSD_8identityEEEEENSD_19counting_iterator_tIlEES8_S8_S8_S8_S8_S8_S8_S8_EEEEPS9_S9_NSD_9__find_if7functorIS9_EEEE10hipError_tPvRmT1_T2_T3_mT4_P12ihipStream_tbEUlT_E0_NS1_11comp_targetILNS1_3genE2ELNS1_11target_archE906ELNS1_3gpuE6ELNS1_3repE0EEENS1_30default_config_static_selectorELNS0_4arch9wavefront6targetE0EEEvS14_.num_vgpr, 0
	.set _ZN7rocprim17ROCPRIM_400000_NS6detail17trampoline_kernelINS0_14default_configENS1_22reduce_config_selectorIN6thrust23THRUST_200600_302600_NS5tupleIblNS6_9null_typeES8_S8_S8_S8_S8_S8_S8_EEEEZNS1_11reduce_implILb1ES3_NS6_12zip_iteratorINS7_INS6_11hip_rocprim26transform_input_iterator_tIbNSD_35transform_pair_of_input_iterators_tIbNS6_6detail15normal_iteratorINS6_10device_ptrIKxEEEESL_NS6_8equal_toIxEEEENSG_9not_fun_tINSD_8identityEEEEENSD_19counting_iterator_tIlEES8_S8_S8_S8_S8_S8_S8_S8_EEEEPS9_S9_NSD_9__find_if7functorIS9_EEEE10hipError_tPvRmT1_T2_T3_mT4_P12ihipStream_tbEUlT_E0_NS1_11comp_targetILNS1_3genE2ELNS1_11target_archE906ELNS1_3gpuE6ELNS1_3repE0EEENS1_30default_config_static_selectorELNS0_4arch9wavefront6targetE0EEEvS14_.num_agpr, 0
	.set _ZN7rocprim17ROCPRIM_400000_NS6detail17trampoline_kernelINS0_14default_configENS1_22reduce_config_selectorIN6thrust23THRUST_200600_302600_NS5tupleIblNS6_9null_typeES8_S8_S8_S8_S8_S8_S8_EEEEZNS1_11reduce_implILb1ES3_NS6_12zip_iteratorINS7_INS6_11hip_rocprim26transform_input_iterator_tIbNSD_35transform_pair_of_input_iterators_tIbNS6_6detail15normal_iteratorINS6_10device_ptrIKxEEEESL_NS6_8equal_toIxEEEENSG_9not_fun_tINSD_8identityEEEEENSD_19counting_iterator_tIlEES8_S8_S8_S8_S8_S8_S8_S8_EEEEPS9_S9_NSD_9__find_if7functorIS9_EEEE10hipError_tPvRmT1_T2_T3_mT4_P12ihipStream_tbEUlT_E0_NS1_11comp_targetILNS1_3genE2ELNS1_11target_archE906ELNS1_3gpuE6ELNS1_3repE0EEENS1_30default_config_static_selectorELNS0_4arch9wavefront6targetE0EEEvS14_.numbered_sgpr, 0
	.set _ZN7rocprim17ROCPRIM_400000_NS6detail17trampoline_kernelINS0_14default_configENS1_22reduce_config_selectorIN6thrust23THRUST_200600_302600_NS5tupleIblNS6_9null_typeES8_S8_S8_S8_S8_S8_S8_EEEEZNS1_11reduce_implILb1ES3_NS6_12zip_iteratorINS7_INS6_11hip_rocprim26transform_input_iterator_tIbNSD_35transform_pair_of_input_iterators_tIbNS6_6detail15normal_iteratorINS6_10device_ptrIKxEEEESL_NS6_8equal_toIxEEEENSG_9not_fun_tINSD_8identityEEEEENSD_19counting_iterator_tIlEES8_S8_S8_S8_S8_S8_S8_S8_EEEEPS9_S9_NSD_9__find_if7functorIS9_EEEE10hipError_tPvRmT1_T2_T3_mT4_P12ihipStream_tbEUlT_E0_NS1_11comp_targetILNS1_3genE2ELNS1_11target_archE906ELNS1_3gpuE6ELNS1_3repE0EEENS1_30default_config_static_selectorELNS0_4arch9wavefront6targetE0EEEvS14_.num_named_barrier, 0
	.set _ZN7rocprim17ROCPRIM_400000_NS6detail17trampoline_kernelINS0_14default_configENS1_22reduce_config_selectorIN6thrust23THRUST_200600_302600_NS5tupleIblNS6_9null_typeES8_S8_S8_S8_S8_S8_S8_EEEEZNS1_11reduce_implILb1ES3_NS6_12zip_iteratorINS7_INS6_11hip_rocprim26transform_input_iterator_tIbNSD_35transform_pair_of_input_iterators_tIbNS6_6detail15normal_iteratorINS6_10device_ptrIKxEEEESL_NS6_8equal_toIxEEEENSG_9not_fun_tINSD_8identityEEEEENSD_19counting_iterator_tIlEES8_S8_S8_S8_S8_S8_S8_S8_EEEEPS9_S9_NSD_9__find_if7functorIS9_EEEE10hipError_tPvRmT1_T2_T3_mT4_P12ihipStream_tbEUlT_E0_NS1_11comp_targetILNS1_3genE2ELNS1_11target_archE906ELNS1_3gpuE6ELNS1_3repE0EEENS1_30default_config_static_selectorELNS0_4arch9wavefront6targetE0EEEvS14_.private_seg_size, 0
	.set _ZN7rocprim17ROCPRIM_400000_NS6detail17trampoline_kernelINS0_14default_configENS1_22reduce_config_selectorIN6thrust23THRUST_200600_302600_NS5tupleIblNS6_9null_typeES8_S8_S8_S8_S8_S8_S8_EEEEZNS1_11reduce_implILb1ES3_NS6_12zip_iteratorINS7_INS6_11hip_rocprim26transform_input_iterator_tIbNSD_35transform_pair_of_input_iterators_tIbNS6_6detail15normal_iteratorINS6_10device_ptrIKxEEEESL_NS6_8equal_toIxEEEENSG_9not_fun_tINSD_8identityEEEEENSD_19counting_iterator_tIlEES8_S8_S8_S8_S8_S8_S8_S8_EEEEPS9_S9_NSD_9__find_if7functorIS9_EEEE10hipError_tPvRmT1_T2_T3_mT4_P12ihipStream_tbEUlT_E0_NS1_11comp_targetILNS1_3genE2ELNS1_11target_archE906ELNS1_3gpuE6ELNS1_3repE0EEENS1_30default_config_static_selectorELNS0_4arch9wavefront6targetE0EEEvS14_.uses_vcc, 0
	.set _ZN7rocprim17ROCPRIM_400000_NS6detail17trampoline_kernelINS0_14default_configENS1_22reduce_config_selectorIN6thrust23THRUST_200600_302600_NS5tupleIblNS6_9null_typeES8_S8_S8_S8_S8_S8_S8_EEEEZNS1_11reduce_implILb1ES3_NS6_12zip_iteratorINS7_INS6_11hip_rocprim26transform_input_iterator_tIbNSD_35transform_pair_of_input_iterators_tIbNS6_6detail15normal_iteratorINS6_10device_ptrIKxEEEESL_NS6_8equal_toIxEEEENSG_9not_fun_tINSD_8identityEEEEENSD_19counting_iterator_tIlEES8_S8_S8_S8_S8_S8_S8_S8_EEEEPS9_S9_NSD_9__find_if7functorIS9_EEEE10hipError_tPvRmT1_T2_T3_mT4_P12ihipStream_tbEUlT_E0_NS1_11comp_targetILNS1_3genE2ELNS1_11target_archE906ELNS1_3gpuE6ELNS1_3repE0EEENS1_30default_config_static_selectorELNS0_4arch9wavefront6targetE0EEEvS14_.uses_flat_scratch, 0
	.set _ZN7rocprim17ROCPRIM_400000_NS6detail17trampoline_kernelINS0_14default_configENS1_22reduce_config_selectorIN6thrust23THRUST_200600_302600_NS5tupleIblNS6_9null_typeES8_S8_S8_S8_S8_S8_S8_EEEEZNS1_11reduce_implILb1ES3_NS6_12zip_iteratorINS7_INS6_11hip_rocprim26transform_input_iterator_tIbNSD_35transform_pair_of_input_iterators_tIbNS6_6detail15normal_iteratorINS6_10device_ptrIKxEEEESL_NS6_8equal_toIxEEEENSG_9not_fun_tINSD_8identityEEEEENSD_19counting_iterator_tIlEES8_S8_S8_S8_S8_S8_S8_S8_EEEEPS9_S9_NSD_9__find_if7functorIS9_EEEE10hipError_tPvRmT1_T2_T3_mT4_P12ihipStream_tbEUlT_E0_NS1_11comp_targetILNS1_3genE2ELNS1_11target_archE906ELNS1_3gpuE6ELNS1_3repE0EEENS1_30default_config_static_selectorELNS0_4arch9wavefront6targetE0EEEvS14_.has_dyn_sized_stack, 0
	.set _ZN7rocprim17ROCPRIM_400000_NS6detail17trampoline_kernelINS0_14default_configENS1_22reduce_config_selectorIN6thrust23THRUST_200600_302600_NS5tupleIblNS6_9null_typeES8_S8_S8_S8_S8_S8_S8_EEEEZNS1_11reduce_implILb1ES3_NS6_12zip_iteratorINS7_INS6_11hip_rocprim26transform_input_iterator_tIbNSD_35transform_pair_of_input_iterators_tIbNS6_6detail15normal_iteratorINS6_10device_ptrIKxEEEESL_NS6_8equal_toIxEEEENSG_9not_fun_tINSD_8identityEEEEENSD_19counting_iterator_tIlEES8_S8_S8_S8_S8_S8_S8_S8_EEEEPS9_S9_NSD_9__find_if7functorIS9_EEEE10hipError_tPvRmT1_T2_T3_mT4_P12ihipStream_tbEUlT_E0_NS1_11comp_targetILNS1_3genE2ELNS1_11target_archE906ELNS1_3gpuE6ELNS1_3repE0EEENS1_30default_config_static_selectorELNS0_4arch9wavefront6targetE0EEEvS14_.has_recursion, 0
	.set _ZN7rocprim17ROCPRIM_400000_NS6detail17trampoline_kernelINS0_14default_configENS1_22reduce_config_selectorIN6thrust23THRUST_200600_302600_NS5tupleIblNS6_9null_typeES8_S8_S8_S8_S8_S8_S8_EEEEZNS1_11reduce_implILb1ES3_NS6_12zip_iteratorINS7_INS6_11hip_rocprim26transform_input_iterator_tIbNSD_35transform_pair_of_input_iterators_tIbNS6_6detail15normal_iteratorINS6_10device_ptrIKxEEEESL_NS6_8equal_toIxEEEENSG_9not_fun_tINSD_8identityEEEEENSD_19counting_iterator_tIlEES8_S8_S8_S8_S8_S8_S8_S8_EEEEPS9_S9_NSD_9__find_if7functorIS9_EEEE10hipError_tPvRmT1_T2_T3_mT4_P12ihipStream_tbEUlT_E0_NS1_11comp_targetILNS1_3genE2ELNS1_11target_archE906ELNS1_3gpuE6ELNS1_3repE0EEENS1_30default_config_static_selectorELNS0_4arch9wavefront6targetE0EEEvS14_.has_indirect_call, 0
	.section	.AMDGPU.csdata,"",@progbits
; Kernel info:
; codeLenInByte = 0
; TotalNumSgprs: 0
; NumVgprs: 0
; ScratchSize: 0
; MemoryBound: 0
; FloatMode: 240
; IeeeMode: 1
; LDSByteSize: 0 bytes/workgroup (compile time only)
; SGPRBlocks: 0
; VGPRBlocks: 0
; NumSGPRsForWavesPerEU: 1
; NumVGPRsForWavesPerEU: 1
; Occupancy: 16
; WaveLimiterHint : 0
; COMPUTE_PGM_RSRC2:SCRATCH_EN: 0
; COMPUTE_PGM_RSRC2:USER_SGPR: 6
; COMPUTE_PGM_RSRC2:TRAP_HANDLER: 0
; COMPUTE_PGM_RSRC2:TGID_X_EN: 1
; COMPUTE_PGM_RSRC2:TGID_Y_EN: 0
; COMPUTE_PGM_RSRC2:TGID_Z_EN: 0
; COMPUTE_PGM_RSRC2:TIDIG_COMP_CNT: 0
	.section	.text._ZN7rocprim17ROCPRIM_400000_NS6detail17trampoline_kernelINS0_14default_configENS1_22reduce_config_selectorIN6thrust23THRUST_200600_302600_NS5tupleIblNS6_9null_typeES8_S8_S8_S8_S8_S8_S8_EEEEZNS1_11reduce_implILb1ES3_NS6_12zip_iteratorINS7_INS6_11hip_rocprim26transform_input_iterator_tIbNSD_35transform_pair_of_input_iterators_tIbNS6_6detail15normal_iteratorINS6_10device_ptrIKxEEEESL_NS6_8equal_toIxEEEENSG_9not_fun_tINSD_8identityEEEEENSD_19counting_iterator_tIlEES8_S8_S8_S8_S8_S8_S8_S8_EEEEPS9_S9_NSD_9__find_if7functorIS9_EEEE10hipError_tPvRmT1_T2_T3_mT4_P12ihipStream_tbEUlT_E0_NS1_11comp_targetILNS1_3genE10ELNS1_11target_archE1201ELNS1_3gpuE5ELNS1_3repE0EEENS1_30default_config_static_selectorELNS0_4arch9wavefront6targetE0EEEvS14_,"axG",@progbits,_ZN7rocprim17ROCPRIM_400000_NS6detail17trampoline_kernelINS0_14default_configENS1_22reduce_config_selectorIN6thrust23THRUST_200600_302600_NS5tupleIblNS6_9null_typeES8_S8_S8_S8_S8_S8_S8_EEEEZNS1_11reduce_implILb1ES3_NS6_12zip_iteratorINS7_INS6_11hip_rocprim26transform_input_iterator_tIbNSD_35transform_pair_of_input_iterators_tIbNS6_6detail15normal_iteratorINS6_10device_ptrIKxEEEESL_NS6_8equal_toIxEEEENSG_9not_fun_tINSD_8identityEEEEENSD_19counting_iterator_tIlEES8_S8_S8_S8_S8_S8_S8_S8_EEEEPS9_S9_NSD_9__find_if7functorIS9_EEEE10hipError_tPvRmT1_T2_T3_mT4_P12ihipStream_tbEUlT_E0_NS1_11comp_targetILNS1_3genE10ELNS1_11target_archE1201ELNS1_3gpuE5ELNS1_3repE0EEENS1_30default_config_static_selectorELNS0_4arch9wavefront6targetE0EEEvS14_,comdat
	.protected	_ZN7rocprim17ROCPRIM_400000_NS6detail17trampoline_kernelINS0_14default_configENS1_22reduce_config_selectorIN6thrust23THRUST_200600_302600_NS5tupleIblNS6_9null_typeES8_S8_S8_S8_S8_S8_S8_EEEEZNS1_11reduce_implILb1ES3_NS6_12zip_iteratorINS7_INS6_11hip_rocprim26transform_input_iterator_tIbNSD_35transform_pair_of_input_iterators_tIbNS6_6detail15normal_iteratorINS6_10device_ptrIKxEEEESL_NS6_8equal_toIxEEEENSG_9not_fun_tINSD_8identityEEEEENSD_19counting_iterator_tIlEES8_S8_S8_S8_S8_S8_S8_S8_EEEEPS9_S9_NSD_9__find_if7functorIS9_EEEE10hipError_tPvRmT1_T2_T3_mT4_P12ihipStream_tbEUlT_E0_NS1_11comp_targetILNS1_3genE10ELNS1_11target_archE1201ELNS1_3gpuE5ELNS1_3repE0EEENS1_30default_config_static_selectorELNS0_4arch9wavefront6targetE0EEEvS14_ ; -- Begin function _ZN7rocprim17ROCPRIM_400000_NS6detail17trampoline_kernelINS0_14default_configENS1_22reduce_config_selectorIN6thrust23THRUST_200600_302600_NS5tupleIblNS6_9null_typeES8_S8_S8_S8_S8_S8_S8_EEEEZNS1_11reduce_implILb1ES3_NS6_12zip_iteratorINS7_INS6_11hip_rocprim26transform_input_iterator_tIbNSD_35transform_pair_of_input_iterators_tIbNS6_6detail15normal_iteratorINS6_10device_ptrIKxEEEESL_NS6_8equal_toIxEEEENSG_9not_fun_tINSD_8identityEEEEENSD_19counting_iterator_tIlEES8_S8_S8_S8_S8_S8_S8_S8_EEEEPS9_S9_NSD_9__find_if7functorIS9_EEEE10hipError_tPvRmT1_T2_T3_mT4_P12ihipStream_tbEUlT_E0_NS1_11comp_targetILNS1_3genE10ELNS1_11target_archE1201ELNS1_3gpuE5ELNS1_3repE0EEENS1_30default_config_static_selectorELNS0_4arch9wavefront6targetE0EEEvS14_
	.globl	_ZN7rocprim17ROCPRIM_400000_NS6detail17trampoline_kernelINS0_14default_configENS1_22reduce_config_selectorIN6thrust23THRUST_200600_302600_NS5tupleIblNS6_9null_typeES8_S8_S8_S8_S8_S8_S8_EEEEZNS1_11reduce_implILb1ES3_NS6_12zip_iteratorINS7_INS6_11hip_rocprim26transform_input_iterator_tIbNSD_35transform_pair_of_input_iterators_tIbNS6_6detail15normal_iteratorINS6_10device_ptrIKxEEEESL_NS6_8equal_toIxEEEENSG_9not_fun_tINSD_8identityEEEEENSD_19counting_iterator_tIlEES8_S8_S8_S8_S8_S8_S8_S8_EEEEPS9_S9_NSD_9__find_if7functorIS9_EEEE10hipError_tPvRmT1_T2_T3_mT4_P12ihipStream_tbEUlT_E0_NS1_11comp_targetILNS1_3genE10ELNS1_11target_archE1201ELNS1_3gpuE5ELNS1_3repE0EEENS1_30default_config_static_selectorELNS0_4arch9wavefront6targetE0EEEvS14_
	.p2align	8
	.type	_ZN7rocprim17ROCPRIM_400000_NS6detail17trampoline_kernelINS0_14default_configENS1_22reduce_config_selectorIN6thrust23THRUST_200600_302600_NS5tupleIblNS6_9null_typeES8_S8_S8_S8_S8_S8_S8_EEEEZNS1_11reduce_implILb1ES3_NS6_12zip_iteratorINS7_INS6_11hip_rocprim26transform_input_iterator_tIbNSD_35transform_pair_of_input_iterators_tIbNS6_6detail15normal_iteratorINS6_10device_ptrIKxEEEESL_NS6_8equal_toIxEEEENSG_9not_fun_tINSD_8identityEEEEENSD_19counting_iterator_tIlEES8_S8_S8_S8_S8_S8_S8_S8_EEEEPS9_S9_NSD_9__find_if7functorIS9_EEEE10hipError_tPvRmT1_T2_T3_mT4_P12ihipStream_tbEUlT_E0_NS1_11comp_targetILNS1_3genE10ELNS1_11target_archE1201ELNS1_3gpuE5ELNS1_3repE0EEENS1_30default_config_static_selectorELNS0_4arch9wavefront6targetE0EEEvS14_,@function
_ZN7rocprim17ROCPRIM_400000_NS6detail17trampoline_kernelINS0_14default_configENS1_22reduce_config_selectorIN6thrust23THRUST_200600_302600_NS5tupleIblNS6_9null_typeES8_S8_S8_S8_S8_S8_S8_EEEEZNS1_11reduce_implILb1ES3_NS6_12zip_iteratorINS7_INS6_11hip_rocprim26transform_input_iterator_tIbNSD_35transform_pair_of_input_iterators_tIbNS6_6detail15normal_iteratorINS6_10device_ptrIKxEEEESL_NS6_8equal_toIxEEEENSG_9not_fun_tINSD_8identityEEEEENSD_19counting_iterator_tIlEES8_S8_S8_S8_S8_S8_S8_S8_EEEEPS9_S9_NSD_9__find_if7functorIS9_EEEE10hipError_tPvRmT1_T2_T3_mT4_P12ihipStream_tbEUlT_E0_NS1_11comp_targetILNS1_3genE10ELNS1_11target_archE1201ELNS1_3gpuE5ELNS1_3repE0EEENS1_30default_config_static_selectorELNS0_4arch9wavefront6targetE0EEEvS14_: ; @_ZN7rocprim17ROCPRIM_400000_NS6detail17trampoline_kernelINS0_14default_configENS1_22reduce_config_selectorIN6thrust23THRUST_200600_302600_NS5tupleIblNS6_9null_typeES8_S8_S8_S8_S8_S8_S8_EEEEZNS1_11reduce_implILb1ES3_NS6_12zip_iteratorINS7_INS6_11hip_rocprim26transform_input_iterator_tIbNSD_35transform_pair_of_input_iterators_tIbNS6_6detail15normal_iteratorINS6_10device_ptrIKxEEEESL_NS6_8equal_toIxEEEENSG_9not_fun_tINSD_8identityEEEEENSD_19counting_iterator_tIlEES8_S8_S8_S8_S8_S8_S8_S8_EEEEPS9_S9_NSD_9__find_if7functorIS9_EEEE10hipError_tPvRmT1_T2_T3_mT4_P12ihipStream_tbEUlT_E0_NS1_11comp_targetILNS1_3genE10ELNS1_11target_archE1201ELNS1_3gpuE5ELNS1_3repE0EEENS1_30default_config_static_selectorELNS0_4arch9wavefront6targetE0EEEvS14_
; %bb.0:
	.section	.rodata,"a",@progbits
	.p2align	6, 0x0
	.amdhsa_kernel _ZN7rocprim17ROCPRIM_400000_NS6detail17trampoline_kernelINS0_14default_configENS1_22reduce_config_selectorIN6thrust23THRUST_200600_302600_NS5tupleIblNS6_9null_typeES8_S8_S8_S8_S8_S8_S8_EEEEZNS1_11reduce_implILb1ES3_NS6_12zip_iteratorINS7_INS6_11hip_rocprim26transform_input_iterator_tIbNSD_35transform_pair_of_input_iterators_tIbNS6_6detail15normal_iteratorINS6_10device_ptrIKxEEEESL_NS6_8equal_toIxEEEENSG_9not_fun_tINSD_8identityEEEEENSD_19counting_iterator_tIlEES8_S8_S8_S8_S8_S8_S8_S8_EEEEPS9_S9_NSD_9__find_if7functorIS9_EEEE10hipError_tPvRmT1_T2_T3_mT4_P12ihipStream_tbEUlT_E0_NS1_11comp_targetILNS1_3genE10ELNS1_11target_archE1201ELNS1_3gpuE5ELNS1_3repE0EEENS1_30default_config_static_selectorELNS0_4arch9wavefront6targetE0EEEvS14_
		.amdhsa_group_segment_fixed_size 0
		.amdhsa_private_segment_fixed_size 0
		.amdhsa_kernarg_size 104
		.amdhsa_user_sgpr_count 6
		.amdhsa_user_sgpr_private_segment_buffer 1
		.amdhsa_user_sgpr_dispatch_ptr 0
		.amdhsa_user_sgpr_queue_ptr 0
		.amdhsa_user_sgpr_kernarg_segment_ptr 1
		.amdhsa_user_sgpr_dispatch_id 0
		.amdhsa_user_sgpr_flat_scratch_init 0
		.amdhsa_user_sgpr_private_segment_size 0
		.amdhsa_wavefront_size32 1
		.amdhsa_uses_dynamic_stack 0
		.amdhsa_system_sgpr_private_segment_wavefront_offset 0
		.amdhsa_system_sgpr_workgroup_id_x 1
		.amdhsa_system_sgpr_workgroup_id_y 0
		.amdhsa_system_sgpr_workgroup_id_z 0
		.amdhsa_system_sgpr_workgroup_info 0
		.amdhsa_system_vgpr_workitem_id 0
		.amdhsa_next_free_vgpr 1
		.amdhsa_next_free_sgpr 1
		.amdhsa_reserve_vcc 0
		.amdhsa_reserve_flat_scratch 0
		.amdhsa_float_round_mode_32 0
		.amdhsa_float_round_mode_16_64 0
		.amdhsa_float_denorm_mode_32 3
		.amdhsa_float_denorm_mode_16_64 3
		.amdhsa_dx10_clamp 1
		.amdhsa_ieee_mode 1
		.amdhsa_fp16_overflow 0
		.amdhsa_workgroup_processor_mode 1
		.amdhsa_memory_ordered 1
		.amdhsa_forward_progress 1
		.amdhsa_shared_vgpr_count 0
		.amdhsa_exception_fp_ieee_invalid_op 0
		.amdhsa_exception_fp_denorm_src 0
		.amdhsa_exception_fp_ieee_div_zero 0
		.amdhsa_exception_fp_ieee_overflow 0
		.amdhsa_exception_fp_ieee_underflow 0
		.amdhsa_exception_fp_ieee_inexact 0
		.amdhsa_exception_int_div_zero 0
	.end_amdhsa_kernel
	.section	.text._ZN7rocprim17ROCPRIM_400000_NS6detail17trampoline_kernelINS0_14default_configENS1_22reduce_config_selectorIN6thrust23THRUST_200600_302600_NS5tupleIblNS6_9null_typeES8_S8_S8_S8_S8_S8_S8_EEEEZNS1_11reduce_implILb1ES3_NS6_12zip_iteratorINS7_INS6_11hip_rocprim26transform_input_iterator_tIbNSD_35transform_pair_of_input_iterators_tIbNS6_6detail15normal_iteratorINS6_10device_ptrIKxEEEESL_NS6_8equal_toIxEEEENSG_9not_fun_tINSD_8identityEEEEENSD_19counting_iterator_tIlEES8_S8_S8_S8_S8_S8_S8_S8_EEEEPS9_S9_NSD_9__find_if7functorIS9_EEEE10hipError_tPvRmT1_T2_T3_mT4_P12ihipStream_tbEUlT_E0_NS1_11comp_targetILNS1_3genE10ELNS1_11target_archE1201ELNS1_3gpuE5ELNS1_3repE0EEENS1_30default_config_static_selectorELNS0_4arch9wavefront6targetE0EEEvS14_,"axG",@progbits,_ZN7rocprim17ROCPRIM_400000_NS6detail17trampoline_kernelINS0_14default_configENS1_22reduce_config_selectorIN6thrust23THRUST_200600_302600_NS5tupleIblNS6_9null_typeES8_S8_S8_S8_S8_S8_S8_EEEEZNS1_11reduce_implILb1ES3_NS6_12zip_iteratorINS7_INS6_11hip_rocprim26transform_input_iterator_tIbNSD_35transform_pair_of_input_iterators_tIbNS6_6detail15normal_iteratorINS6_10device_ptrIKxEEEESL_NS6_8equal_toIxEEEENSG_9not_fun_tINSD_8identityEEEEENSD_19counting_iterator_tIlEES8_S8_S8_S8_S8_S8_S8_S8_EEEEPS9_S9_NSD_9__find_if7functorIS9_EEEE10hipError_tPvRmT1_T2_T3_mT4_P12ihipStream_tbEUlT_E0_NS1_11comp_targetILNS1_3genE10ELNS1_11target_archE1201ELNS1_3gpuE5ELNS1_3repE0EEENS1_30default_config_static_selectorELNS0_4arch9wavefront6targetE0EEEvS14_,comdat
.Lfunc_end230:
	.size	_ZN7rocprim17ROCPRIM_400000_NS6detail17trampoline_kernelINS0_14default_configENS1_22reduce_config_selectorIN6thrust23THRUST_200600_302600_NS5tupleIblNS6_9null_typeES8_S8_S8_S8_S8_S8_S8_EEEEZNS1_11reduce_implILb1ES3_NS6_12zip_iteratorINS7_INS6_11hip_rocprim26transform_input_iterator_tIbNSD_35transform_pair_of_input_iterators_tIbNS6_6detail15normal_iteratorINS6_10device_ptrIKxEEEESL_NS6_8equal_toIxEEEENSG_9not_fun_tINSD_8identityEEEEENSD_19counting_iterator_tIlEES8_S8_S8_S8_S8_S8_S8_S8_EEEEPS9_S9_NSD_9__find_if7functorIS9_EEEE10hipError_tPvRmT1_T2_T3_mT4_P12ihipStream_tbEUlT_E0_NS1_11comp_targetILNS1_3genE10ELNS1_11target_archE1201ELNS1_3gpuE5ELNS1_3repE0EEENS1_30default_config_static_selectorELNS0_4arch9wavefront6targetE0EEEvS14_, .Lfunc_end230-_ZN7rocprim17ROCPRIM_400000_NS6detail17trampoline_kernelINS0_14default_configENS1_22reduce_config_selectorIN6thrust23THRUST_200600_302600_NS5tupleIblNS6_9null_typeES8_S8_S8_S8_S8_S8_S8_EEEEZNS1_11reduce_implILb1ES3_NS6_12zip_iteratorINS7_INS6_11hip_rocprim26transform_input_iterator_tIbNSD_35transform_pair_of_input_iterators_tIbNS6_6detail15normal_iteratorINS6_10device_ptrIKxEEEESL_NS6_8equal_toIxEEEENSG_9not_fun_tINSD_8identityEEEEENSD_19counting_iterator_tIlEES8_S8_S8_S8_S8_S8_S8_S8_EEEEPS9_S9_NSD_9__find_if7functorIS9_EEEE10hipError_tPvRmT1_T2_T3_mT4_P12ihipStream_tbEUlT_E0_NS1_11comp_targetILNS1_3genE10ELNS1_11target_archE1201ELNS1_3gpuE5ELNS1_3repE0EEENS1_30default_config_static_selectorELNS0_4arch9wavefront6targetE0EEEvS14_
                                        ; -- End function
	.set _ZN7rocprim17ROCPRIM_400000_NS6detail17trampoline_kernelINS0_14default_configENS1_22reduce_config_selectorIN6thrust23THRUST_200600_302600_NS5tupleIblNS6_9null_typeES8_S8_S8_S8_S8_S8_S8_EEEEZNS1_11reduce_implILb1ES3_NS6_12zip_iteratorINS7_INS6_11hip_rocprim26transform_input_iterator_tIbNSD_35transform_pair_of_input_iterators_tIbNS6_6detail15normal_iteratorINS6_10device_ptrIKxEEEESL_NS6_8equal_toIxEEEENSG_9not_fun_tINSD_8identityEEEEENSD_19counting_iterator_tIlEES8_S8_S8_S8_S8_S8_S8_S8_EEEEPS9_S9_NSD_9__find_if7functorIS9_EEEE10hipError_tPvRmT1_T2_T3_mT4_P12ihipStream_tbEUlT_E0_NS1_11comp_targetILNS1_3genE10ELNS1_11target_archE1201ELNS1_3gpuE5ELNS1_3repE0EEENS1_30default_config_static_selectorELNS0_4arch9wavefront6targetE0EEEvS14_.num_vgpr, 0
	.set _ZN7rocprim17ROCPRIM_400000_NS6detail17trampoline_kernelINS0_14default_configENS1_22reduce_config_selectorIN6thrust23THRUST_200600_302600_NS5tupleIblNS6_9null_typeES8_S8_S8_S8_S8_S8_S8_EEEEZNS1_11reduce_implILb1ES3_NS6_12zip_iteratorINS7_INS6_11hip_rocprim26transform_input_iterator_tIbNSD_35transform_pair_of_input_iterators_tIbNS6_6detail15normal_iteratorINS6_10device_ptrIKxEEEESL_NS6_8equal_toIxEEEENSG_9not_fun_tINSD_8identityEEEEENSD_19counting_iterator_tIlEES8_S8_S8_S8_S8_S8_S8_S8_EEEEPS9_S9_NSD_9__find_if7functorIS9_EEEE10hipError_tPvRmT1_T2_T3_mT4_P12ihipStream_tbEUlT_E0_NS1_11comp_targetILNS1_3genE10ELNS1_11target_archE1201ELNS1_3gpuE5ELNS1_3repE0EEENS1_30default_config_static_selectorELNS0_4arch9wavefront6targetE0EEEvS14_.num_agpr, 0
	.set _ZN7rocprim17ROCPRIM_400000_NS6detail17trampoline_kernelINS0_14default_configENS1_22reduce_config_selectorIN6thrust23THRUST_200600_302600_NS5tupleIblNS6_9null_typeES8_S8_S8_S8_S8_S8_S8_EEEEZNS1_11reduce_implILb1ES3_NS6_12zip_iteratorINS7_INS6_11hip_rocprim26transform_input_iterator_tIbNSD_35transform_pair_of_input_iterators_tIbNS6_6detail15normal_iteratorINS6_10device_ptrIKxEEEESL_NS6_8equal_toIxEEEENSG_9not_fun_tINSD_8identityEEEEENSD_19counting_iterator_tIlEES8_S8_S8_S8_S8_S8_S8_S8_EEEEPS9_S9_NSD_9__find_if7functorIS9_EEEE10hipError_tPvRmT1_T2_T3_mT4_P12ihipStream_tbEUlT_E0_NS1_11comp_targetILNS1_3genE10ELNS1_11target_archE1201ELNS1_3gpuE5ELNS1_3repE0EEENS1_30default_config_static_selectorELNS0_4arch9wavefront6targetE0EEEvS14_.numbered_sgpr, 0
	.set _ZN7rocprim17ROCPRIM_400000_NS6detail17trampoline_kernelINS0_14default_configENS1_22reduce_config_selectorIN6thrust23THRUST_200600_302600_NS5tupleIblNS6_9null_typeES8_S8_S8_S8_S8_S8_S8_EEEEZNS1_11reduce_implILb1ES3_NS6_12zip_iteratorINS7_INS6_11hip_rocprim26transform_input_iterator_tIbNSD_35transform_pair_of_input_iterators_tIbNS6_6detail15normal_iteratorINS6_10device_ptrIKxEEEESL_NS6_8equal_toIxEEEENSG_9not_fun_tINSD_8identityEEEEENSD_19counting_iterator_tIlEES8_S8_S8_S8_S8_S8_S8_S8_EEEEPS9_S9_NSD_9__find_if7functorIS9_EEEE10hipError_tPvRmT1_T2_T3_mT4_P12ihipStream_tbEUlT_E0_NS1_11comp_targetILNS1_3genE10ELNS1_11target_archE1201ELNS1_3gpuE5ELNS1_3repE0EEENS1_30default_config_static_selectorELNS0_4arch9wavefront6targetE0EEEvS14_.num_named_barrier, 0
	.set _ZN7rocprim17ROCPRIM_400000_NS6detail17trampoline_kernelINS0_14default_configENS1_22reduce_config_selectorIN6thrust23THRUST_200600_302600_NS5tupleIblNS6_9null_typeES8_S8_S8_S8_S8_S8_S8_EEEEZNS1_11reduce_implILb1ES3_NS6_12zip_iteratorINS7_INS6_11hip_rocprim26transform_input_iterator_tIbNSD_35transform_pair_of_input_iterators_tIbNS6_6detail15normal_iteratorINS6_10device_ptrIKxEEEESL_NS6_8equal_toIxEEEENSG_9not_fun_tINSD_8identityEEEEENSD_19counting_iterator_tIlEES8_S8_S8_S8_S8_S8_S8_S8_EEEEPS9_S9_NSD_9__find_if7functorIS9_EEEE10hipError_tPvRmT1_T2_T3_mT4_P12ihipStream_tbEUlT_E0_NS1_11comp_targetILNS1_3genE10ELNS1_11target_archE1201ELNS1_3gpuE5ELNS1_3repE0EEENS1_30default_config_static_selectorELNS0_4arch9wavefront6targetE0EEEvS14_.private_seg_size, 0
	.set _ZN7rocprim17ROCPRIM_400000_NS6detail17trampoline_kernelINS0_14default_configENS1_22reduce_config_selectorIN6thrust23THRUST_200600_302600_NS5tupleIblNS6_9null_typeES8_S8_S8_S8_S8_S8_S8_EEEEZNS1_11reduce_implILb1ES3_NS6_12zip_iteratorINS7_INS6_11hip_rocprim26transform_input_iterator_tIbNSD_35transform_pair_of_input_iterators_tIbNS6_6detail15normal_iteratorINS6_10device_ptrIKxEEEESL_NS6_8equal_toIxEEEENSG_9not_fun_tINSD_8identityEEEEENSD_19counting_iterator_tIlEES8_S8_S8_S8_S8_S8_S8_S8_EEEEPS9_S9_NSD_9__find_if7functorIS9_EEEE10hipError_tPvRmT1_T2_T3_mT4_P12ihipStream_tbEUlT_E0_NS1_11comp_targetILNS1_3genE10ELNS1_11target_archE1201ELNS1_3gpuE5ELNS1_3repE0EEENS1_30default_config_static_selectorELNS0_4arch9wavefront6targetE0EEEvS14_.uses_vcc, 0
	.set _ZN7rocprim17ROCPRIM_400000_NS6detail17trampoline_kernelINS0_14default_configENS1_22reduce_config_selectorIN6thrust23THRUST_200600_302600_NS5tupleIblNS6_9null_typeES8_S8_S8_S8_S8_S8_S8_EEEEZNS1_11reduce_implILb1ES3_NS6_12zip_iteratorINS7_INS6_11hip_rocprim26transform_input_iterator_tIbNSD_35transform_pair_of_input_iterators_tIbNS6_6detail15normal_iteratorINS6_10device_ptrIKxEEEESL_NS6_8equal_toIxEEEENSG_9not_fun_tINSD_8identityEEEEENSD_19counting_iterator_tIlEES8_S8_S8_S8_S8_S8_S8_S8_EEEEPS9_S9_NSD_9__find_if7functorIS9_EEEE10hipError_tPvRmT1_T2_T3_mT4_P12ihipStream_tbEUlT_E0_NS1_11comp_targetILNS1_3genE10ELNS1_11target_archE1201ELNS1_3gpuE5ELNS1_3repE0EEENS1_30default_config_static_selectorELNS0_4arch9wavefront6targetE0EEEvS14_.uses_flat_scratch, 0
	.set _ZN7rocprim17ROCPRIM_400000_NS6detail17trampoline_kernelINS0_14default_configENS1_22reduce_config_selectorIN6thrust23THRUST_200600_302600_NS5tupleIblNS6_9null_typeES8_S8_S8_S8_S8_S8_S8_EEEEZNS1_11reduce_implILb1ES3_NS6_12zip_iteratorINS7_INS6_11hip_rocprim26transform_input_iterator_tIbNSD_35transform_pair_of_input_iterators_tIbNS6_6detail15normal_iteratorINS6_10device_ptrIKxEEEESL_NS6_8equal_toIxEEEENSG_9not_fun_tINSD_8identityEEEEENSD_19counting_iterator_tIlEES8_S8_S8_S8_S8_S8_S8_S8_EEEEPS9_S9_NSD_9__find_if7functorIS9_EEEE10hipError_tPvRmT1_T2_T3_mT4_P12ihipStream_tbEUlT_E0_NS1_11comp_targetILNS1_3genE10ELNS1_11target_archE1201ELNS1_3gpuE5ELNS1_3repE0EEENS1_30default_config_static_selectorELNS0_4arch9wavefront6targetE0EEEvS14_.has_dyn_sized_stack, 0
	.set _ZN7rocprim17ROCPRIM_400000_NS6detail17trampoline_kernelINS0_14default_configENS1_22reduce_config_selectorIN6thrust23THRUST_200600_302600_NS5tupleIblNS6_9null_typeES8_S8_S8_S8_S8_S8_S8_EEEEZNS1_11reduce_implILb1ES3_NS6_12zip_iteratorINS7_INS6_11hip_rocprim26transform_input_iterator_tIbNSD_35transform_pair_of_input_iterators_tIbNS6_6detail15normal_iteratorINS6_10device_ptrIKxEEEESL_NS6_8equal_toIxEEEENSG_9not_fun_tINSD_8identityEEEEENSD_19counting_iterator_tIlEES8_S8_S8_S8_S8_S8_S8_S8_EEEEPS9_S9_NSD_9__find_if7functorIS9_EEEE10hipError_tPvRmT1_T2_T3_mT4_P12ihipStream_tbEUlT_E0_NS1_11comp_targetILNS1_3genE10ELNS1_11target_archE1201ELNS1_3gpuE5ELNS1_3repE0EEENS1_30default_config_static_selectorELNS0_4arch9wavefront6targetE0EEEvS14_.has_recursion, 0
	.set _ZN7rocprim17ROCPRIM_400000_NS6detail17trampoline_kernelINS0_14default_configENS1_22reduce_config_selectorIN6thrust23THRUST_200600_302600_NS5tupleIblNS6_9null_typeES8_S8_S8_S8_S8_S8_S8_EEEEZNS1_11reduce_implILb1ES3_NS6_12zip_iteratorINS7_INS6_11hip_rocprim26transform_input_iterator_tIbNSD_35transform_pair_of_input_iterators_tIbNS6_6detail15normal_iteratorINS6_10device_ptrIKxEEEESL_NS6_8equal_toIxEEEENSG_9not_fun_tINSD_8identityEEEEENSD_19counting_iterator_tIlEES8_S8_S8_S8_S8_S8_S8_S8_EEEEPS9_S9_NSD_9__find_if7functorIS9_EEEE10hipError_tPvRmT1_T2_T3_mT4_P12ihipStream_tbEUlT_E0_NS1_11comp_targetILNS1_3genE10ELNS1_11target_archE1201ELNS1_3gpuE5ELNS1_3repE0EEENS1_30default_config_static_selectorELNS0_4arch9wavefront6targetE0EEEvS14_.has_indirect_call, 0
	.section	.AMDGPU.csdata,"",@progbits
; Kernel info:
; codeLenInByte = 0
; TotalNumSgprs: 0
; NumVgprs: 0
; ScratchSize: 0
; MemoryBound: 0
; FloatMode: 240
; IeeeMode: 1
; LDSByteSize: 0 bytes/workgroup (compile time only)
; SGPRBlocks: 0
; VGPRBlocks: 0
; NumSGPRsForWavesPerEU: 1
; NumVGPRsForWavesPerEU: 1
; Occupancy: 16
; WaveLimiterHint : 0
; COMPUTE_PGM_RSRC2:SCRATCH_EN: 0
; COMPUTE_PGM_RSRC2:USER_SGPR: 6
; COMPUTE_PGM_RSRC2:TRAP_HANDLER: 0
; COMPUTE_PGM_RSRC2:TGID_X_EN: 1
; COMPUTE_PGM_RSRC2:TGID_Y_EN: 0
; COMPUTE_PGM_RSRC2:TGID_Z_EN: 0
; COMPUTE_PGM_RSRC2:TIDIG_COMP_CNT: 0
	.section	.text._ZN7rocprim17ROCPRIM_400000_NS6detail17trampoline_kernelINS0_14default_configENS1_22reduce_config_selectorIN6thrust23THRUST_200600_302600_NS5tupleIblNS6_9null_typeES8_S8_S8_S8_S8_S8_S8_EEEEZNS1_11reduce_implILb1ES3_NS6_12zip_iteratorINS7_INS6_11hip_rocprim26transform_input_iterator_tIbNSD_35transform_pair_of_input_iterators_tIbNS6_6detail15normal_iteratorINS6_10device_ptrIKxEEEESL_NS6_8equal_toIxEEEENSG_9not_fun_tINSD_8identityEEEEENSD_19counting_iterator_tIlEES8_S8_S8_S8_S8_S8_S8_S8_EEEEPS9_S9_NSD_9__find_if7functorIS9_EEEE10hipError_tPvRmT1_T2_T3_mT4_P12ihipStream_tbEUlT_E0_NS1_11comp_targetILNS1_3genE10ELNS1_11target_archE1200ELNS1_3gpuE4ELNS1_3repE0EEENS1_30default_config_static_selectorELNS0_4arch9wavefront6targetE0EEEvS14_,"axG",@progbits,_ZN7rocprim17ROCPRIM_400000_NS6detail17trampoline_kernelINS0_14default_configENS1_22reduce_config_selectorIN6thrust23THRUST_200600_302600_NS5tupleIblNS6_9null_typeES8_S8_S8_S8_S8_S8_S8_EEEEZNS1_11reduce_implILb1ES3_NS6_12zip_iteratorINS7_INS6_11hip_rocprim26transform_input_iterator_tIbNSD_35transform_pair_of_input_iterators_tIbNS6_6detail15normal_iteratorINS6_10device_ptrIKxEEEESL_NS6_8equal_toIxEEEENSG_9not_fun_tINSD_8identityEEEEENSD_19counting_iterator_tIlEES8_S8_S8_S8_S8_S8_S8_S8_EEEEPS9_S9_NSD_9__find_if7functorIS9_EEEE10hipError_tPvRmT1_T2_T3_mT4_P12ihipStream_tbEUlT_E0_NS1_11comp_targetILNS1_3genE10ELNS1_11target_archE1200ELNS1_3gpuE4ELNS1_3repE0EEENS1_30default_config_static_selectorELNS0_4arch9wavefront6targetE0EEEvS14_,comdat
	.protected	_ZN7rocprim17ROCPRIM_400000_NS6detail17trampoline_kernelINS0_14default_configENS1_22reduce_config_selectorIN6thrust23THRUST_200600_302600_NS5tupleIblNS6_9null_typeES8_S8_S8_S8_S8_S8_S8_EEEEZNS1_11reduce_implILb1ES3_NS6_12zip_iteratorINS7_INS6_11hip_rocprim26transform_input_iterator_tIbNSD_35transform_pair_of_input_iterators_tIbNS6_6detail15normal_iteratorINS6_10device_ptrIKxEEEESL_NS6_8equal_toIxEEEENSG_9not_fun_tINSD_8identityEEEEENSD_19counting_iterator_tIlEES8_S8_S8_S8_S8_S8_S8_S8_EEEEPS9_S9_NSD_9__find_if7functorIS9_EEEE10hipError_tPvRmT1_T2_T3_mT4_P12ihipStream_tbEUlT_E0_NS1_11comp_targetILNS1_3genE10ELNS1_11target_archE1200ELNS1_3gpuE4ELNS1_3repE0EEENS1_30default_config_static_selectorELNS0_4arch9wavefront6targetE0EEEvS14_ ; -- Begin function _ZN7rocprim17ROCPRIM_400000_NS6detail17trampoline_kernelINS0_14default_configENS1_22reduce_config_selectorIN6thrust23THRUST_200600_302600_NS5tupleIblNS6_9null_typeES8_S8_S8_S8_S8_S8_S8_EEEEZNS1_11reduce_implILb1ES3_NS6_12zip_iteratorINS7_INS6_11hip_rocprim26transform_input_iterator_tIbNSD_35transform_pair_of_input_iterators_tIbNS6_6detail15normal_iteratorINS6_10device_ptrIKxEEEESL_NS6_8equal_toIxEEEENSG_9not_fun_tINSD_8identityEEEEENSD_19counting_iterator_tIlEES8_S8_S8_S8_S8_S8_S8_S8_EEEEPS9_S9_NSD_9__find_if7functorIS9_EEEE10hipError_tPvRmT1_T2_T3_mT4_P12ihipStream_tbEUlT_E0_NS1_11comp_targetILNS1_3genE10ELNS1_11target_archE1200ELNS1_3gpuE4ELNS1_3repE0EEENS1_30default_config_static_selectorELNS0_4arch9wavefront6targetE0EEEvS14_
	.globl	_ZN7rocprim17ROCPRIM_400000_NS6detail17trampoline_kernelINS0_14default_configENS1_22reduce_config_selectorIN6thrust23THRUST_200600_302600_NS5tupleIblNS6_9null_typeES8_S8_S8_S8_S8_S8_S8_EEEEZNS1_11reduce_implILb1ES3_NS6_12zip_iteratorINS7_INS6_11hip_rocprim26transform_input_iterator_tIbNSD_35transform_pair_of_input_iterators_tIbNS6_6detail15normal_iteratorINS6_10device_ptrIKxEEEESL_NS6_8equal_toIxEEEENSG_9not_fun_tINSD_8identityEEEEENSD_19counting_iterator_tIlEES8_S8_S8_S8_S8_S8_S8_S8_EEEEPS9_S9_NSD_9__find_if7functorIS9_EEEE10hipError_tPvRmT1_T2_T3_mT4_P12ihipStream_tbEUlT_E0_NS1_11comp_targetILNS1_3genE10ELNS1_11target_archE1200ELNS1_3gpuE4ELNS1_3repE0EEENS1_30default_config_static_selectorELNS0_4arch9wavefront6targetE0EEEvS14_
	.p2align	8
	.type	_ZN7rocprim17ROCPRIM_400000_NS6detail17trampoline_kernelINS0_14default_configENS1_22reduce_config_selectorIN6thrust23THRUST_200600_302600_NS5tupleIblNS6_9null_typeES8_S8_S8_S8_S8_S8_S8_EEEEZNS1_11reduce_implILb1ES3_NS6_12zip_iteratorINS7_INS6_11hip_rocprim26transform_input_iterator_tIbNSD_35transform_pair_of_input_iterators_tIbNS6_6detail15normal_iteratorINS6_10device_ptrIKxEEEESL_NS6_8equal_toIxEEEENSG_9not_fun_tINSD_8identityEEEEENSD_19counting_iterator_tIlEES8_S8_S8_S8_S8_S8_S8_S8_EEEEPS9_S9_NSD_9__find_if7functorIS9_EEEE10hipError_tPvRmT1_T2_T3_mT4_P12ihipStream_tbEUlT_E0_NS1_11comp_targetILNS1_3genE10ELNS1_11target_archE1200ELNS1_3gpuE4ELNS1_3repE0EEENS1_30default_config_static_selectorELNS0_4arch9wavefront6targetE0EEEvS14_,@function
_ZN7rocprim17ROCPRIM_400000_NS6detail17trampoline_kernelINS0_14default_configENS1_22reduce_config_selectorIN6thrust23THRUST_200600_302600_NS5tupleIblNS6_9null_typeES8_S8_S8_S8_S8_S8_S8_EEEEZNS1_11reduce_implILb1ES3_NS6_12zip_iteratorINS7_INS6_11hip_rocprim26transform_input_iterator_tIbNSD_35transform_pair_of_input_iterators_tIbNS6_6detail15normal_iteratorINS6_10device_ptrIKxEEEESL_NS6_8equal_toIxEEEENSG_9not_fun_tINSD_8identityEEEEENSD_19counting_iterator_tIlEES8_S8_S8_S8_S8_S8_S8_S8_EEEEPS9_S9_NSD_9__find_if7functorIS9_EEEE10hipError_tPvRmT1_T2_T3_mT4_P12ihipStream_tbEUlT_E0_NS1_11comp_targetILNS1_3genE10ELNS1_11target_archE1200ELNS1_3gpuE4ELNS1_3repE0EEENS1_30default_config_static_selectorELNS0_4arch9wavefront6targetE0EEEvS14_: ; @_ZN7rocprim17ROCPRIM_400000_NS6detail17trampoline_kernelINS0_14default_configENS1_22reduce_config_selectorIN6thrust23THRUST_200600_302600_NS5tupleIblNS6_9null_typeES8_S8_S8_S8_S8_S8_S8_EEEEZNS1_11reduce_implILb1ES3_NS6_12zip_iteratorINS7_INS6_11hip_rocprim26transform_input_iterator_tIbNSD_35transform_pair_of_input_iterators_tIbNS6_6detail15normal_iteratorINS6_10device_ptrIKxEEEESL_NS6_8equal_toIxEEEENSG_9not_fun_tINSD_8identityEEEEENSD_19counting_iterator_tIlEES8_S8_S8_S8_S8_S8_S8_S8_EEEEPS9_S9_NSD_9__find_if7functorIS9_EEEE10hipError_tPvRmT1_T2_T3_mT4_P12ihipStream_tbEUlT_E0_NS1_11comp_targetILNS1_3genE10ELNS1_11target_archE1200ELNS1_3gpuE4ELNS1_3repE0EEENS1_30default_config_static_selectorELNS0_4arch9wavefront6targetE0EEEvS14_
; %bb.0:
	.section	.rodata,"a",@progbits
	.p2align	6, 0x0
	.amdhsa_kernel _ZN7rocprim17ROCPRIM_400000_NS6detail17trampoline_kernelINS0_14default_configENS1_22reduce_config_selectorIN6thrust23THRUST_200600_302600_NS5tupleIblNS6_9null_typeES8_S8_S8_S8_S8_S8_S8_EEEEZNS1_11reduce_implILb1ES3_NS6_12zip_iteratorINS7_INS6_11hip_rocprim26transform_input_iterator_tIbNSD_35transform_pair_of_input_iterators_tIbNS6_6detail15normal_iteratorINS6_10device_ptrIKxEEEESL_NS6_8equal_toIxEEEENSG_9not_fun_tINSD_8identityEEEEENSD_19counting_iterator_tIlEES8_S8_S8_S8_S8_S8_S8_S8_EEEEPS9_S9_NSD_9__find_if7functorIS9_EEEE10hipError_tPvRmT1_T2_T3_mT4_P12ihipStream_tbEUlT_E0_NS1_11comp_targetILNS1_3genE10ELNS1_11target_archE1200ELNS1_3gpuE4ELNS1_3repE0EEENS1_30default_config_static_selectorELNS0_4arch9wavefront6targetE0EEEvS14_
		.amdhsa_group_segment_fixed_size 0
		.amdhsa_private_segment_fixed_size 0
		.amdhsa_kernarg_size 104
		.amdhsa_user_sgpr_count 6
		.amdhsa_user_sgpr_private_segment_buffer 1
		.amdhsa_user_sgpr_dispatch_ptr 0
		.amdhsa_user_sgpr_queue_ptr 0
		.amdhsa_user_sgpr_kernarg_segment_ptr 1
		.amdhsa_user_sgpr_dispatch_id 0
		.amdhsa_user_sgpr_flat_scratch_init 0
		.amdhsa_user_sgpr_private_segment_size 0
		.amdhsa_wavefront_size32 1
		.amdhsa_uses_dynamic_stack 0
		.amdhsa_system_sgpr_private_segment_wavefront_offset 0
		.amdhsa_system_sgpr_workgroup_id_x 1
		.amdhsa_system_sgpr_workgroup_id_y 0
		.amdhsa_system_sgpr_workgroup_id_z 0
		.amdhsa_system_sgpr_workgroup_info 0
		.amdhsa_system_vgpr_workitem_id 0
		.amdhsa_next_free_vgpr 1
		.amdhsa_next_free_sgpr 1
		.amdhsa_reserve_vcc 0
		.amdhsa_reserve_flat_scratch 0
		.amdhsa_float_round_mode_32 0
		.amdhsa_float_round_mode_16_64 0
		.amdhsa_float_denorm_mode_32 3
		.amdhsa_float_denorm_mode_16_64 3
		.amdhsa_dx10_clamp 1
		.amdhsa_ieee_mode 1
		.amdhsa_fp16_overflow 0
		.amdhsa_workgroup_processor_mode 1
		.amdhsa_memory_ordered 1
		.amdhsa_forward_progress 1
		.amdhsa_shared_vgpr_count 0
		.amdhsa_exception_fp_ieee_invalid_op 0
		.amdhsa_exception_fp_denorm_src 0
		.amdhsa_exception_fp_ieee_div_zero 0
		.amdhsa_exception_fp_ieee_overflow 0
		.amdhsa_exception_fp_ieee_underflow 0
		.amdhsa_exception_fp_ieee_inexact 0
		.amdhsa_exception_int_div_zero 0
	.end_amdhsa_kernel
	.section	.text._ZN7rocprim17ROCPRIM_400000_NS6detail17trampoline_kernelINS0_14default_configENS1_22reduce_config_selectorIN6thrust23THRUST_200600_302600_NS5tupleIblNS6_9null_typeES8_S8_S8_S8_S8_S8_S8_EEEEZNS1_11reduce_implILb1ES3_NS6_12zip_iteratorINS7_INS6_11hip_rocprim26transform_input_iterator_tIbNSD_35transform_pair_of_input_iterators_tIbNS6_6detail15normal_iteratorINS6_10device_ptrIKxEEEESL_NS6_8equal_toIxEEEENSG_9not_fun_tINSD_8identityEEEEENSD_19counting_iterator_tIlEES8_S8_S8_S8_S8_S8_S8_S8_EEEEPS9_S9_NSD_9__find_if7functorIS9_EEEE10hipError_tPvRmT1_T2_T3_mT4_P12ihipStream_tbEUlT_E0_NS1_11comp_targetILNS1_3genE10ELNS1_11target_archE1200ELNS1_3gpuE4ELNS1_3repE0EEENS1_30default_config_static_selectorELNS0_4arch9wavefront6targetE0EEEvS14_,"axG",@progbits,_ZN7rocprim17ROCPRIM_400000_NS6detail17trampoline_kernelINS0_14default_configENS1_22reduce_config_selectorIN6thrust23THRUST_200600_302600_NS5tupleIblNS6_9null_typeES8_S8_S8_S8_S8_S8_S8_EEEEZNS1_11reduce_implILb1ES3_NS6_12zip_iteratorINS7_INS6_11hip_rocprim26transform_input_iterator_tIbNSD_35transform_pair_of_input_iterators_tIbNS6_6detail15normal_iteratorINS6_10device_ptrIKxEEEESL_NS6_8equal_toIxEEEENSG_9not_fun_tINSD_8identityEEEEENSD_19counting_iterator_tIlEES8_S8_S8_S8_S8_S8_S8_S8_EEEEPS9_S9_NSD_9__find_if7functorIS9_EEEE10hipError_tPvRmT1_T2_T3_mT4_P12ihipStream_tbEUlT_E0_NS1_11comp_targetILNS1_3genE10ELNS1_11target_archE1200ELNS1_3gpuE4ELNS1_3repE0EEENS1_30default_config_static_selectorELNS0_4arch9wavefront6targetE0EEEvS14_,comdat
.Lfunc_end231:
	.size	_ZN7rocprim17ROCPRIM_400000_NS6detail17trampoline_kernelINS0_14default_configENS1_22reduce_config_selectorIN6thrust23THRUST_200600_302600_NS5tupleIblNS6_9null_typeES8_S8_S8_S8_S8_S8_S8_EEEEZNS1_11reduce_implILb1ES3_NS6_12zip_iteratorINS7_INS6_11hip_rocprim26transform_input_iterator_tIbNSD_35transform_pair_of_input_iterators_tIbNS6_6detail15normal_iteratorINS6_10device_ptrIKxEEEESL_NS6_8equal_toIxEEEENSG_9not_fun_tINSD_8identityEEEEENSD_19counting_iterator_tIlEES8_S8_S8_S8_S8_S8_S8_S8_EEEEPS9_S9_NSD_9__find_if7functorIS9_EEEE10hipError_tPvRmT1_T2_T3_mT4_P12ihipStream_tbEUlT_E0_NS1_11comp_targetILNS1_3genE10ELNS1_11target_archE1200ELNS1_3gpuE4ELNS1_3repE0EEENS1_30default_config_static_selectorELNS0_4arch9wavefront6targetE0EEEvS14_, .Lfunc_end231-_ZN7rocprim17ROCPRIM_400000_NS6detail17trampoline_kernelINS0_14default_configENS1_22reduce_config_selectorIN6thrust23THRUST_200600_302600_NS5tupleIblNS6_9null_typeES8_S8_S8_S8_S8_S8_S8_EEEEZNS1_11reduce_implILb1ES3_NS6_12zip_iteratorINS7_INS6_11hip_rocprim26transform_input_iterator_tIbNSD_35transform_pair_of_input_iterators_tIbNS6_6detail15normal_iteratorINS6_10device_ptrIKxEEEESL_NS6_8equal_toIxEEEENSG_9not_fun_tINSD_8identityEEEEENSD_19counting_iterator_tIlEES8_S8_S8_S8_S8_S8_S8_S8_EEEEPS9_S9_NSD_9__find_if7functorIS9_EEEE10hipError_tPvRmT1_T2_T3_mT4_P12ihipStream_tbEUlT_E0_NS1_11comp_targetILNS1_3genE10ELNS1_11target_archE1200ELNS1_3gpuE4ELNS1_3repE0EEENS1_30default_config_static_selectorELNS0_4arch9wavefront6targetE0EEEvS14_
                                        ; -- End function
	.set _ZN7rocprim17ROCPRIM_400000_NS6detail17trampoline_kernelINS0_14default_configENS1_22reduce_config_selectorIN6thrust23THRUST_200600_302600_NS5tupleIblNS6_9null_typeES8_S8_S8_S8_S8_S8_S8_EEEEZNS1_11reduce_implILb1ES3_NS6_12zip_iteratorINS7_INS6_11hip_rocprim26transform_input_iterator_tIbNSD_35transform_pair_of_input_iterators_tIbNS6_6detail15normal_iteratorINS6_10device_ptrIKxEEEESL_NS6_8equal_toIxEEEENSG_9not_fun_tINSD_8identityEEEEENSD_19counting_iterator_tIlEES8_S8_S8_S8_S8_S8_S8_S8_EEEEPS9_S9_NSD_9__find_if7functorIS9_EEEE10hipError_tPvRmT1_T2_T3_mT4_P12ihipStream_tbEUlT_E0_NS1_11comp_targetILNS1_3genE10ELNS1_11target_archE1200ELNS1_3gpuE4ELNS1_3repE0EEENS1_30default_config_static_selectorELNS0_4arch9wavefront6targetE0EEEvS14_.num_vgpr, 0
	.set _ZN7rocprim17ROCPRIM_400000_NS6detail17trampoline_kernelINS0_14default_configENS1_22reduce_config_selectorIN6thrust23THRUST_200600_302600_NS5tupleIblNS6_9null_typeES8_S8_S8_S8_S8_S8_S8_EEEEZNS1_11reduce_implILb1ES3_NS6_12zip_iteratorINS7_INS6_11hip_rocprim26transform_input_iterator_tIbNSD_35transform_pair_of_input_iterators_tIbNS6_6detail15normal_iteratorINS6_10device_ptrIKxEEEESL_NS6_8equal_toIxEEEENSG_9not_fun_tINSD_8identityEEEEENSD_19counting_iterator_tIlEES8_S8_S8_S8_S8_S8_S8_S8_EEEEPS9_S9_NSD_9__find_if7functorIS9_EEEE10hipError_tPvRmT1_T2_T3_mT4_P12ihipStream_tbEUlT_E0_NS1_11comp_targetILNS1_3genE10ELNS1_11target_archE1200ELNS1_3gpuE4ELNS1_3repE0EEENS1_30default_config_static_selectorELNS0_4arch9wavefront6targetE0EEEvS14_.num_agpr, 0
	.set _ZN7rocprim17ROCPRIM_400000_NS6detail17trampoline_kernelINS0_14default_configENS1_22reduce_config_selectorIN6thrust23THRUST_200600_302600_NS5tupleIblNS6_9null_typeES8_S8_S8_S8_S8_S8_S8_EEEEZNS1_11reduce_implILb1ES3_NS6_12zip_iteratorINS7_INS6_11hip_rocprim26transform_input_iterator_tIbNSD_35transform_pair_of_input_iterators_tIbNS6_6detail15normal_iteratorINS6_10device_ptrIKxEEEESL_NS6_8equal_toIxEEEENSG_9not_fun_tINSD_8identityEEEEENSD_19counting_iterator_tIlEES8_S8_S8_S8_S8_S8_S8_S8_EEEEPS9_S9_NSD_9__find_if7functorIS9_EEEE10hipError_tPvRmT1_T2_T3_mT4_P12ihipStream_tbEUlT_E0_NS1_11comp_targetILNS1_3genE10ELNS1_11target_archE1200ELNS1_3gpuE4ELNS1_3repE0EEENS1_30default_config_static_selectorELNS0_4arch9wavefront6targetE0EEEvS14_.numbered_sgpr, 0
	.set _ZN7rocprim17ROCPRIM_400000_NS6detail17trampoline_kernelINS0_14default_configENS1_22reduce_config_selectorIN6thrust23THRUST_200600_302600_NS5tupleIblNS6_9null_typeES8_S8_S8_S8_S8_S8_S8_EEEEZNS1_11reduce_implILb1ES3_NS6_12zip_iteratorINS7_INS6_11hip_rocprim26transform_input_iterator_tIbNSD_35transform_pair_of_input_iterators_tIbNS6_6detail15normal_iteratorINS6_10device_ptrIKxEEEESL_NS6_8equal_toIxEEEENSG_9not_fun_tINSD_8identityEEEEENSD_19counting_iterator_tIlEES8_S8_S8_S8_S8_S8_S8_S8_EEEEPS9_S9_NSD_9__find_if7functorIS9_EEEE10hipError_tPvRmT1_T2_T3_mT4_P12ihipStream_tbEUlT_E0_NS1_11comp_targetILNS1_3genE10ELNS1_11target_archE1200ELNS1_3gpuE4ELNS1_3repE0EEENS1_30default_config_static_selectorELNS0_4arch9wavefront6targetE0EEEvS14_.num_named_barrier, 0
	.set _ZN7rocprim17ROCPRIM_400000_NS6detail17trampoline_kernelINS0_14default_configENS1_22reduce_config_selectorIN6thrust23THRUST_200600_302600_NS5tupleIblNS6_9null_typeES8_S8_S8_S8_S8_S8_S8_EEEEZNS1_11reduce_implILb1ES3_NS6_12zip_iteratorINS7_INS6_11hip_rocprim26transform_input_iterator_tIbNSD_35transform_pair_of_input_iterators_tIbNS6_6detail15normal_iteratorINS6_10device_ptrIKxEEEESL_NS6_8equal_toIxEEEENSG_9not_fun_tINSD_8identityEEEEENSD_19counting_iterator_tIlEES8_S8_S8_S8_S8_S8_S8_S8_EEEEPS9_S9_NSD_9__find_if7functorIS9_EEEE10hipError_tPvRmT1_T2_T3_mT4_P12ihipStream_tbEUlT_E0_NS1_11comp_targetILNS1_3genE10ELNS1_11target_archE1200ELNS1_3gpuE4ELNS1_3repE0EEENS1_30default_config_static_selectorELNS0_4arch9wavefront6targetE0EEEvS14_.private_seg_size, 0
	.set _ZN7rocprim17ROCPRIM_400000_NS6detail17trampoline_kernelINS0_14default_configENS1_22reduce_config_selectorIN6thrust23THRUST_200600_302600_NS5tupleIblNS6_9null_typeES8_S8_S8_S8_S8_S8_S8_EEEEZNS1_11reduce_implILb1ES3_NS6_12zip_iteratorINS7_INS6_11hip_rocprim26transform_input_iterator_tIbNSD_35transform_pair_of_input_iterators_tIbNS6_6detail15normal_iteratorINS6_10device_ptrIKxEEEESL_NS6_8equal_toIxEEEENSG_9not_fun_tINSD_8identityEEEEENSD_19counting_iterator_tIlEES8_S8_S8_S8_S8_S8_S8_S8_EEEEPS9_S9_NSD_9__find_if7functorIS9_EEEE10hipError_tPvRmT1_T2_T3_mT4_P12ihipStream_tbEUlT_E0_NS1_11comp_targetILNS1_3genE10ELNS1_11target_archE1200ELNS1_3gpuE4ELNS1_3repE0EEENS1_30default_config_static_selectorELNS0_4arch9wavefront6targetE0EEEvS14_.uses_vcc, 0
	.set _ZN7rocprim17ROCPRIM_400000_NS6detail17trampoline_kernelINS0_14default_configENS1_22reduce_config_selectorIN6thrust23THRUST_200600_302600_NS5tupleIblNS6_9null_typeES8_S8_S8_S8_S8_S8_S8_EEEEZNS1_11reduce_implILb1ES3_NS6_12zip_iteratorINS7_INS6_11hip_rocprim26transform_input_iterator_tIbNSD_35transform_pair_of_input_iterators_tIbNS6_6detail15normal_iteratorINS6_10device_ptrIKxEEEESL_NS6_8equal_toIxEEEENSG_9not_fun_tINSD_8identityEEEEENSD_19counting_iterator_tIlEES8_S8_S8_S8_S8_S8_S8_S8_EEEEPS9_S9_NSD_9__find_if7functorIS9_EEEE10hipError_tPvRmT1_T2_T3_mT4_P12ihipStream_tbEUlT_E0_NS1_11comp_targetILNS1_3genE10ELNS1_11target_archE1200ELNS1_3gpuE4ELNS1_3repE0EEENS1_30default_config_static_selectorELNS0_4arch9wavefront6targetE0EEEvS14_.uses_flat_scratch, 0
	.set _ZN7rocprim17ROCPRIM_400000_NS6detail17trampoline_kernelINS0_14default_configENS1_22reduce_config_selectorIN6thrust23THRUST_200600_302600_NS5tupleIblNS6_9null_typeES8_S8_S8_S8_S8_S8_S8_EEEEZNS1_11reduce_implILb1ES3_NS6_12zip_iteratorINS7_INS6_11hip_rocprim26transform_input_iterator_tIbNSD_35transform_pair_of_input_iterators_tIbNS6_6detail15normal_iteratorINS6_10device_ptrIKxEEEESL_NS6_8equal_toIxEEEENSG_9not_fun_tINSD_8identityEEEEENSD_19counting_iterator_tIlEES8_S8_S8_S8_S8_S8_S8_S8_EEEEPS9_S9_NSD_9__find_if7functorIS9_EEEE10hipError_tPvRmT1_T2_T3_mT4_P12ihipStream_tbEUlT_E0_NS1_11comp_targetILNS1_3genE10ELNS1_11target_archE1200ELNS1_3gpuE4ELNS1_3repE0EEENS1_30default_config_static_selectorELNS0_4arch9wavefront6targetE0EEEvS14_.has_dyn_sized_stack, 0
	.set _ZN7rocprim17ROCPRIM_400000_NS6detail17trampoline_kernelINS0_14default_configENS1_22reduce_config_selectorIN6thrust23THRUST_200600_302600_NS5tupleIblNS6_9null_typeES8_S8_S8_S8_S8_S8_S8_EEEEZNS1_11reduce_implILb1ES3_NS6_12zip_iteratorINS7_INS6_11hip_rocprim26transform_input_iterator_tIbNSD_35transform_pair_of_input_iterators_tIbNS6_6detail15normal_iteratorINS6_10device_ptrIKxEEEESL_NS6_8equal_toIxEEEENSG_9not_fun_tINSD_8identityEEEEENSD_19counting_iterator_tIlEES8_S8_S8_S8_S8_S8_S8_S8_EEEEPS9_S9_NSD_9__find_if7functorIS9_EEEE10hipError_tPvRmT1_T2_T3_mT4_P12ihipStream_tbEUlT_E0_NS1_11comp_targetILNS1_3genE10ELNS1_11target_archE1200ELNS1_3gpuE4ELNS1_3repE0EEENS1_30default_config_static_selectorELNS0_4arch9wavefront6targetE0EEEvS14_.has_recursion, 0
	.set _ZN7rocprim17ROCPRIM_400000_NS6detail17trampoline_kernelINS0_14default_configENS1_22reduce_config_selectorIN6thrust23THRUST_200600_302600_NS5tupleIblNS6_9null_typeES8_S8_S8_S8_S8_S8_S8_EEEEZNS1_11reduce_implILb1ES3_NS6_12zip_iteratorINS7_INS6_11hip_rocprim26transform_input_iterator_tIbNSD_35transform_pair_of_input_iterators_tIbNS6_6detail15normal_iteratorINS6_10device_ptrIKxEEEESL_NS6_8equal_toIxEEEENSG_9not_fun_tINSD_8identityEEEEENSD_19counting_iterator_tIlEES8_S8_S8_S8_S8_S8_S8_S8_EEEEPS9_S9_NSD_9__find_if7functorIS9_EEEE10hipError_tPvRmT1_T2_T3_mT4_P12ihipStream_tbEUlT_E0_NS1_11comp_targetILNS1_3genE10ELNS1_11target_archE1200ELNS1_3gpuE4ELNS1_3repE0EEENS1_30default_config_static_selectorELNS0_4arch9wavefront6targetE0EEEvS14_.has_indirect_call, 0
	.section	.AMDGPU.csdata,"",@progbits
; Kernel info:
; codeLenInByte = 0
; TotalNumSgprs: 0
; NumVgprs: 0
; ScratchSize: 0
; MemoryBound: 0
; FloatMode: 240
; IeeeMode: 1
; LDSByteSize: 0 bytes/workgroup (compile time only)
; SGPRBlocks: 0
; VGPRBlocks: 0
; NumSGPRsForWavesPerEU: 1
; NumVGPRsForWavesPerEU: 1
; Occupancy: 16
; WaveLimiterHint : 0
; COMPUTE_PGM_RSRC2:SCRATCH_EN: 0
; COMPUTE_PGM_RSRC2:USER_SGPR: 6
; COMPUTE_PGM_RSRC2:TRAP_HANDLER: 0
; COMPUTE_PGM_RSRC2:TGID_X_EN: 1
; COMPUTE_PGM_RSRC2:TGID_Y_EN: 0
; COMPUTE_PGM_RSRC2:TGID_Z_EN: 0
; COMPUTE_PGM_RSRC2:TIDIG_COMP_CNT: 0
	.section	.text._ZN7rocprim17ROCPRIM_400000_NS6detail17trampoline_kernelINS0_14default_configENS1_22reduce_config_selectorIN6thrust23THRUST_200600_302600_NS5tupleIblNS6_9null_typeES8_S8_S8_S8_S8_S8_S8_EEEEZNS1_11reduce_implILb1ES3_NS6_12zip_iteratorINS7_INS6_11hip_rocprim26transform_input_iterator_tIbNSD_35transform_pair_of_input_iterators_tIbNS6_6detail15normal_iteratorINS6_10device_ptrIKxEEEESL_NS6_8equal_toIxEEEENSG_9not_fun_tINSD_8identityEEEEENSD_19counting_iterator_tIlEES8_S8_S8_S8_S8_S8_S8_S8_EEEEPS9_S9_NSD_9__find_if7functorIS9_EEEE10hipError_tPvRmT1_T2_T3_mT4_P12ihipStream_tbEUlT_E0_NS1_11comp_targetILNS1_3genE9ELNS1_11target_archE1100ELNS1_3gpuE3ELNS1_3repE0EEENS1_30default_config_static_selectorELNS0_4arch9wavefront6targetE0EEEvS14_,"axG",@progbits,_ZN7rocprim17ROCPRIM_400000_NS6detail17trampoline_kernelINS0_14default_configENS1_22reduce_config_selectorIN6thrust23THRUST_200600_302600_NS5tupleIblNS6_9null_typeES8_S8_S8_S8_S8_S8_S8_EEEEZNS1_11reduce_implILb1ES3_NS6_12zip_iteratorINS7_INS6_11hip_rocprim26transform_input_iterator_tIbNSD_35transform_pair_of_input_iterators_tIbNS6_6detail15normal_iteratorINS6_10device_ptrIKxEEEESL_NS6_8equal_toIxEEEENSG_9not_fun_tINSD_8identityEEEEENSD_19counting_iterator_tIlEES8_S8_S8_S8_S8_S8_S8_S8_EEEEPS9_S9_NSD_9__find_if7functorIS9_EEEE10hipError_tPvRmT1_T2_T3_mT4_P12ihipStream_tbEUlT_E0_NS1_11comp_targetILNS1_3genE9ELNS1_11target_archE1100ELNS1_3gpuE3ELNS1_3repE0EEENS1_30default_config_static_selectorELNS0_4arch9wavefront6targetE0EEEvS14_,comdat
	.protected	_ZN7rocprim17ROCPRIM_400000_NS6detail17trampoline_kernelINS0_14default_configENS1_22reduce_config_selectorIN6thrust23THRUST_200600_302600_NS5tupleIblNS6_9null_typeES8_S8_S8_S8_S8_S8_S8_EEEEZNS1_11reduce_implILb1ES3_NS6_12zip_iteratorINS7_INS6_11hip_rocprim26transform_input_iterator_tIbNSD_35transform_pair_of_input_iterators_tIbNS6_6detail15normal_iteratorINS6_10device_ptrIKxEEEESL_NS6_8equal_toIxEEEENSG_9not_fun_tINSD_8identityEEEEENSD_19counting_iterator_tIlEES8_S8_S8_S8_S8_S8_S8_S8_EEEEPS9_S9_NSD_9__find_if7functorIS9_EEEE10hipError_tPvRmT1_T2_T3_mT4_P12ihipStream_tbEUlT_E0_NS1_11comp_targetILNS1_3genE9ELNS1_11target_archE1100ELNS1_3gpuE3ELNS1_3repE0EEENS1_30default_config_static_selectorELNS0_4arch9wavefront6targetE0EEEvS14_ ; -- Begin function _ZN7rocprim17ROCPRIM_400000_NS6detail17trampoline_kernelINS0_14default_configENS1_22reduce_config_selectorIN6thrust23THRUST_200600_302600_NS5tupleIblNS6_9null_typeES8_S8_S8_S8_S8_S8_S8_EEEEZNS1_11reduce_implILb1ES3_NS6_12zip_iteratorINS7_INS6_11hip_rocprim26transform_input_iterator_tIbNSD_35transform_pair_of_input_iterators_tIbNS6_6detail15normal_iteratorINS6_10device_ptrIKxEEEESL_NS6_8equal_toIxEEEENSG_9not_fun_tINSD_8identityEEEEENSD_19counting_iterator_tIlEES8_S8_S8_S8_S8_S8_S8_S8_EEEEPS9_S9_NSD_9__find_if7functorIS9_EEEE10hipError_tPvRmT1_T2_T3_mT4_P12ihipStream_tbEUlT_E0_NS1_11comp_targetILNS1_3genE9ELNS1_11target_archE1100ELNS1_3gpuE3ELNS1_3repE0EEENS1_30default_config_static_selectorELNS0_4arch9wavefront6targetE0EEEvS14_
	.globl	_ZN7rocprim17ROCPRIM_400000_NS6detail17trampoline_kernelINS0_14default_configENS1_22reduce_config_selectorIN6thrust23THRUST_200600_302600_NS5tupleIblNS6_9null_typeES8_S8_S8_S8_S8_S8_S8_EEEEZNS1_11reduce_implILb1ES3_NS6_12zip_iteratorINS7_INS6_11hip_rocprim26transform_input_iterator_tIbNSD_35transform_pair_of_input_iterators_tIbNS6_6detail15normal_iteratorINS6_10device_ptrIKxEEEESL_NS6_8equal_toIxEEEENSG_9not_fun_tINSD_8identityEEEEENSD_19counting_iterator_tIlEES8_S8_S8_S8_S8_S8_S8_S8_EEEEPS9_S9_NSD_9__find_if7functorIS9_EEEE10hipError_tPvRmT1_T2_T3_mT4_P12ihipStream_tbEUlT_E0_NS1_11comp_targetILNS1_3genE9ELNS1_11target_archE1100ELNS1_3gpuE3ELNS1_3repE0EEENS1_30default_config_static_selectorELNS0_4arch9wavefront6targetE0EEEvS14_
	.p2align	8
	.type	_ZN7rocprim17ROCPRIM_400000_NS6detail17trampoline_kernelINS0_14default_configENS1_22reduce_config_selectorIN6thrust23THRUST_200600_302600_NS5tupleIblNS6_9null_typeES8_S8_S8_S8_S8_S8_S8_EEEEZNS1_11reduce_implILb1ES3_NS6_12zip_iteratorINS7_INS6_11hip_rocprim26transform_input_iterator_tIbNSD_35transform_pair_of_input_iterators_tIbNS6_6detail15normal_iteratorINS6_10device_ptrIKxEEEESL_NS6_8equal_toIxEEEENSG_9not_fun_tINSD_8identityEEEEENSD_19counting_iterator_tIlEES8_S8_S8_S8_S8_S8_S8_S8_EEEEPS9_S9_NSD_9__find_if7functorIS9_EEEE10hipError_tPvRmT1_T2_T3_mT4_P12ihipStream_tbEUlT_E0_NS1_11comp_targetILNS1_3genE9ELNS1_11target_archE1100ELNS1_3gpuE3ELNS1_3repE0EEENS1_30default_config_static_selectorELNS0_4arch9wavefront6targetE0EEEvS14_,@function
_ZN7rocprim17ROCPRIM_400000_NS6detail17trampoline_kernelINS0_14default_configENS1_22reduce_config_selectorIN6thrust23THRUST_200600_302600_NS5tupleIblNS6_9null_typeES8_S8_S8_S8_S8_S8_S8_EEEEZNS1_11reduce_implILb1ES3_NS6_12zip_iteratorINS7_INS6_11hip_rocprim26transform_input_iterator_tIbNSD_35transform_pair_of_input_iterators_tIbNS6_6detail15normal_iteratorINS6_10device_ptrIKxEEEESL_NS6_8equal_toIxEEEENSG_9not_fun_tINSD_8identityEEEEENSD_19counting_iterator_tIlEES8_S8_S8_S8_S8_S8_S8_S8_EEEEPS9_S9_NSD_9__find_if7functorIS9_EEEE10hipError_tPvRmT1_T2_T3_mT4_P12ihipStream_tbEUlT_E0_NS1_11comp_targetILNS1_3genE9ELNS1_11target_archE1100ELNS1_3gpuE3ELNS1_3repE0EEENS1_30default_config_static_selectorELNS0_4arch9wavefront6targetE0EEEvS14_: ; @_ZN7rocprim17ROCPRIM_400000_NS6detail17trampoline_kernelINS0_14default_configENS1_22reduce_config_selectorIN6thrust23THRUST_200600_302600_NS5tupleIblNS6_9null_typeES8_S8_S8_S8_S8_S8_S8_EEEEZNS1_11reduce_implILb1ES3_NS6_12zip_iteratorINS7_INS6_11hip_rocprim26transform_input_iterator_tIbNSD_35transform_pair_of_input_iterators_tIbNS6_6detail15normal_iteratorINS6_10device_ptrIKxEEEESL_NS6_8equal_toIxEEEENSG_9not_fun_tINSD_8identityEEEEENSD_19counting_iterator_tIlEES8_S8_S8_S8_S8_S8_S8_S8_EEEEPS9_S9_NSD_9__find_if7functorIS9_EEEE10hipError_tPvRmT1_T2_T3_mT4_P12ihipStream_tbEUlT_E0_NS1_11comp_targetILNS1_3genE9ELNS1_11target_archE1100ELNS1_3gpuE3ELNS1_3repE0EEENS1_30default_config_static_selectorELNS0_4arch9wavefront6targetE0EEEvS14_
; %bb.0:
	.section	.rodata,"a",@progbits
	.p2align	6, 0x0
	.amdhsa_kernel _ZN7rocprim17ROCPRIM_400000_NS6detail17trampoline_kernelINS0_14default_configENS1_22reduce_config_selectorIN6thrust23THRUST_200600_302600_NS5tupleIblNS6_9null_typeES8_S8_S8_S8_S8_S8_S8_EEEEZNS1_11reduce_implILb1ES3_NS6_12zip_iteratorINS7_INS6_11hip_rocprim26transform_input_iterator_tIbNSD_35transform_pair_of_input_iterators_tIbNS6_6detail15normal_iteratorINS6_10device_ptrIKxEEEESL_NS6_8equal_toIxEEEENSG_9not_fun_tINSD_8identityEEEEENSD_19counting_iterator_tIlEES8_S8_S8_S8_S8_S8_S8_S8_EEEEPS9_S9_NSD_9__find_if7functorIS9_EEEE10hipError_tPvRmT1_T2_T3_mT4_P12ihipStream_tbEUlT_E0_NS1_11comp_targetILNS1_3genE9ELNS1_11target_archE1100ELNS1_3gpuE3ELNS1_3repE0EEENS1_30default_config_static_selectorELNS0_4arch9wavefront6targetE0EEEvS14_
		.amdhsa_group_segment_fixed_size 0
		.amdhsa_private_segment_fixed_size 0
		.amdhsa_kernarg_size 104
		.amdhsa_user_sgpr_count 6
		.amdhsa_user_sgpr_private_segment_buffer 1
		.amdhsa_user_sgpr_dispatch_ptr 0
		.amdhsa_user_sgpr_queue_ptr 0
		.amdhsa_user_sgpr_kernarg_segment_ptr 1
		.amdhsa_user_sgpr_dispatch_id 0
		.amdhsa_user_sgpr_flat_scratch_init 0
		.amdhsa_user_sgpr_private_segment_size 0
		.amdhsa_wavefront_size32 1
		.amdhsa_uses_dynamic_stack 0
		.amdhsa_system_sgpr_private_segment_wavefront_offset 0
		.amdhsa_system_sgpr_workgroup_id_x 1
		.amdhsa_system_sgpr_workgroup_id_y 0
		.amdhsa_system_sgpr_workgroup_id_z 0
		.amdhsa_system_sgpr_workgroup_info 0
		.amdhsa_system_vgpr_workitem_id 0
		.amdhsa_next_free_vgpr 1
		.amdhsa_next_free_sgpr 1
		.amdhsa_reserve_vcc 0
		.amdhsa_reserve_flat_scratch 0
		.amdhsa_float_round_mode_32 0
		.amdhsa_float_round_mode_16_64 0
		.amdhsa_float_denorm_mode_32 3
		.amdhsa_float_denorm_mode_16_64 3
		.amdhsa_dx10_clamp 1
		.amdhsa_ieee_mode 1
		.amdhsa_fp16_overflow 0
		.amdhsa_workgroup_processor_mode 1
		.amdhsa_memory_ordered 1
		.amdhsa_forward_progress 1
		.amdhsa_shared_vgpr_count 0
		.amdhsa_exception_fp_ieee_invalid_op 0
		.amdhsa_exception_fp_denorm_src 0
		.amdhsa_exception_fp_ieee_div_zero 0
		.amdhsa_exception_fp_ieee_overflow 0
		.amdhsa_exception_fp_ieee_underflow 0
		.amdhsa_exception_fp_ieee_inexact 0
		.amdhsa_exception_int_div_zero 0
	.end_amdhsa_kernel
	.section	.text._ZN7rocprim17ROCPRIM_400000_NS6detail17trampoline_kernelINS0_14default_configENS1_22reduce_config_selectorIN6thrust23THRUST_200600_302600_NS5tupleIblNS6_9null_typeES8_S8_S8_S8_S8_S8_S8_EEEEZNS1_11reduce_implILb1ES3_NS6_12zip_iteratorINS7_INS6_11hip_rocprim26transform_input_iterator_tIbNSD_35transform_pair_of_input_iterators_tIbNS6_6detail15normal_iteratorINS6_10device_ptrIKxEEEESL_NS6_8equal_toIxEEEENSG_9not_fun_tINSD_8identityEEEEENSD_19counting_iterator_tIlEES8_S8_S8_S8_S8_S8_S8_S8_EEEEPS9_S9_NSD_9__find_if7functorIS9_EEEE10hipError_tPvRmT1_T2_T3_mT4_P12ihipStream_tbEUlT_E0_NS1_11comp_targetILNS1_3genE9ELNS1_11target_archE1100ELNS1_3gpuE3ELNS1_3repE0EEENS1_30default_config_static_selectorELNS0_4arch9wavefront6targetE0EEEvS14_,"axG",@progbits,_ZN7rocprim17ROCPRIM_400000_NS6detail17trampoline_kernelINS0_14default_configENS1_22reduce_config_selectorIN6thrust23THRUST_200600_302600_NS5tupleIblNS6_9null_typeES8_S8_S8_S8_S8_S8_S8_EEEEZNS1_11reduce_implILb1ES3_NS6_12zip_iteratorINS7_INS6_11hip_rocprim26transform_input_iterator_tIbNSD_35transform_pair_of_input_iterators_tIbNS6_6detail15normal_iteratorINS6_10device_ptrIKxEEEESL_NS6_8equal_toIxEEEENSG_9not_fun_tINSD_8identityEEEEENSD_19counting_iterator_tIlEES8_S8_S8_S8_S8_S8_S8_S8_EEEEPS9_S9_NSD_9__find_if7functorIS9_EEEE10hipError_tPvRmT1_T2_T3_mT4_P12ihipStream_tbEUlT_E0_NS1_11comp_targetILNS1_3genE9ELNS1_11target_archE1100ELNS1_3gpuE3ELNS1_3repE0EEENS1_30default_config_static_selectorELNS0_4arch9wavefront6targetE0EEEvS14_,comdat
.Lfunc_end232:
	.size	_ZN7rocprim17ROCPRIM_400000_NS6detail17trampoline_kernelINS0_14default_configENS1_22reduce_config_selectorIN6thrust23THRUST_200600_302600_NS5tupleIblNS6_9null_typeES8_S8_S8_S8_S8_S8_S8_EEEEZNS1_11reduce_implILb1ES3_NS6_12zip_iteratorINS7_INS6_11hip_rocprim26transform_input_iterator_tIbNSD_35transform_pair_of_input_iterators_tIbNS6_6detail15normal_iteratorINS6_10device_ptrIKxEEEESL_NS6_8equal_toIxEEEENSG_9not_fun_tINSD_8identityEEEEENSD_19counting_iterator_tIlEES8_S8_S8_S8_S8_S8_S8_S8_EEEEPS9_S9_NSD_9__find_if7functorIS9_EEEE10hipError_tPvRmT1_T2_T3_mT4_P12ihipStream_tbEUlT_E0_NS1_11comp_targetILNS1_3genE9ELNS1_11target_archE1100ELNS1_3gpuE3ELNS1_3repE0EEENS1_30default_config_static_selectorELNS0_4arch9wavefront6targetE0EEEvS14_, .Lfunc_end232-_ZN7rocprim17ROCPRIM_400000_NS6detail17trampoline_kernelINS0_14default_configENS1_22reduce_config_selectorIN6thrust23THRUST_200600_302600_NS5tupleIblNS6_9null_typeES8_S8_S8_S8_S8_S8_S8_EEEEZNS1_11reduce_implILb1ES3_NS6_12zip_iteratorINS7_INS6_11hip_rocprim26transform_input_iterator_tIbNSD_35transform_pair_of_input_iterators_tIbNS6_6detail15normal_iteratorINS6_10device_ptrIKxEEEESL_NS6_8equal_toIxEEEENSG_9not_fun_tINSD_8identityEEEEENSD_19counting_iterator_tIlEES8_S8_S8_S8_S8_S8_S8_S8_EEEEPS9_S9_NSD_9__find_if7functorIS9_EEEE10hipError_tPvRmT1_T2_T3_mT4_P12ihipStream_tbEUlT_E0_NS1_11comp_targetILNS1_3genE9ELNS1_11target_archE1100ELNS1_3gpuE3ELNS1_3repE0EEENS1_30default_config_static_selectorELNS0_4arch9wavefront6targetE0EEEvS14_
                                        ; -- End function
	.set _ZN7rocprim17ROCPRIM_400000_NS6detail17trampoline_kernelINS0_14default_configENS1_22reduce_config_selectorIN6thrust23THRUST_200600_302600_NS5tupleIblNS6_9null_typeES8_S8_S8_S8_S8_S8_S8_EEEEZNS1_11reduce_implILb1ES3_NS6_12zip_iteratorINS7_INS6_11hip_rocprim26transform_input_iterator_tIbNSD_35transform_pair_of_input_iterators_tIbNS6_6detail15normal_iteratorINS6_10device_ptrIKxEEEESL_NS6_8equal_toIxEEEENSG_9not_fun_tINSD_8identityEEEEENSD_19counting_iterator_tIlEES8_S8_S8_S8_S8_S8_S8_S8_EEEEPS9_S9_NSD_9__find_if7functorIS9_EEEE10hipError_tPvRmT1_T2_T3_mT4_P12ihipStream_tbEUlT_E0_NS1_11comp_targetILNS1_3genE9ELNS1_11target_archE1100ELNS1_3gpuE3ELNS1_3repE0EEENS1_30default_config_static_selectorELNS0_4arch9wavefront6targetE0EEEvS14_.num_vgpr, 0
	.set _ZN7rocprim17ROCPRIM_400000_NS6detail17trampoline_kernelINS0_14default_configENS1_22reduce_config_selectorIN6thrust23THRUST_200600_302600_NS5tupleIblNS6_9null_typeES8_S8_S8_S8_S8_S8_S8_EEEEZNS1_11reduce_implILb1ES3_NS6_12zip_iteratorINS7_INS6_11hip_rocprim26transform_input_iterator_tIbNSD_35transform_pair_of_input_iterators_tIbNS6_6detail15normal_iteratorINS6_10device_ptrIKxEEEESL_NS6_8equal_toIxEEEENSG_9not_fun_tINSD_8identityEEEEENSD_19counting_iterator_tIlEES8_S8_S8_S8_S8_S8_S8_S8_EEEEPS9_S9_NSD_9__find_if7functorIS9_EEEE10hipError_tPvRmT1_T2_T3_mT4_P12ihipStream_tbEUlT_E0_NS1_11comp_targetILNS1_3genE9ELNS1_11target_archE1100ELNS1_3gpuE3ELNS1_3repE0EEENS1_30default_config_static_selectorELNS0_4arch9wavefront6targetE0EEEvS14_.num_agpr, 0
	.set _ZN7rocprim17ROCPRIM_400000_NS6detail17trampoline_kernelINS0_14default_configENS1_22reduce_config_selectorIN6thrust23THRUST_200600_302600_NS5tupleIblNS6_9null_typeES8_S8_S8_S8_S8_S8_S8_EEEEZNS1_11reduce_implILb1ES3_NS6_12zip_iteratorINS7_INS6_11hip_rocprim26transform_input_iterator_tIbNSD_35transform_pair_of_input_iterators_tIbNS6_6detail15normal_iteratorINS6_10device_ptrIKxEEEESL_NS6_8equal_toIxEEEENSG_9not_fun_tINSD_8identityEEEEENSD_19counting_iterator_tIlEES8_S8_S8_S8_S8_S8_S8_S8_EEEEPS9_S9_NSD_9__find_if7functorIS9_EEEE10hipError_tPvRmT1_T2_T3_mT4_P12ihipStream_tbEUlT_E0_NS1_11comp_targetILNS1_3genE9ELNS1_11target_archE1100ELNS1_3gpuE3ELNS1_3repE0EEENS1_30default_config_static_selectorELNS0_4arch9wavefront6targetE0EEEvS14_.numbered_sgpr, 0
	.set _ZN7rocprim17ROCPRIM_400000_NS6detail17trampoline_kernelINS0_14default_configENS1_22reduce_config_selectorIN6thrust23THRUST_200600_302600_NS5tupleIblNS6_9null_typeES8_S8_S8_S8_S8_S8_S8_EEEEZNS1_11reduce_implILb1ES3_NS6_12zip_iteratorINS7_INS6_11hip_rocprim26transform_input_iterator_tIbNSD_35transform_pair_of_input_iterators_tIbNS6_6detail15normal_iteratorINS6_10device_ptrIKxEEEESL_NS6_8equal_toIxEEEENSG_9not_fun_tINSD_8identityEEEEENSD_19counting_iterator_tIlEES8_S8_S8_S8_S8_S8_S8_S8_EEEEPS9_S9_NSD_9__find_if7functorIS9_EEEE10hipError_tPvRmT1_T2_T3_mT4_P12ihipStream_tbEUlT_E0_NS1_11comp_targetILNS1_3genE9ELNS1_11target_archE1100ELNS1_3gpuE3ELNS1_3repE0EEENS1_30default_config_static_selectorELNS0_4arch9wavefront6targetE0EEEvS14_.num_named_barrier, 0
	.set _ZN7rocprim17ROCPRIM_400000_NS6detail17trampoline_kernelINS0_14default_configENS1_22reduce_config_selectorIN6thrust23THRUST_200600_302600_NS5tupleIblNS6_9null_typeES8_S8_S8_S8_S8_S8_S8_EEEEZNS1_11reduce_implILb1ES3_NS6_12zip_iteratorINS7_INS6_11hip_rocprim26transform_input_iterator_tIbNSD_35transform_pair_of_input_iterators_tIbNS6_6detail15normal_iteratorINS6_10device_ptrIKxEEEESL_NS6_8equal_toIxEEEENSG_9not_fun_tINSD_8identityEEEEENSD_19counting_iterator_tIlEES8_S8_S8_S8_S8_S8_S8_S8_EEEEPS9_S9_NSD_9__find_if7functorIS9_EEEE10hipError_tPvRmT1_T2_T3_mT4_P12ihipStream_tbEUlT_E0_NS1_11comp_targetILNS1_3genE9ELNS1_11target_archE1100ELNS1_3gpuE3ELNS1_3repE0EEENS1_30default_config_static_selectorELNS0_4arch9wavefront6targetE0EEEvS14_.private_seg_size, 0
	.set _ZN7rocprim17ROCPRIM_400000_NS6detail17trampoline_kernelINS0_14default_configENS1_22reduce_config_selectorIN6thrust23THRUST_200600_302600_NS5tupleIblNS6_9null_typeES8_S8_S8_S8_S8_S8_S8_EEEEZNS1_11reduce_implILb1ES3_NS6_12zip_iteratorINS7_INS6_11hip_rocprim26transform_input_iterator_tIbNSD_35transform_pair_of_input_iterators_tIbNS6_6detail15normal_iteratorINS6_10device_ptrIKxEEEESL_NS6_8equal_toIxEEEENSG_9not_fun_tINSD_8identityEEEEENSD_19counting_iterator_tIlEES8_S8_S8_S8_S8_S8_S8_S8_EEEEPS9_S9_NSD_9__find_if7functorIS9_EEEE10hipError_tPvRmT1_T2_T3_mT4_P12ihipStream_tbEUlT_E0_NS1_11comp_targetILNS1_3genE9ELNS1_11target_archE1100ELNS1_3gpuE3ELNS1_3repE0EEENS1_30default_config_static_selectorELNS0_4arch9wavefront6targetE0EEEvS14_.uses_vcc, 0
	.set _ZN7rocprim17ROCPRIM_400000_NS6detail17trampoline_kernelINS0_14default_configENS1_22reduce_config_selectorIN6thrust23THRUST_200600_302600_NS5tupleIblNS6_9null_typeES8_S8_S8_S8_S8_S8_S8_EEEEZNS1_11reduce_implILb1ES3_NS6_12zip_iteratorINS7_INS6_11hip_rocprim26transform_input_iterator_tIbNSD_35transform_pair_of_input_iterators_tIbNS6_6detail15normal_iteratorINS6_10device_ptrIKxEEEESL_NS6_8equal_toIxEEEENSG_9not_fun_tINSD_8identityEEEEENSD_19counting_iterator_tIlEES8_S8_S8_S8_S8_S8_S8_S8_EEEEPS9_S9_NSD_9__find_if7functorIS9_EEEE10hipError_tPvRmT1_T2_T3_mT4_P12ihipStream_tbEUlT_E0_NS1_11comp_targetILNS1_3genE9ELNS1_11target_archE1100ELNS1_3gpuE3ELNS1_3repE0EEENS1_30default_config_static_selectorELNS0_4arch9wavefront6targetE0EEEvS14_.uses_flat_scratch, 0
	.set _ZN7rocprim17ROCPRIM_400000_NS6detail17trampoline_kernelINS0_14default_configENS1_22reduce_config_selectorIN6thrust23THRUST_200600_302600_NS5tupleIblNS6_9null_typeES8_S8_S8_S8_S8_S8_S8_EEEEZNS1_11reduce_implILb1ES3_NS6_12zip_iteratorINS7_INS6_11hip_rocprim26transform_input_iterator_tIbNSD_35transform_pair_of_input_iterators_tIbNS6_6detail15normal_iteratorINS6_10device_ptrIKxEEEESL_NS6_8equal_toIxEEEENSG_9not_fun_tINSD_8identityEEEEENSD_19counting_iterator_tIlEES8_S8_S8_S8_S8_S8_S8_S8_EEEEPS9_S9_NSD_9__find_if7functorIS9_EEEE10hipError_tPvRmT1_T2_T3_mT4_P12ihipStream_tbEUlT_E0_NS1_11comp_targetILNS1_3genE9ELNS1_11target_archE1100ELNS1_3gpuE3ELNS1_3repE0EEENS1_30default_config_static_selectorELNS0_4arch9wavefront6targetE0EEEvS14_.has_dyn_sized_stack, 0
	.set _ZN7rocprim17ROCPRIM_400000_NS6detail17trampoline_kernelINS0_14default_configENS1_22reduce_config_selectorIN6thrust23THRUST_200600_302600_NS5tupleIblNS6_9null_typeES8_S8_S8_S8_S8_S8_S8_EEEEZNS1_11reduce_implILb1ES3_NS6_12zip_iteratorINS7_INS6_11hip_rocprim26transform_input_iterator_tIbNSD_35transform_pair_of_input_iterators_tIbNS6_6detail15normal_iteratorINS6_10device_ptrIKxEEEESL_NS6_8equal_toIxEEEENSG_9not_fun_tINSD_8identityEEEEENSD_19counting_iterator_tIlEES8_S8_S8_S8_S8_S8_S8_S8_EEEEPS9_S9_NSD_9__find_if7functorIS9_EEEE10hipError_tPvRmT1_T2_T3_mT4_P12ihipStream_tbEUlT_E0_NS1_11comp_targetILNS1_3genE9ELNS1_11target_archE1100ELNS1_3gpuE3ELNS1_3repE0EEENS1_30default_config_static_selectorELNS0_4arch9wavefront6targetE0EEEvS14_.has_recursion, 0
	.set _ZN7rocprim17ROCPRIM_400000_NS6detail17trampoline_kernelINS0_14default_configENS1_22reduce_config_selectorIN6thrust23THRUST_200600_302600_NS5tupleIblNS6_9null_typeES8_S8_S8_S8_S8_S8_S8_EEEEZNS1_11reduce_implILb1ES3_NS6_12zip_iteratorINS7_INS6_11hip_rocprim26transform_input_iterator_tIbNSD_35transform_pair_of_input_iterators_tIbNS6_6detail15normal_iteratorINS6_10device_ptrIKxEEEESL_NS6_8equal_toIxEEEENSG_9not_fun_tINSD_8identityEEEEENSD_19counting_iterator_tIlEES8_S8_S8_S8_S8_S8_S8_S8_EEEEPS9_S9_NSD_9__find_if7functorIS9_EEEE10hipError_tPvRmT1_T2_T3_mT4_P12ihipStream_tbEUlT_E0_NS1_11comp_targetILNS1_3genE9ELNS1_11target_archE1100ELNS1_3gpuE3ELNS1_3repE0EEENS1_30default_config_static_selectorELNS0_4arch9wavefront6targetE0EEEvS14_.has_indirect_call, 0
	.section	.AMDGPU.csdata,"",@progbits
; Kernel info:
; codeLenInByte = 0
; TotalNumSgprs: 0
; NumVgprs: 0
; ScratchSize: 0
; MemoryBound: 0
; FloatMode: 240
; IeeeMode: 1
; LDSByteSize: 0 bytes/workgroup (compile time only)
; SGPRBlocks: 0
; VGPRBlocks: 0
; NumSGPRsForWavesPerEU: 1
; NumVGPRsForWavesPerEU: 1
; Occupancy: 16
; WaveLimiterHint : 0
; COMPUTE_PGM_RSRC2:SCRATCH_EN: 0
; COMPUTE_PGM_RSRC2:USER_SGPR: 6
; COMPUTE_PGM_RSRC2:TRAP_HANDLER: 0
; COMPUTE_PGM_RSRC2:TGID_X_EN: 1
; COMPUTE_PGM_RSRC2:TGID_Y_EN: 0
; COMPUTE_PGM_RSRC2:TGID_Z_EN: 0
; COMPUTE_PGM_RSRC2:TIDIG_COMP_CNT: 0
	.section	.text._ZN7rocprim17ROCPRIM_400000_NS6detail17trampoline_kernelINS0_14default_configENS1_22reduce_config_selectorIN6thrust23THRUST_200600_302600_NS5tupleIblNS6_9null_typeES8_S8_S8_S8_S8_S8_S8_EEEEZNS1_11reduce_implILb1ES3_NS6_12zip_iteratorINS7_INS6_11hip_rocprim26transform_input_iterator_tIbNSD_35transform_pair_of_input_iterators_tIbNS6_6detail15normal_iteratorINS6_10device_ptrIKxEEEESL_NS6_8equal_toIxEEEENSG_9not_fun_tINSD_8identityEEEEENSD_19counting_iterator_tIlEES8_S8_S8_S8_S8_S8_S8_S8_EEEEPS9_S9_NSD_9__find_if7functorIS9_EEEE10hipError_tPvRmT1_T2_T3_mT4_P12ihipStream_tbEUlT_E0_NS1_11comp_targetILNS1_3genE8ELNS1_11target_archE1030ELNS1_3gpuE2ELNS1_3repE0EEENS1_30default_config_static_selectorELNS0_4arch9wavefront6targetE0EEEvS14_,"axG",@progbits,_ZN7rocprim17ROCPRIM_400000_NS6detail17trampoline_kernelINS0_14default_configENS1_22reduce_config_selectorIN6thrust23THRUST_200600_302600_NS5tupleIblNS6_9null_typeES8_S8_S8_S8_S8_S8_S8_EEEEZNS1_11reduce_implILb1ES3_NS6_12zip_iteratorINS7_INS6_11hip_rocprim26transform_input_iterator_tIbNSD_35transform_pair_of_input_iterators_tIbNS6_6detail15normal_iteratorINS6_10device_ptrIKxEEEESL_NS6_8equal_toIxEEEENSG_9not_fun_tINSD_8identityEEEEENSD_19counting_iterator_tIlEES8_S8_S8_S8_S8_S8_S8_S8_EEEEPS9_S9_NSD_9__find_if7functorIS9_EEEE10hipError_tPvRmT1_T2_T3_mT4_P12ihipStream_tbEUlT_E0_NS1_11comp_targetILNS1_3genE8ELNS1_11target_archE1030ELNS1_3gpuE2ELNS1_3repE0EEENS1_30default_config_static_selectorELNS0_4arch9wavefront6targetE0EEEvS14_,comdat
	.protected	_ZN7rocprim17ROCPRIM_400000_NS6detail17trampoline_kernelINS0_14default_configENS1_22reduce_config_selectorIN6thrust23THRUST_200600_302600_NS5tupleIblNS6_9null_typeES8_S8_S8_S8_S8_S8_S8_EEEEZNS1_11reduce_implILb1ES3_NS6_12zip_iteratorINS7_INS6_11hip_rocprim26transform_input_iterator_tIbNSD_35transform_pair_of_input_iterators_tIbNS6_6detail15normal_iteratorINS6_10device_ptrIKxEEEESL_NS6_8equal_toIxEEEENSG_9not_fun_tINSD_8identityEEEEENSD_19counting_iterator_tIlEES8_S8_S8_S8_S8_S8_S8_S8_EEEEPS9_S9_NSD_9__find_if7functorIS9_EEEE10hipError_tPvRmT1_T2_T3_mT4_P12ihipStream_tbEUlT_E0_NS1_11comp_targetILNS1_3genE8ELNS1_11target_archE1030ELNS1_3gpuE2ELNS1_3repE0EEENS1_30default_config_static_selectorELNS0_4arch9wavefront6targetE0EEEvS14_ ; -- Begin function _ZN7rocprim17ROCPRIM_400000_NS6detail17trampoline_kernelINS0_14default_configENS1_22reduce_config_selectorIN6thrust23THRUST_200600_302600_NS5tupleIblNS6_9null_typeES8_S8_S8_S8_S8_S8_S8_EEEEZNS1_11reduce_implILb1ES3_NS6_12zip_iteratorINS7_INS6_11hip_rocprim26transform_input_iterator_tIbNSD_35transform_pair_of_input_iterators_tIbNS6_6detail15normal_iteratorINS6_10device_ptrIKxEEEESL_NS6_8equal_toIxEEEENSG_9not_fun_tINSD_8identityEEEEENSD_19counting_iterator_tIlEES8_S8_S8_S8_S8_S8_S8_S8_EEEEPS9_S9_NSD_9__find_if7functorIS9_EEEE10hipError_tPvRmT1_T2_T3_mT4_P12ihipStream_tbEUlT_E0_NS1_11comp_targetILNS1_3genE8ELNS1_11target_archE1030ELNS1_3gpuE2ELNS1_3repE0EEENS1_30default_config_static_selectorELNS0_4arch9wavefront6targetE0EEEvS14_
	.globl	_ZN7rocprim17ROCPRIM_400000_NS6detail17trampoline_kernelINS0_14default_configENS1_22reduce_config_selectorIN6thrust23THRUST_200600_302600_NS5tupleIblNS6_9null_typeES8_S8_S8_S8_S8_S8_S8_EEEEZNS1_11reduce_implILb1ES3_NS6_12zip_iteratorINS7_INS6_11hip_rocprim26transform_input_iterator_tIbNSD_35transform_pair_of_input_iterators_tIbNS6_6detail15normal_iteratorINS6_10device_ptrIKxEEEESL_NS6_8equal_toIxEEEENSG_9not_fun_tINSD_8identityEEEEENSD_19counting_iterator_tIlEES8_S8_S8_S8_S8_S8_S8_S8_EEEEPS9_S9_NSD_9__find_if7functorIS9_EEEE10hipError_tPvRmT1_T2_T3_mT4_P12ihipStream_tbEUlT_E0_NS1_11comp_targetILNS1_3genE8ELNS1_11target_archE1030ELNS1_3gpuE2ELNS1_3repE0EEENS1_30default_config_static_selectorELNS0_4arch9wavefront6targetE0EEEvS14_
	.p2align	8
	.type	_ZN7rocprim17ROCPRIM_400000_NS6detail17trampoline_kernelINS0_14default_configENS1_22reduce_config_selectorIN6thrust23THRUST_200600_302600_NS5tupleIblNS6_9null_typeES8_S8_S8_S8_S8_S8_S8_EEEEZNS1_11reduce_implILb1ES3_NS6_12zip_iteratorINS7_INS6_11hip_rocprim26transform_input_iterator_tIbNSD_35transform_pair_of_input_iterators_tIbNS6_6detail15normal_iteratorINS6_10device_ptrIKxEEEESL_NS6_8equal_toIxEEEENSG_9not_fun_tINSD_8identityEEEEENSD_19counting_iterator_tIlEES8_S8_S8_S8_S8_S8_S8_S8_EEEEPS9_S9_NSD_9__find_if7functorIS9_EEEE10hipError_tPvRmT1_T2_T3_mT4_P12ihipStream_tbEUlT_E0_NS1_11comp_targetILNS1_3genE8ELNS1_11target_archE1030ELNS1_3gpuE2ELNS1_3repE0EEENS1_30default_config_static_selectorELNS0_4arch9wavefront6targetE0EEEvS14_,@function
_ZN7rocprim17ROCPRIM_400000_NS6detail17trampoline_kernelINS0_14default_configENS1_22reduce_config_selectorIN6thrust23THRUST_200600_302600_NS5tupleIblNS6_9null_typeES8_S8_S8_S8_S8_S8_S8_EEEEZNS1_11reduce_implILb1ES3_NS6_12zip_iteratorINS7_INS6_11hip_rocprim26transform_input_iterator_tIbNSD_35transform_pair_of_input_iterators_tIbNS6_6detail15normal_iteratorINS6_10device_ptrIKxEEEESL_NS6_8equal_toIxEEEENSG_9not_fun_tINSD_8identityEEEEENSD_19counting_iterator_tIlEES8_S8_S8_S8_S8_S8_S8_S8_EEEEPS9_S9_NSD_9__find_if7functorIS9_EEEE10hipError_tPvRmT1_T2_T3_mT4_P12ihipStream_tbEUlT_E0_NS1_11comp_targetILNS1_3genE8ELNS1_11target_archE1030ELNS1_3gpuE2ELNS1_3repE0EEENS1_30default_config_static_selectorELNS0_4arch9wavefront6targetE0EEEvS14_: ; @_ZN7rocprim17ROCPRIM_400000_NS6detail17trampoline_kernelINS0_14default_configENS1_22reduce_config_selectorIN6thrust23THRUST_200600_302600_NS5tupleIblNS6_9null_typeES8_S8_S8_S8_S8_S8_S8_EEEEZNS1_11reduce_implILb1ES3_NS6_12zip_iteratorINS7_INS6_11hip_rocprim26transform_input_iterator_tIbNSD_35transform_pair_of_input_iterators_tIbNS6_6detail15normal_iteratorINS6_10device_ptrIKxEEEESL_NS6_8equal_toIxEEEENSG_9not_fun_tINSD_8identityEEEEENSD_19counting_iterator_tIlEES8_S8_S8_S8_S8_S8_S8_S8_EEEEPS9_S9_NSD_9__find_if7functorIS9_EEEE10hipError_tPvRmT1_T2_T3_mT4_P12ihipStream_tbEUlT_E0_NS1_11comp_targetILNS1_3genE8ELNS1_11target_archE1030ELNS1_3gpuE2ELNS1_3repE0EEENS1_30default_config_static_selectorELNS0_4arch9wavefront6targetE0EEEvS14_
; %bb.0:
	s_clause 0x2
	s_load_dwordx8 s[8:15], s[4:5], 0x20
	s_load_dwordx4 s[0:3], s[4:5], 0x0
	s_load_dwordx4 s[16:19], s[4:5], 0x40
	s_mov_b32 s23, 0
	v_mbcnt_lo_u32_b32 v7, -1, 0
	s_mov_b32 s7, s23
	s_waitcnt lgkmcnt(0)
	s_lshl_b64 s[20:21], s[10:11], 3
	s_add_u32 s26, s0, s20
	s_addc_u32 s27, s1, s21
	s_add_u32 s20, s2, s20
	s_addc_u32 s21, s3, s21
	s_lshl_b32 s22, s6, 9
	s_lshr_b64 s[24:25], s[12:13], 9
	s_lshl_b64 s[0:1], s[22:23], 3
	s_add_u32 s2, s26, s0
	s_addc_u32 s3, s27, s1
	s_add_u32 s20, s20, s0
	s_addc_u32 s21, s21, s1
	;; [unrolled: 2-line block ×4, first 2 shown]
	s_cmp_lg_u64 s[24:25], s[6:7]
	s_cbranch_scc0 .LBB233_18
; %bb.1:
	v_lshlrev_b32_e32 v8, 3, v0
	v_add_co_u32 v1, s0, s2, v8
	v_add_co_ci_u32_e64 v2, null, s3, 0, s0
	v_add_co_u32 v3, s0, s20, v8
	v_add_co_ci_u32_e64 v4, null, s21, 0, s0
	v_add_co_u32 v1, vcc_lo, 0x800, v1
	v_add_co_ci_u32_e64 v2, null, 0, v2, vcc_lo
	v_add_co_u32 v3, vcc_lo, 0x800, v3
	v_add_co_ci_u32_e64 v4, null, 0, v4, vcc_lo
	s_clause 0x1
	global_load_dwordx2 v[5:6], v8, s[2:3]
	global_load_dwordx2 v[8:9], v8, s[20:21]
	global_load_dwordx2 v[1:2], v[1:2], off
	global_load_dwordx2 v[3:4], v[3:4], off
	v_add_co_u32 v10, s0, s10, v0
	v_add_co_ci_u32_e64 v11, null, s11, 0, s0
	v_add_co_u32 v12, vcc_lo, 0x100, v10
	v_add_co_ci_u32_e64 v13, null, 0, v11, vcc_lo
	s_waitcnt vmcnt(2)
	v_cmp_ne_u64_e32 vcc_lo, v[5:6], v[8:9]
	s_waitcnt vmcnt(0)
	v_cmp_ne_u64_e64 s0, v[1:2], v[3:4]
	v_cndmask_b32_e32 v5, v13, v11, vcc_lo
	v_cndmask_b32_e32 v4, v12, v10, vcc_lo
	s_or_b32 s0, vcc_lo, s0
	v_cndmask_b32_e64 v3, 0, 1, s0
	v_mov_b32_dpp v2, v5 quad_perm:[1,0,3,2] row_mask:0xf bank_mask:0xf
	v_mov_b32_dpp v1, v4 quad_perm:[1,0,3,2] row_mask:0xf bank_mask:0xf
	;; [unrolled: 1-line block ×3, first 2 shown]
	v_cmp_lt_i64_e32 vcc_lo, v[4:5], v[1:2]
	v_and_b32_e32 v6, 1, v6
	s_and_b32 vcc_lo, s0, vcc_lo
	v_cndmask_b32_e32 v1, v1, v4, vcc_lo
	v_cndmask_b32_e32 v2, v2, v5, vcc_lo
	v_cmp_eq_u32_e32 vcc_lo, 1, v6
	v_cndmask_b32_e32 v2, v5, v2, vcc_lo
	v_cndmask_b32_e32 v1, v4, v1, vcc_lo
	v_cndmask_b32_e64 v5, v3, 1, vcc_lo
	v_mov_b32_dpp v4, v2 quad_perm:[2,3,0,1] row_mask:0xf bank_mask:0xf
	v_mov_b32_dpp v3, v1 quad_perm:[2,3,0,1] row_mask:0xf bank_mask:0xf
	v_and_b32_e32 v8, 1, v5
	v_mov_b32_dpp v6, v5 quad_perm:[2,3,0,1] row_mask:0xf bank_mask:0xf
	v_cmp_lt_i64_e32 vcc_lo, v[1:2], v[3:4]
	v_cmp_eq_u32_e64 s0, 1, v8
	v_and_b32_e32 v6, 1, v6
	s_and_b32 vcc_lo, s0, vcc_lo
	v_cmp_eq_u32_e64 s1, 1, v6
	v_cndmask_b32_e32 v3, v3, v1, vcc_lo
	v_cndmask_b32_e32 v4, v4, v2, vcc_lo
	v_cndmask_b32_e64 v5, v5, 1, s1
	v_cndmask_b32_e64 v1, v1, v3, s1
	v_cndmask_b32_e64 v2, v2, v4, s1
	v_and_b32_e32 v8, 1, v5
	v_mov_b32_dpp v3, v1 row_ror:4 row_mask:0xf bank_mask:0xf
	v_mov_b32_dpp v4, v2 row_ror:4 row_mask:0xf bank_mask:0xf
	;; [unrolled: 1-line block ×3, first 2 shown]
	v_cmp_eq_u32_e64 s0, 1, v8
	v_cmp_lt_i64_e32 vcc_lo, v[1:2], v[3:4]
	v_and_b32_e32 v6, 1, v6
	s_and_b32 vcc_lo, s0, vcc_lo
	v_cmp_eq_u32_e64 s1, 1, v6
	v_cndmask_b32_e32 v3, v3, v1, vcc_lo
	v_cndmask_b32_e32 v4, v4, v2, vcc_lo
	v_cndmask_b32_e64 v5, v5, 1, s1
	v_cndmask_b32_e64 v1, v1, v3, s1
	;; [unrolled: 1-line block ×3, first 2 shown]
	v_and_b32_e32 v8, 1, v5
	v_mov_b32_dpp v3, v1 row_ror:8 row_mask:0xf bank_mask:0xf
	v_mov_b32_dpp v4, v2 row_ror:8 row_mask:0xf bank_mask:0xf
	;; [unrolled: 1-line block ×3, first 2 shown]
	v_cmp_eq_u32_e64 s0, 1, v8
	v_cmp_lt_i64_e32 vcc_lo, v[1:2], v[3:4]
	v_and_b32_e32 v6, 1, v6
	s_and_b32 vcc_lo, s0, vcc_lo
	v_cmp_eq_u32_e64 s1, 1, v6
	v_cndmask_b32_e32 v3, v3, v1, vcc_lo
	v_cndmask_b32_e32 v4, v4, v2, vcc_lo
	v_cndmask_b32_e64 v5, v5, 1, s1
	v_cndmask_b32_e64 v1, v1, v3, s1
	;; [unrolled: 1-line block ×3, first 2 shown]
	ds_swizzle_b32 v6, v5 offset:swizzle(BROADCAST,32,15)
	ds_swizzle_b32 v3, v1 offset:swizzle(BROADCAST,32,15)
	;; [unrolled: 1-line block ×3, first 2 shown]
	v_and_b32_e32 v8, 1, v5
	v_cmp_eq_u32_e64 s0, 1, v8
	s_waitcnt lgkmcnt(2)
	v_and_b32_e32 v6, 1, v6
	s_waitcnt lgkmcnt(0)
	v_cmp_lt_i64_e32 vcc_lo, v[1:2], v[3:4]
	v_cmp_eq_u32_e64 s1, 1, v6
	v_mov_b32_e32 v6, 0
	s_and_b32 vcc_lo, s0, vcc_lo
	s_mov_b32 s0, exec_lo
	v_cndmask_b32_e32 v3, v3, v1, vcc_lo
	v_cndmask_b32_e32 v4, v4, v2, vcc_lo
	v_cndmask_b32_e64 v5, v5, 1, s1
	v_cndmask_b32_e64 v1, v1, v3, s1
	;; [unrolled: 1-line block ×3, first 2 shown]
	ds_bpermute_b32 v8, v6, v5 offset:124
	ds_bpermute_b32 v1, v6, v1 offset:124
	;; [unrolled: 1-line block ×3, first 2 shown]
	v_cmpx_eq_u32_e32 0, v7
	s_cbranch_execz .LBB233_3
; %bb.2:
	v_lshrrev_b32_e32 v3, 1, v0
	v_and_b32_e32 v3, 0x70, v3
	s_waitcnt lgkmcnt(2)
	ds_write_b8 v3, v8
	s_waitcnt lgkmcnt(1)
	ds_write_b64 v3, v[1:2] offset:8
.LBB233_3:
	s_or_b32 exec_lo, exec_lo, s0
	s_mov_b32 s0, exec_lo
	s_waitcnt lgkmcnt(0)
	s_barrier
	buffer_gl0_inv
	v_cmpx_gt_u32_e32 32, v0
	s_cbranch_execz .LBB233_17
; %bb.4:
	v_and_b32_e32 v8, 7, v7
	v_lshlrev_b32_e32 v1, 4, v8
	v_cmp_ne_u32_e32 vcc_lo, 7, v8
	ds_read_u8 v10, v1
	ds_read_b64 v[3:4], v1 offset:8
	v_add_co_ci_u32_e64 v2, null, 0, v7, vcc_lo
	v_lshlrev_b32_e32 v2, 2, v2
	s_waitcnt lgkmcnt(1)
	v_and_b32_e32 v1, 0xff, v10
	s_waitcnt lgkmcnt(0)
	ds_bpermute_b32 v5, v2, v3
	ds_bpermute_b32 v6, v2, v4
	;; [unrolled: 1-line block ×3, first 2 shown]
	s_waitcnt lgkmcnt(0)
	v_and_b32_e32 v1, v10, v11
	v_and_b32_e32 v1, 1, v1
	v_cmp_eq_u32_e32 vcc_lo, 1, v1
                                        ; implicit-def: $vgpr1_vgpr2
	s_and_saveexec_b32 s1, vcc_lo
	s_xor_b32 s1, exec_lo, s1
; %bb.5:
	v_cmp_lt_i64_e32 vcc_lo, v[5:6], v[3:4]
                                        ; implicit-def: $vgpr10
                                        ; implicit-def: $vgpr11
	v_cndmask_b32_e32 v2, v4, v6, vcc_lo
	v_cndmask_b32_e32 v1, v3, v5, vcc_lo
                                        ; implicit-def: $vgpr5_vgpr6
                                        ; implicit-def: $vgpr3_vgpr4
; %bb.6:
	s_or_saveexec_b32 s1, s1
	v_mov_b32_e32 v9, 1
	s_xor_b32 exec_lo, exec_lo, s1
; %bb.7:
	v_and_b32_e32 v1, 1, v10
	v_and_b32_e32 v9, 0xff, v11
	v_cmp_eq_u32_e32 vcc_lo, 1, v1
	v_cndmask_b32_e32 v2, v6, v4, vcc_lo
	v_cndmask_b32_e32 v1, v5, v3, vcc_lo
	v_cndmask_b32_e64 v9, v9, 1, vcc_lo
; %bb.8:
	s_or_b32 exec_lo, exec_lo, s1
	v_cmp_gt_u32_e32 vcc_lo, 6, v8
	v_cndmask_b32_e64 v3, 0, 2, vcc_lo
	v_add_lshl_u32 v3, v3, v7, 2
	ds_bpermute_b32 v8, v3, v9
	ds_bpermute_b32 v5, v3, v1
	;; [unrolled: 1-line block ×3, first 2 shown]
	s_waitcnt lgkmcnt(2)
	v_and_b32_e32 v3, v9, v8
	v_and_b32_e32 v3, 1, v3
	v_cmp_eq_u32_e32 vcc_lo, 1, v3
                                        ; implicit-def: $vgpr3_vgpr4
	s_and_saveexec_b32 s1, vcc_lo
	s_xor_b32 s1, exec_lo, s1
	s_cbranch_execz .LBB233_10
; %bb.9:
	s_waitcnt lgkmcnt(0)
	v_cmp_lt_i64_e32 vcc_lo, v[5:6], v[1:2]
                                        ; implicit-def: $vgpr9
                                        ; implicit-def: $vgpr8
	v_cndmask_b32_e32 v4, v2, v6, vcc_lo
	v_cndmask_b32_e32 v3, v1, v5, vcc_lo
                                        ; implicit-def: $vgpr5_vgpr6
                                        ; implicit-def: $vgpr1_vgpr2
.LBB233_10:
	s_or_saveexec_b32 s1, s1
	v_lshlrev_b32_e32 v11, 2, v7
	v_mov_b32_e32 v10, 1
	s_xor_b32 exec_lo, exec_lo, s1
	s_cbranch_execz .LBB233_12
; %bb.11:
	v_and_b32_e32 v3, 1, v9
	v_and_b32_e32 v8, 0xff, v8
	v_cmp_eq_u32_e32 vcc_lo, 1, v3
	s_waitcnt lgkmcnt(0)
	v_cndmask_b32_e32 v4, v6, v2, vcc_lo
	v_cndmask_b32_e32 v3, v5, v1, vcc_lo
	v_cndmask_b32_e64 v10, v8, 1, vcc_lo
.LBB233_12:
	s_or_b32 exec_lo, exec_lo, s1
	v_or_b32_e32 v1, 16, v11
	ds_bpermute_b32 v9, v1, v10
	s_waitcnt lgkmcnt(2)
	ds_bpermute_b32 v5, v1, v3
	s_waitcnt lgkmcnt(2)
	;; [unrolled: 2-line block ×3, first 2 shown]
	v_and_b32_e32 v1, v10, v9
	v_and_b32_e32 v1, 1, v1
	v_cmp_eq_u32_e32 vcc_lo, 1, v1
                                        ; implicit-def: $vgpr1_vgpr2
	s_and_saveexec_b32 s1, vcc_lo
	s_xor_b32 s1, exec_lo, s1
	s_cbranch_execz .LBB233_14
; %bb.13:
	s_waitcnt lgkmcnt(0)
	v_cmp_lt_i64_e32 vcc_lo, v[5:6], v[3:4]
                                        ; implicit-def: $vgpr10
                                        ; implicit-def: $vgpr9
	v_cndmask_b32_e32 v2, v4, v6, vcc_lo
	v_cndmask_b32_e32 v1, v3, v5, vcc_lo
                                        ; implicit-def: $vgpr5_vgpr6
                                        ; implicit-def: $vgpr3_vgpr4
.LBB233_14:
	s_or_saveexec_b32 s1, s1
	v_mov_b32_e32 v8, 1
	s_xor_b32 exec_lo, exec_lo, s1
	s_cbranch_execz .LBB233_16
; %bb.15:
	v_and_b32_e32 v1, 1, v10
	v_cmp_eq_u32_e32 vcc_lo, 1, v1
	s_waitcnt lgkmcnt(0)
	v_cndmask_b32_e32 v2, v6, v4, vcc_lo
	v_cndmask_b32_e32 v1, v5, v3, vcc_lo
	v_cndmask_b32_e64 v8, v9, 1, vcc_lo
.LBB233_16:
	s_or_b32 exec_lo, exec_lo, s1
.LBB233_17:
	s_or_b32 exec_lo, exec_lo, s0
	s_load_dwordx2 s[8:9], s[4:5], 0x58
	s_branch .LBB233_76
.LBB233_18:
                                        ; implicit-def: $vgpr1_vgpr2
                                        ; implicit-def: $vgpr8
	s_load_dwordx2 s[8:9], s[4:5], 0x58
	s_cbranch_execz .LBB233_76
; %bb.19:
	v_mov_b32_e32 v3, 0
	v_mov_b32_e32 v1, 0
	s_waitcnt lgkmcnt(0)
	v_mov_b32_e32 v5, 0
	v_mov_b32_e32 v4, 0
	;; [unrolled: 1-line block ×4, first 2 shown]
	s_sub_i32 s22, s12, s22
	s_mov_b32 s0, exec_lo
	v_cmpx_gt_u32_e64 s22, v0
	s_cbranch_execz .LBB233_21
; %bb.20:
	v_lshlrev_b32_e32 v1, 3, v0
	s_clause 0x1
	global_load_dwordx2 v[8:9], v1, s[2:3]
	global_load_dwordx2 v[10:11], v1, s[20:21]
	v_add_co_u32 v1, s1, s10, v0
	v_add_co_ci_u32_e64 v2, null, s11, 0, s1
	s_waitcnt vmcnt(0)
	v_cmp_ne_u64_e32 vcc_lo, v[8:9], v[10:11]
	v_cndmask_b32_e64 v6, 0, 1, vcc_lo
.LBB233_21:
	s_or_b32 exec_lo, exec_lo, s0
	v_or_b32_e32 v8, 0x100, v0
	v_cmp_gt_u32_e32 vcc_lo, s22, v8
	s_and_saveexec_b32 s1, vcc_lo
	s_cbranch_execz .LBB233_23
; %bb.22:
	v_lshlrev_b32_e32 v3, 3, v8
	s_clause 0x1
	global_load_dwordx2 v[9:10], v3, s[2:3]
	global_load_dwordx2 v[11:12], v3, s[20:21]
	v_add_co_u32 v3, s0, s10, v8
	v_add_co_ci_u32_e64 v4, null, s11, 0, s0
	s_waitcnt vmcnt(0)
	v_cmp_ne_u64_e64 s0, v[9:10], v[11:12]
	v_cndmask_b32_e64 v5, 0, 1, s0
.LBB233_23:
	s_or_b32 exec_lo, exec_lo, s1
	v_and_b32_e32 v8, 1, v5
	v_cmp_lt_i64_e64 s0, v[3:4], v[1:2]
	v_and_b32_e32 v9, 1, v6
	v_and_b32_e32 v5, 0xffff, v5
	;; [unrolled: 1-line block ×3, first 2 shown]
	v_cmp_eq_u32_e64 s1, 1, v8
	v_cmp_eq_u32_e64 s2, 1, v9
	s_and_b32 s0, s1, s0
	s_mov_b32 s1, exec_lo
	v_cndmask_b32_e64 v8, v2, v4, s0
	v_cndmask_b32_e64 v9, v1, v3, s0
	v_cmp_ne_u32_e64 s0, 31, v7
	v_cndmask_b32_e64 v5, v5, 1, s2
	v_cndmask_b32_e64 v4, v4, v8, s2
	;; [unrolled: 1-line block ×3, first 2 shown]
	v_add_co_ci_u32_e64 v10, null, 0, v7, s0
	v_cndmask_b32_e32 v8, v6, v5, vcc_lo
	v_cndmask_b32_e32 v2, v2, v4, vcc_lo
	;; [unrolled: 1-line block ×3, first 2 shown]
	v_lshlrev_b32_e32 v9, 2, v10
	v_and_b32_e32 v5, 0xe0, v0
	s_min_u32 s0, s22, 0x100
	ds_bpermute_b32 v6, v9, v8
	ds_bpermute_b32 v3, v9, v1
	;; [unrolled: 1-line block ×3, first 2 shown]
	v_sub_nc_u32_e64 v5, s0, v5 clamp
	v_add_nc_u32_e32 v9, 1, v7
	v_cmpx_lt_u32_e64 v9, v5
	s_cbranch_execz .LBB233_29
; %bb.24:
	s_waitcnt lgkmcnt(2)
	v_and_b32_e32 v9, v8, v6
	s_mov_b32 s2, exec_lo
	v_cmpx_ne_u32_e32 0, v9
	s_xor_b32 s2, exec_lo, s2
	s_cbranch_execz .LBB233_26
; %bb.25:
	s_waitcnt lgkmcnt(0)
	v_cmp_lt_i64_e32 vcc_lo, v[3:4], v[1:2]
                                        ; implicit-def: $vgpr8
                                        ; implicit-def: $vgpr6
	v_cndmask_b32_e32 v2, v2, v4, vcc_lo
	v_cndmask_b32_e32 v1, v1, v3, vcc_lo
                                        ; implicit-def: $vgpr3_vgpr4
.LBB233_26:
	s_or_saveexec_b32 s2, s2
	v_mov_b32_e32 v9, 1
	s_xor_b32 exec_lo, exec_lo, s2
	s_cbranch_execz .LBB233_28
; %bb.27:
	v_and_b32_e32 v8, 1, v8
	v_and_b32_e32 v6, 0xff, v6
	v_cmp_eq_u32_e32 vcc_lo, 1, v8
	s_waitcnt lgkmcnt(0)
	v_cndmask_b32_e32 v2, v4, v2, vcc_lo
	v_cndmask_b32_e32 v1, v3, v1, vcc_lo
	v_cndmask_b32_e64 v9, v6, 1, vcc_lo
.LBB233_28:
	s_or_b32 exec_lo, exec_lo, s2
	v_mov_b32_e32 v8, v9
.LBB233_29:
	s_or_b32 exec_lo, exec_lo, s1
	v_cmp_gt_u32_e32 vcc_lo, 30, v7
	v_add_nc_u32_e32 v9, 2, v7
	s_mov_b32 s1, exec_lo
	s_waitcnt lgkmcnt(1)
	v_cndmask_b32_e64 v3, 0, 2, vcc_lo
	s_waitcnt lgkmcnt(0)
	v_add_lshl_u32 v4, v3, v7, 2
	ds_bpermute_b32 v6, v4, v8
	ds_bpermute_b32 v3, v4, v1
	ds_bpermute_b32 v4, v4, v2
	v_cmpx_lt_u32_e64 v9, v5
	s_cbranch_execz .LBB233_35
; %bb.30:
	s_waitcnt lgkmcnt(2)
	v_and_b32_e32 v9, v8, v6
	s_mov_b32 s2, exec_lo
	v_and_b32_e32 v9, 1, v9
	v_cmpx_eq_u32_e32 1, v9
	s_xor_b32 s2, exec_lo, s2
	s_cbranch_execz .LBB233_32
; %bb.31:
	s_waitcnt lgkmcnt(0)
	v_cmp_lt_i64_e32 vcc_lo, v[3:4], v[1:2]
                                        ; implicit-def: $vgpr8
                                        ; implicit-def: $vgpr6
	v_cndmask_b32_e32 v2, v2, v4, vcc_lo
	v_cndmask_b32_e32 v1, v1, v3, vcc_lo
                                        ; implicit-def: $vgpr3_vgpr4
.LBB233_32:
	s_or_saveexec_b32 s2, s2
	v_mov_b32_e32 v9, 1
	s_xor_b32 exec_lo, exec_lo, s2
	s_cbranch_execz .LBB233_34
; %bb.33:
	v_and_b32_e32 v8, 1, v8
	v_and_b32_e32 v6, 0xff, v6
	v_cmp_eq_u32_e32 vcc_lo, 1, v8
	s_waitcnt lgkmcnt(0)
	v_cndmask_b32_e32 v2, v4, v2, vcc_lo
	v_cndmask_b32_e32 v1, v3, v1, vcc_lo
	v_cndmask_b32_e64 v9, v6, 1, vcc_lo
.LBB233_34:
	s_or_b32 exec_lo, exec_lo, s2
	v_mov_b32_e32 v8, v9
.LBB233_35:
	s_or_b32 exec_lo, exec_lo, s1
	v_cmp_gt_u32_e32 vcc_lo, 28, v7
	v_add_nc_u32_e32 v9, 4, v7
	s_mov_b32 s1, exec_lo
	s_waitcnt lgkmcnt(1)
	v_cndmask_b32_e64 v3, 0, 4, vcc_lo
	s_waitcnt lgkmcnt(0)
	v_add_lshl_u32 v4, v3, v7, 2
	ds_bpermute_b32 v6, v4, v8
	ds_bpermute_b32 v3, v4, v1
	ds_bpermute_b32 v4, v4, v2
	v_cmpx_lt_u32_e64 v9, v5
	s_cbranch_execz .LBB233_41
; %bb.36:
	s_waitcnt lgkmcnt(2)
	v_and_b32_e32 v9, v8, v6
	s_mov_b32 s2, exec_lo
	v_and_b32_e32 v9, 1, v9
	v_cmpx_eq_u32_e32 1, v9
	s_xor_b32 s2, exec_lo, s2
	s_cbranch_execz .LBB233_38
; %bb.37:
	s_waitcnt lgkmcnt(0)
	v_cmp_lt_i64_e32 vcc_lo, v[3:4], v[1:2]
                                        ; implicit-def: $vgpr8
                                        ; implicit-def: $vgpr6
	v_cndmask_b32_e32 v2, v2, v4, vcc_lo
	v_cndmask_b32_e32 v1, v1, v3, vcc_lo
                                        ; implicit-def: $vgpr3_vgpr4
.LBB233_38:
	s_or_saveexec_b32 s2, s2
	v_mov_b32_e32 v9, 1
	s_xor_b32 exec_lo, exec_lo, s2
	s_cbranch_execz .LBB233_40
; %bb.39:
	v_and_b32_e32 v8, 1, v8
	v_and_b32_e32 v6, 0xff, v6
	v_cmp_eq_u32_e32 vcc_lo, 1, v8
	s_waitcnt lgkmcnt(0)
	v_cndmask_b32_e32 v2, v4, v2, vcc_lo
	v_cndmask_b32_e32 v1, v3, v1, vcc_lo
	v_cndmask_b32_e64 v9, v6, 1, vcc_lo
.LBB233_40:
	s_or_b32 exec_lo, exec_lo, s2
	v_mov_b32_e32 v8, v9
.LBB233_41:
	s_or_b32 exec_lo, exec_lo, s1
	v_cmp_gt_u32_e32 vcc_lo, 24, v7
	v_add_nc_u32_e32 v9, 8, v7
	s_mov_b32 s1, exec_lo
	s_waitcnt lgkmcnt(1)
	v_cndmask_b32_e64 v3, 0, 8, vcc_lo
	s_waitcnt lgkmcnt(0)
	v_add_lshl_u32 v4, v3, v7, 2
	ds_bpermute_b32 v6, v4, v8
	ds_bpermute_b32 v3, v4, v1
	ds_bpermute_b32 v4, v4, v2
	v_cmpx_lt_u32_e64 v9, v5
	s_cbranch_execz .LBB233_47
; %bb.42:
	s_waitcnt lgkmcnt(2)
	v_and_b32_e32 v9, v8, v6
	s_mov_b32 s2, exec_lo
	v_and_b32_e32 v9, 1, v9
	v_cmpx_eq_u32_e32 1, v9
	s_xor_b32 s2, exec_lo, s2
	s_cbranch_execz .LBB233_44
; %bb.43:
	s_waitcnt lgkmcnt(0)
	v_cmp_lt_i64_e32 vcc_lo, v[3:4], v[1:2]
                                        ; implicit-def: $vgpr8
                                        ; implicit-def: $vgpr6
	v_cndmask_b32_e32 v2, v2, v4, vcc_lo
	v_cndmask_b32_e32 v1, v1, v3, vcc_lo
                                        ; implicit-def: $vgpr3_vgpr4
.LBB233_44:
	s_or_saveexec_b32 s2, s2
	v_mov_b32_e32 v9, 1
	s_xor_b32 exec_lo, exec_lo, s2
	s_cbranch_execz .LBB233_46
; %bb.45:
	v_and_b32_e32 v8, 1, v8
	v_and_b32_e32 v6, 0xff, v6
	v_cmp_eq_u32_e32 vcc_lo, 1, v8
	s_waitcnt lgkmcnt(0)
	v_cndmask_b32_e32 v2, v4, v2, vcc_lo
	v_cndmask_b32_e32 v1, v3, v1, vcc_lo
	v_cndmask_b32_e64 v9, v6, 1, vcc_lo
.LBB233_46:
	s_or_b32 exec_lo, exec_lo, s2
	v_mov_b32_e32 v8, v9
.LBB233_47:
	s_or_b32 exec_lo, exec_lo, s1
	s_waitcnt lgkmcnt(2)
	v_lshlrev_b32_e32 v6, 2, v7
	v_add_nc_u32_e32 v10, 16, v7
	s_waitcnt lgkmcnt(0)
	v_or_b32_e32 v4, 64, v6
	v_cmp_lt_u32_e32 vcc_lo, v10, v5
	v_mov_b32_e32 v5, v8
	ds_bpermute_b32 v9, v4, v8
	ds_bpermute_b32 v3, v4, v1
	;; [unrolled: 1-line block ×3, first 2 shown]
	s_and_saveexec_b32 s1, vcc_lo
	s_cbranch_execz .LBB233_53
; %bb.48:
	s_waitcnt lgkmcnt(2)
	v_and_b32_e32 v5, v8, v9
	s_mov_b32 s2, exec_lo
	v_and_b32_e32 v5, 1, v5
	v_cmpx_eq_u32_e32 1, v5
	s_xor_b32 s2, exec_lo, s2
	s_cbranch_execz .LBB233_50
; %bb.49:
	s_waitcnt lgkmcnt(0)
	v_cmp_lt_i64_e32 vcc_lo, v[3:4], v[1:2]
                                        ; implicit-def: $vgpr8
                                        ; implicit-def: $vgpr9
	v_cndmask_b32_e32 v2, v2, v4, vcc_lo
	v_cndmask_b32_e32 v1, v1, v3, vcc_lo
                                        ; implicit-def: $vgpr3_vgpr4
.LBB233_50:
	s_or_saveexec_b32 s2, s2
	v_mov_b32_e32 v5, 1
	s_xor_b32 exec_lo, exec_lo, s2
	s_cbranch_execz .LBB233_52
; %bb.51:
	v_and_b32_e32 v5, 1, v8
	v_cmp_eq_u32_e32 vcc_lo, 1, v5
	v_cndmask_b32_e64 v5, v9, 1, vcc_lo
	s_waitcnt lgkmcnt(0)
	v_cndmask_b32_e32 v2, v4, v2, vcc_lo
	v_cndmask_b32_e32 v1, v3, v1, vcc_lo
.LBB233_52:
	s_or_b32 exec_lo, exec_lo, s2
	v_and_b32_e32 v8, 0xff, v5
.LBB233_53:
	s_or_b32 exec_lo, exec_lo, s1
	s_mov_b32 s1, exec_lo
	v_cmpx_eq_u32_e32 0, v7
	s_cbranch_execz .LBB233_55
; %bb.54:
	s_waitcnt lgkmcnt(1)
	v_lshrrev_b32_e32 v3, 1, v0
	v_and_b32_e32 v3, 0x70, v3
	ds_write_b8 v3, v5 offset:128
	ds_write_b64 v3, v[1:2] offset:136
.LBB233_55:
	s_or_b32 exec_lo, exec_lo, s1
	s_mov_b32 s1, exec_lo
	s_waitcnt lgkmcnt(0)
	s_barrier
	buffer_gl0_inv
	v_cmpx_gt_u32_e32 8, v0
	s_cbranch_execz .LBB233_75
; %bb.56:
	v_lshlrev_b32_e32 v1, 4, v7
	v_and_b32_e32 v5, 7, v7
	s_add_i32 s0, s0, 31
	s_mov_b32 s2, exec_lo
	s_lshr_b32 s0, s0, 5
	ds_read_u8 v9, v1 offset:128
	ds_read_b64 v[1:2], v1 offset:136
	v_cmp_ne_u32_e32 vcc_lo, 7, v5
	v_add_nc_u32_e32 v11, 1, v5
	v_add_co_ci_u32_e64 v3, null, 0, v7, vcc_lo
	v_lshlrev_b32_e32 v4, 2, v3
	s_waitcnt lgkmcnt(1)
	v_and_b32_e32 v8, 0xff, v9
	s_waitcnt lgkmcnt(0)
	ds_bpermute_b32 v3, v4, v1
	ds_bpermute_b32 v10, v4, v8
	;; [unrolled: 1-line block ×3, first 2 shown]
	v_cmpx_gt_u32_e64 s0, v11
	s_cbranch_execz .LBB233_62
; %bb.57:
	s_waitcnt lgkmcnt(1)
	v_and_b32_e32 v8, v8, v10
	s_mov_b32 s3, exec_lo
	v_and_b32_e32 v8, 1, v8
	v_cmpx_eq_u32_e32 1, v8
	s_xor_b32 s3, exec_lo, s3
	s_cbranch_execz .LBB233_59
; %bb.58:
	s_waitcnt lgkmcnt(0)
	v_cmp_lt_i64_e32 vcc_lo, v[3:4], v[1:2]
                                        ; implicit-def: $vgpr9
                                        ; implicit-def: $vgpr10
	v_cndmask_b32_e32 v2, v2, v4, vcc_lo
	v_cndmask_b32_e32 v1, v1, v3, vcc_lo
                                        ; implicit-def: $vgpr3_vgpr4
.LBB233_59:
	s_or_saveexec_b32 s3, s3
	v_mov_b32_e32 v8, 1
	s_xor_b32 exec_lo, exec_lo, s3
	s_cbranch_execz .LBB233_61
; %bb.60:
	v_and_b32_e32 v8, 1, v9
	v_cmp_eq_u32_e32 vcc_lo, 1, v8
	v_and_b32_e32 v8, 0xff, v10
	s_waitcnt lgkmcnt(0)
	v_cndmask_b32_e32 v2, v4, v2, vcc_lo
	v_cndmask_b32_e32 v1, v3, v1, vcc_lo
	v_cndmask_b32_e64 v8, v8, 1, vcc_lo
.LBB233_61:
	s_or_b32 exec_lo, exec_lo, s3
.LBB233_62:
	s_or_b32 exec_lo, exec_lo, s2
	v_cmp_gt_u32_e32 vcc_lo, 6, v5
	v_add_nc_u32_e32 v9, 2, v5
	s_mov_b32 s2, exec_lo
	s_waitcnt lgkmcnt(2)
	v_cndmask_b32_e64 v3, 0, 2, vcc_lo
	s_waitcnt lgkmcnt(0)
	v_add_lshl_u32 v4, v3, v7, 2
	ds_bpermute_b32 v7, v4, v8
	ds_bpermute_b32 v3, v4, v1
	;; [unrolled: 1-line block ×3, first 2 shown]
	v_cmpx_gt_u32_e64 s0, v9
	s_cbranch_execz .LBB233_68
; %bb.63:
	s_waitcnt lgkmcnt(2)
	v_and_b32_e32 v9, v8, v7
	s_mov_b32 s3, exec_lo
	v_and_b32_e32 v9, 1, v9
	v_cmpx_eq_u32_e32 1, v9
	s_xor_b32 s3, exec_lo, s3
	s_cbranch_execz .LBB233_65
; %bb.64:
	s_waitcnt lgkmcnt(0)
	v_cmp_lt_i64_e32 vcc_lo, v[3:4], v[1:2]
                                        ; implicit-def: $vgpr8
                                        ; implicit-def: $vgpr7
	v_cndmask_b32_e32 v2, v2, v4, vcc_lo
	v_cndmask_b32_e32 v1, v1, v3, vcc_lo
                                        ; implicit-def: $vgpr3_vgpr4
.LBB233_65:
	s_or_saveexec_b32 s3, s3
	v_mov_b32_e32 v9, 1
	s_xor_b32 exec_lo, exec_lo, s3
	s_cbranch_execz .LBB233_67
; %bb.66:
	v_and_b32_e32 v8, 1, v8
	v_and_b32_e32 v7, 0xff, v7
	v_cmp_eq_u32_e32 vcc_lo, 1, v8
	s_waitcnt lgkmcnt(0)
	v_cndmask_b32_e32 v2, v4, v2, vcc_lo
	v_cndmask_b32_e32 v1, v3, v1, vcc_lo
	v_cndmask_b32_e64 v9, v7, 1, vcc_lo
.LBB233_67:
	s_or_b32 exec_lo, exec_lo, s3
	v_mov_b32_e32 v8, v9
.LBB233_68:
	s_or_b32 exec_lo, exec_lo, s2
	s_waitcnt lgkmcnt(0)
	v_or_b32_e32 v4, 16, v6
	v_add_nc_u32_e32 v5, 4, v5
	ds_bpermute_b32 v6, v4, v8
	ds_bpermute_b32 v3, v4, v1
	;; [unrolled: 1-line block ×3, first 2 shown]
	v_cmp_gt_u32_e32 vcc_lo, s0, v5
	s_and_saveexec_b32 s0, vcc_lo
	s_cbranch_execz .LBB233_74
; %bb.69:
	s_waitcnt lgkmcnt(2)
	v_and_b32_e32 v5, v8, v6
	s_mov_b32 s2, exec_lo
	v_and_b32_e32 v5, 1, v5
	v_cmpx_eq_u32_e32 1, v5
	s_xor_b32 s2, exec_lo, s2
	s_cbranch_execz .LBB233_71
; %bb.70:
	s_waitcnt lgkmcnt(0)
	v_cmp_lt_i64_e32 vcc_lo, v[3:4], v[1:2]
                                        ; implicit-def: $vgpr8
                                        ; implicit-def: $vgpr6
	v_cndmask_b32_e32 v2, v2, v4, vcc_lo
	v_cndmask_b32_e32 v1, v1, v3, vcc_lo
                                        ; implicit-def: $vgpr3_vgpr4
.LBB233_71:
	s_or_saveexec_b32 s2, s2
	v_mov_b32_e32 v5, 1
	s_xor_b32 exec_lo, exec_lo, s2
	s_cbranch_execz .LBB233_73
; %bb.72:
	v_and_b32_e32 v5, 1, v8
	v_cmp_eq_u32_e32 vcc_lo, 1, v5
	s_waitcnt lgkmcnt(0)
	v_cndmask_b32_e32 v2, v4, v2, vcc_lo
	v_cndmask_b32_e32 v1, v3, v1, vcc_lo
	v_cndmask_b32_e64 v5, v6, 1, vcc_lo
.LBB233_73:
	s_or_b32 exec_lo, exec_lo, s2
	v_mov_b32_e32 v8, v5
.LBB233_74:
	s_or_b32 exec_lo, exec_lo, s0
.LBB233_75:
	s_or_b32 exec_lo, exec_lo, s1
.LBB233_76:
	s_load_dword s0, s[4:5], 0x50
	s_mov_b32 s1, exec_lo
	v_cmpx_eq_u32_e32 0, v0
	s_cbranch_execz .LBB233_78
; %bb.77:
	s_mul_i32 s1, s18, s17
	s_mul_hi_u32 s2, s18, s16
	s_mul_i32 s3, s19, s16
	s_add_i32 s1, s2, s1
	s_mul_i32 s2, s18, s16
	s_add_i32 s3, s1, s3
	v_mov_b32_e32 v0, 0
	s_lshl_b64 s[2:3], s[2:3], 4
	s_add_u32 s1, s14, s2
	s_addc_u32 s4, s15, s3
	s_cmp_eq_u64 s[12:13], 0
	s_cselect_b32 s5, -1, 0
	s_lshl_b64 s[2:3], s[6:7], 4
	s_waitcnt lgkmcnt(0)
	v_cndmask_b32_e64 v3, v8, s0, s5
	v_cndmask_b32_e64 v2, v2, s9, s5
	;; [unrolled: 1-line block ×3, first 2 shown]
	s_add_u32 s0, s1, s2
	s_addc_u32 s1, s4, s3
	global_store_byte v0, v3, s[0:1]
	global_store_dwordx2 v0, v[1:2], s[0:1] offset:8
.LBB233_78:
	s_endpgm
	.section	.rodata,"a",@progbits
	.p2align	6, 0x0
	.amdhsa_kernel _ZN7rocprim17ROCPRIM_400000_NS6detail17trampoline_kernelINS0_14default_configENS1_22reduce_config_selectorIN6thrust23THRUST_200600_302600_NS5tupleIblNS6_9null_typeES8_S8_S8_S8_S8_S8_S8_EEEEZNS1_11reduce_implILb1ES3_NS6_12zip_iteratorINS7_INS6_11hip_rocprim26transform_input_iterator_tIbNSD_35transform_pair_of_input_iterators_tIbNS6_6detail15normal_iteratorINS6_10device_ptrIKxEEEESL_NS6_8equal_toIxEEEENSG_9not_fun_tINSD_8identityEEEEENSD_19counting_iterator_tIlEES8_S8_S8_S8_S8_S8_S8_S8_EEEEPS9_S9_NSD_9__find_if7functorIS9_EEEE10hipError_tPvRmT1_T2_T3_mT4_P12ihipStream_tbEUlT_E0_NS1_11comp_targetILNS1_3genE8ELNS1_11target_archE1030ELNS1_3gpuE2ELNS1_3repE0EEENS1_30default_config_static_selectorELNS0_4arch9wavefront6targetE0EEEvS14_
		.amdhsa_group_segment_fixed_size 256
		.amdhsa_private_segment_fixed_size 0
		.amdhsa_kernarg_size 104
		.amdhsa_user_sgpr_count 6
		.amdhsa_user_sgpr_private_segment_buffer 1
		.amdhsa_user_sgpr_dispatch_ptr 0
		.amdhsa_user_sgpr_queue_ptr 0
		.amdhsa_user_sgpr_kernarg_segment_ptr 1
		.amdhsa_user_sgpr_dispatch_id 0
		.amdhsa_user_sgpr_flat_scratch_init 0
		.amdhsa_user_sgpr_private_segment_size 0
		.amdhsa_wavefront_size32 1
		.amdhsa_uses_dynamic_stack 0
		.amdhsa_system_sgpr_private_segment_wavefront_offset 0
		.amdhsa_system_sgpr_workgroup_id_x 1
		.amdhsa_system_sgpr_workgroup_id_y 0
		.amdhsa_system_sgpr_workgroup_id_z 0
		.amdhsa_system_sgpr_workgroup_info 0
		.amdhsa_system_vgpr_workitem_id 0
		.amdhsa_next_free_vgpr 14
		.amdhsa_next_free_sgpr 28
		.amdhsa_reserve_vcc 1
		.amdhsa_reserve_flat_scratch 0
		.amdhsa_float_round_mode_32 0
		.amdhsa_float_round_mode_16_64 0
		.amdhsa_float_denorm_mode_32 3
		.amdhsa_float_denorm_mode_16_64 3
		.amdhsa_dx10_clamp 1
		.amdhsa_ieee_mode 1
		.amdhsa_fp16_overflow 0
		.amdhsa_workgroup_processor_mode 1
		.amdhsa_memory_ordered 1
		.amdhsa_forward_progress 1
		.amdhsa_shared_vgpr_count 0
		.amdhsa_exception_fp_ieee_invalid_op 0
		.amdhsa_exception_fp_denorm_src 0
		.amdhsa_exception_fp_ieee_div_zero 0
		.amdhsa_exception_fp_ieee_overflow 0
		.amdhsa_exception_fp_ieee_underflow 0
		.amdhsa_exception_fp_ieee_inexact 0
		.amdhsa_exception_int_div_zero 0
	.end_amdhsa_kernel
	.section	.text._ZN7rocprim17ROCPRIM_400000_NS6detail17trampoline_kernelINS0_14default_configENS1_22reduce_config_selectorIN6thrust23THRUST_200600_302600_NS5tupleIblNS6_9null_typeES8_S8_S8_S8_S8_S8_S8_EEEEZNS1_11reduce_implILb1ES3_NS6_12zip_iteratorINS7_INS6_11hip_rocprim26transform_input_iterator_tIbNSD_35transform_pair_of_input_iterators_tIbNS6_6detail15normal_iteratorINS6_10device_ptrIKxEEEESL_NS6_8equal_toIxEEEENSG_9not_fun_tINSD_8identityEEEEENSD_19counting_iterator_tIlEES8_S8_S8_S8_S8_S8_S8_S8_EEEEPS9_S9_NSD_9__find_if7functorIS9_EEEE10hipError_tPvRmT1_T2_T3_mT4_P12ihipStream_tbEUlT_E0_NS1_11comp_targetILNS1_3genE8ELNS1_11target_archE1030ELNS1_3gpuE2ELNS1_3repE0EEENS1_30default_config_static_selectorELNS0_4arch9wavefront6targetE0EEEvS14_,"axG",@progbits,_ZN7rocprim17ROCPRIM_400000_NS6detail17trampoline_kernelINS0_14default_configENS1_22reduce_config_selectorIN6thrust23THRUST_200600_302600_NS5tupleIblNS6_9null_typeES8_S8_S8_S8_S8_S8_S8_EEEEZNS1_11reduce_implILb1ES3_NS6_12zip_iteratorINS7_INS6_11hip_rocprim26transform_input_iterator_tIbNSD_35transform_pair_of_input_iterators_tIbNS6_6detail15normal_iteratorINS6_10device_ptrIKxEEEESL_NS6_8equal_toIxEEEENSG_9not_fun_tINSD_8identityEEEEENSD_19counting_iterator_tIlEES8_S8_S8_S8_S8_S8_S8_S8_EEEEPS9_S9_NSD_9__find_if7functorIS9_EEEE10hipError_tPvRmT1_T2_T3_mT4_P12ihipStream_tbEUlT_E0_NS1_11comp_targetILNS1_3genE8ELNS1_11target_archE1030ELNS1_3gpuE2ELNS1_3repE0EEENS1_30default_config_static_selectorELNS0_4arch9wavefront6targetE0EEEvS14_,comdat
.Lfunc_end233:
	.size	_ZN7rocprim17ROCPRIM_400000_NS6detail17trampoline_kernelINS0_14default_configENS1_22reduce_config_selectorIN6thrust23THRUST_200600_302600_NS5tupleIblNS6_9null_typeES8_S8_S8_S8_S8_S8_S8_EEEEZNS1_11reduce_implILb1ES3_NS6_12zip_iteratorINS7_INS6_11hip_rocprim26transform_input_iterator_tIbNSD_35transform_pair_of_input_iterators_tIbNS6_6detail15normal_iteratorINS6_10device_ptrIKxEEEESL_NS6_8equal_toIxEEEENSG_9not_fun_tINSD_8identityEEEEENSD_19counting_iterator_tIlEES8_S8_S8_S8_S8_S8_S8_S8_EEEEPS9_S9_NSD_9__find_if7functorIS9_EEEE10hipError_tPvRmT1_T2_T3_mT4_P12ihipStream_tbEUlT_E0_NS1_11comp_targetILNS1_3genE8ELNS1_11target_archE1030ELNS1_3gpuE2ELNS1_3repE0EEENS1_30default_config_static_selectorELNS0_4arch9wavefront6targetE0EEEvS14_, .Lfunc_end233-_ZN7rocprim17ROCPRIM_400000_NS6detail17trampoline_kernelINS0_14default_configENS1_22reduce_config_selectorIN6thrust23THRUST_200600_302600_NS5tupleIblNS6_9null_typeES8_S8_S8_S8_S8_S8_S8_EEEEZNS1_11reduce_implILb1ES3_NS6_12zip_iteratorINS7_INS6_11hip_rocprim26transform_input_iterator_tIbNSD_35transform_pair_of_input_iterators_tIbNS6_6detail15normal_iteratorINS6_10device_ptrIKxEEEESL_NS6_8equal_toIxEEEENSG_9not_fun_tINSD_8identityEEEEENSD_19counting_iterator_tIlEES8_S8_S8_S8_S8_S8_S8_S8_EEEEPS9_S9_NSD_9__find_if7functorIS9_EEEE10hipError_tPvRmT1_T2_T3_mT4_P12ihipStream_tbEUlT_E0_NS1_11comp_targetILNS1_3genE8ELNS1_11target_archE1030ELNS1_3gpuE2ELNS1_3repE0EEENS1_30default_config_static_selectorELNS0_4arch9wavefront6targetE0EEEvS14_
                                        ; -- End function
	.set _ZN7rocprim17ROCPRIM_400000_NS6detail17trampoline_kernelINS0_14default_configENS1_22reduce_config_selectorIN6thrust23THRUST_200600_302600_NS5tupleIblNS6_9null_typeES8_S8_S8_S8_S8_S8_S8_EEEEZNS1_11reduce_implILb1ES3_NS6_12zip_iteratorINS7_INS6_11hip_rocprim26transform_input_iterator_tIbNSD_35transform_pair_of_input_iterators_tIbNS6_6detail15normal_iteratorINS6_10device_ptrIKxEEEESL_NS6_8equal_toIxEEEENSG_9not_fun_tINSD_8identityEEEEENSD_19counting_iterator_tIlEES8_S8_S8_S8_S8_S8_S8_S8_EEEEPS9_S9_NSD_9__find_if7functorIS9_EEEE10hipError_tPvRmT1_T2_T3_mT4_P12ihipStream_tbEUlT_E0_NS1_11comp_targetILNS1_3genE8ELNS1_11target_archE1030ELNS1_3gpuE2ELNS1_3repE0EEENS1_30default_config_static_selectorELNS0_4arch9wavefront6targetE0EEEvS14_.num_vgpr, 14
	.set _ZN7rocprim17ROCPRIM_400000_NS6detail17trampoline_kernelINS0_14default_configENS1_22reduce_config_selectorIN6thrust23THRUST_200600_302600_NS5tupleIblNS6_9null_typeES8_S8_S8_S8_S8_S8_S8_EEEEZNS1_11reduce_implILb1ES3_NS6_12zip_iteratorINS7_INS6_11hip_rocprim26transform_input_iterator_tIbNSD_35transform_pair_of_input_iterators_tIbNS6_6detail15normal_iteratorINS6_10device_ptrIKxEEEESL_NS6_8equal_toIxEEEENSG_9not_fun_tINSD_8identityEEEEENSD_19counting_iterator_tIlEES8_S8_S8_S8_S8_S8_S8_S8_EEEEPS9_S9_NSD_9__find_if7functorIS9_EEEE10hipError_tPvRmT1_T2_T3_mT4_P12ihipStream_tbEUlT_E0_NS1_11comp_targetILNS1_3genE8ELNS1_11target_archE1030ELNS1_3gpuE2ELNS1_3repE0EEENS1_30default_config_static_selectorELNS0_4arch9wavefront6targetE0EEEvS14_.num_agpr, 0
	.set _ZN7rocprim17ROCPRIM_400000_NS6detail17trampoline_kernelINS0_14default_configENS1_22reduce_config_selectorIN6thrust23THRUST_200600_302600_NS5tupleIblNS6_9null_typeES8_S8_S8_S8_S8_S8_S8_EEEEZNS1_11reduce_implILb1ES3_NS6_12zip_iteratorINS7_INS6_11hip_rocprim26transform_input_iterator_tIbNSD_35transform_pair_of_input_iterators_tIbNS6_6detail15normal_iteratorINS6_10device_ptrIKxEEEESL_NS6_8equal_toIxEEEENSG_9not_fun_tINSD_8identityEEEEENSD_19counting_iterator_tIlEES8_S8_S8_S8_S8_S8_S8_S8_EEEEPS9_S9_NSD_9__find_if7functorIS9_EEEE10hipError_tPvRmT1_T2_T3_mT4_P12ihipStream_tbEUlT_E0_NS1_11comp_targetILNS1_3genE8ELNS1_11target_archE1030ELNS1_3gpuE2ELNS1_3repE0EEENS1_30default_config_static_selectorELNS0_4arch9wavefront6targetE0EEEvS14_.numbered_sgpr, 28
	.set _ZN7rocprim17ROCPRIM_400000_NS6detail17trampoline_kernelINS0_14default_configENS1_22reduce_config_selectorIN6thrust23THRUST_200600_302600_NS5tupleIblNS6_9null_typeES8_S8_S8_S8_S8_S8_S8_EEEEZNS1_11reduce_implILb1ES3_NS6_12zip_iteratorINS7_INS6_11hip_rocprim26transform_input_iterator_tIbNSD_35transform_pair_of_input_iterators_tIbNS6_6detail15normal_iteratorINS6_10device_ptrIKxEEEESL_NS6_8equal_toIxEEEENSG_9not_fun_tINSD_8identityEEEEENSD_19counting_iterator_tIlEES8_S8_S8_S8_S8_S8_S8_S8_EEEEPS9_S9_NSD_9__find_if7functorIS9_EEEE10hipError_tPvRmT1_T2_T3_mT4_P12ihipStream_tbEUlT_E0_NS1_11comp_targetILNS1_3genE8ELNS1_11target_archE1030ELNS1_3gpuE2ELNS1_3repE0EEENS1_30default_config_static_selectorELNS0_4arch9wavefront6targetE0EEEvS14_.num_named_barrier, 0
	.set _ZN7rocprim17ROCPRIM_400000_NS6detail17trampoline_kernelINS0_14default_configENS1_22reduce_config_selectorIN6thrust23THRUST_200600_302600_NS5tupleIblNS6_9null_typeES8_S8_S8_S8_S8_S8_S8_EEEEZNS1_11reduce_implILb1ES3_NS6_12zip_iteratorINS7_INS6_11hip_rocprim26transform_input_iterator_tIbNSD_35transform_pair_of_input_iterators_tIbNS6_6detail15normal_iteratorINS6_10device_ptrIKxEEEESL_NS6_8equal_toIxEEEENSG_9not_fun_tINSD_8identityEEEEENSD_19counting_iterator_tIlEES8_S8_S8_S8_S8_S8_S8_S8_EEEEPS9_S9_NSD_9__find_if7functorIS9_EEEE10hipError_tPvRmT1_T2_T3_mT4_P12ihipStream_tbEUlT_E0_NS1_11comp_targetILNS1_3genE8ELNS1_11target_archE1030ELNS1_3gpuE2ELNS1_3repE0EEENS1_30default_config_static_selectorELNS0_4arch9wavefront6targetE0EEEvS14_.private_seg_size, 0
	.set _ZN7rocprim17ROCPRIM_400000_NS6detail17trampoline_kernelINS0_14default_configENS1_22reduce_config_selectorIN6thrust23THRUST_200600_302600_NS5tupleIblNS6_9null_typeES8_S8_S8_S8_S8_S8_S8_EEEEZNS1_11reduce_implILb1ES3_NS6_12zip_iteratorINS7_INS6_11hip_rocprim26transform_input_iterator_tIbNSD_35transform_pair_of_input_iterators_tIbNS6_6detail15normal_iteratorINS6_10device_ptrIKxEEEESL_NS6_8equal_toIxEEEENSG_9not_fun_tINSD_8identityEEEEENSD_19counting_iterator_tIlEES8_S8_S8_S8_S8_S8_S8_S8_EEEEPS9_S9_NSD_9__find_if7functorIS9_EEEE10hipError_tPvRmT1_T2_T3_mT4_P12ihipStream_tbEUlT_E0_NS1_11comp_targetILNS1_3genE8ELNS1_11target_archE1030ELNS1_3gpuE2ELNS1_3repE0EEENS1_30default_config_static_selectorELNS0_4arch9wavefront6targetE0EEEvS14_.uses_vcc, 1
	.set _ZN7rocprim17ROCPRIM_400000_NS6detail17trampoline_kernelINS0_14default_configENS1_22reduce_config_selectorIN6thrust23THRUST_200600_302600_NS5tupleIblNS6_9null_typeES8_S8_S8_S8_S8_S8_S8_EEEEZNS1_11reduce_implILb1ES3_NS6_12zip_iteratorINS7_INS6_11hip_rocprim26transform_input_iterator_tIbNSD_35transform_pair_of_input_iterators_tIbNS6_6detail15normal_iteratorINS6_10device_ptrIKxEEEESL_NS6_8equal_toIxEEEENSG_9not_fun_tINSD_8identityEEEEENSD_19counting_iterator_tIlEES8_S8_S8_S8_S8_S8_S8_S8_EEEEPS9_S9_NSD_9__find_if7functorIS9_EEEE10hipError_tPvRmT1_T2_T3_mT4_P12ihipStream_tbEUlT_E0_NS1_11comp_targetILNS1_3genE8ELNS1_11target_archE1030ELNS1_3gpuE2ELNS1_3repE0EEENS1_30default_config_static_selectorELNS0_4arch9wavefront6targetE0EEEvS14_.uses_flat_scratch, 0
	.set _ZN7rocprim17ROCPRIM_400000_NS6detail17trampoline_kernelINS0_14default_configENS1_22reduce_config_selectorIN6thrust23THRUST_200600_302600_NS5tupleIblNS6_9null_typeES8_S8_S8_S8_S8_S8_S8_EEEEZNS1_11reduce_implILb1ES3_NS6_12zip_iteratorINS7_INS6_11hip_rocprim26transform_input_iterator_tIbNSD_35transform_pair_of_input_iterators_tIbNS6_6detail15normal_iteratorINS6_10device_ptrIKxEEEESL_NS6_8equal_toIxEEEENSG_9not_fun_tINSD_8identityEEEEENSD_19counting_iterator_tIlEES8_S8_S8_S8_S8_S8_S8_S8_EEEEPS9_S9_NSD_9__find_if7functorIS9_EEEE10hipError_tPvRmT1_T2_T3_mT4_P12ihipStream_tbEUlT_E0_NS1_11comp_targetILNS1_3genE8ELNS1_11target_archE1030ELNS1_3gpuE2ELNS1_3repE0EEENS1_30default_config_static_selectorELNS0_4arch9wavefront6targetE0EEEvS14_.has_dyn_sized_stack, 0
	.set _ZN7rocprim17ROCPRIM_400000_NS6detail17trampoline_kernelINS0_14default_configENS1_22reduce_config_selectorIN6thrust23THRUST_200600_302600_NS5tupleIblNS6_9null_typeES8_S8_S8_S8_S8_S8_S8_EEEEZNS1_11reduce_implILb1ES3_NS6_12zip_iteratorINS7_INS6_11hip_rocprim26transform_input_iterator_tIbNSD_35transform_pair_of_input_iterators_tIbNS6_6detail15normal_iteratorINS6_10device_ptrIKxEEEESL_NS6_8equal_toIxEEEENSG_9not_fun_tINSD_8identityEEEEENSD_19counting_iterator_tIlEES8_S8_S8_S8_S8_S8_S8_S8_EEEEPS9_S9_NSD_9__find_if7functorIS9_EEEE10hipError_tPvRmT1_T2_T3_mT4_P12ihipStream_tbEUlT_E0_NS1_11comp_targetILNS1_3genE8ELNS1_11target_archE1030ELNS1_3gpuE2ELNS1_3repE0EEENS1_30default_config_static_selectorELNS0_4arch9wavefront6targetE0EEEvS14_.has_recursion, 0
	.set _ZN7rocprim17ROCPRIM_400000_NS6detail17trampoline_kernelINS0_14default_configENS1_22reduce_config_selectorIN6thrust23THRUST_200600_302600_NS5tupleIblNS6_9null_typeES8_S8_S8_S8_S8_S8_S8_EEEEZNS1_11reduce_implILb1ES3_NS6_12zip_iteratorINS7_INS6_11hip_rocprim26transform_input_iterator_tIbNSD_35transform_pair_of_input_iterators_tIbNS6_6detail15normal_iteratorINS6_10device_ptrIKxEEEESL_NS6_8equal_toIxEEEENSG_9not_fun_tINSD_8identityEEEEENSD_19counting_iterator_tIlEES8_S8_S8_S8_S8_S8_S8_S8_EEEEPS9_S9_NSD_9__find_if7functorIS9_EEEE10hipError_tPvRmT1_T2_T3_mT4_P12ihipStream_tbEUlT_E0_NS1_11comp_targetILNS1_3genE8ELNS1_11target_archE1030ELNS1_3gpuE2ELNS1_3repE0EEENS1_30default_config_static_selectorELNS0_4arch9wavefront6targetE0EEEvS14_.has_indirect_call, 0
	.section	.AMDGPU.csdata,"",@progbits
; Kernel info:
; codeLenInByte = 3248
; TotalNumSgprs: 30
; NumVgprs: 14
; ScratchSize: 0
; MemoryBound: 0
; FloatMode: 240
; IeeeMode: 1
; LDSByteSize: 256 bytes/workgroup (compile time only)
; SGPRBlocks: 0
; VGPRBlocks: 1
; NumSGPRsForWavesPerEU: 30
; NumVGPRsForWavesPerEU: 14
; Occupancy: 16
; WaveLimiterHint : 0
; COMPUTE_PGM_RSRC2:SCRATCH_EN: 0
; COMPUTE_PGM_RSRC2:USER_SGPR: 6
; COMPUTE_PGM_RSRC2:TRAP_HANDLER: 0
; COMPUTE_PGM_RSRC2:TGID_X_EN: 1
; COMPUTE_PGM_RSRC2:TGID_Y_EN: 0
; COMPUTE_PGM_RSRC2:TGID_Z_EN: 0
; COMPUTE_PGM_RSRC2:TIDIG_COMP_CNT: 0
	.section	.text._ZN7rocprim17ROCPRIM_400000_NS6detail17trampoline_kernelINS0_14default_configENS1_22reduce_config_selectorIN6thrust23THRUST_200600_302600_NS5tupleIblNS6_9null_typeES8_S8_S8_S8_S8_S8_S8_EEEEZNS1_11reduce_implILb1ES3_NS6_12zip_iteratorINS7_INS6_11hip_rocprim26transform_input_iterator_tIbNSD_35transform_pair_of_input_iterators_tIbNS6_6detail15normal_iteratorINS6_10device_ptrIKxEEEESL_NS6_8equal_toIxEEEENSG_9not_fun_tINSD_8identityEEEEENSD_19counting_iterator_tIlEES8_S8_S8_S8_S8_S8_S8_S8_EEEEPS9_S9_NSD_9__find_if7functorIS9_EEEE10hipError_tPvRmT1_T2_T3_mT4_P12ihipStream_tbEUlT_E1_NS1_11comp_targetILNS1_3genE0ELNS1_11target_archE4294967295ELNS1_3gpuE0ELNS1_3repE0EEENS1_30default_config_static_selectorELNS0_4arch9wavefront6targetE0EEEvS14_,"axG",@progbits,_ZN7rocprim17ROCPRIM_400000_NS6detail17trampoline_kernelINS0_14default_configENS1_22reduce_config_selectorIN6thrust23THRUST_200600_302600_NS5tupleIblNS6_9null_typeES8_S8_S8_S8_S8_S8_S8_EEEEZNS1_11reduce_implILb1ES3_NS6_12zip_iteratorINS7_INS6_11hip_rocprim26transform_input_iterator_tIbNSD_35transform_pair_of_input_iterators_tIbNS6_6detail15normal_iteratorINS6_10device_ptrIKxEEEESL_NS6_8equal_toIxEEEENSG_9not_fun_tINSD_8identityEEEEENSD_19counting_iterator_tIlEES8_S8_S8_S8_S8_S8_S8_S8_EEEEPS9_S9_NSD_9__find_if7functorIS9_EEEE10hipError_tPvRmT1_T2_T3_mT4_P12ihipStream_tbEUlT_E1_NS1_11comp_targetILNS1_3genE0ELNS1_11target_archE4294967295ELNS1_3gpuE0ELNS1_3repE0EEENS1_30default_config_static_selectorELNS0_4arch9wavefront6targetE0EEEvS14_,comdat
	.protected	_ZN7rocprim17ROCPRIM_400000_NS6detail17trampoline_kernelINS0_14default_configENS1_22reduce_config_selectorIN6thrust23THRUST_200600_302600_NS5tupleIblNS6_9null_typeES8_S8_S8_S8_S8_S8_S8_EEEEZNS1_11reduce_implILb1ES3_NS6_12zip_iteratorINS7_INS6_11hip_rocprim26transform_input_iterator_tIbNSD_35transform_pair_of_input_iterators_tIbNS6_6detail15normal_iteratorINS6_10device_ptrIKxEEEESL_NS6_8equal_toIxEEEENSG_9not_fun_tINSD_8identityEEEEENSD_19counting_iterator_tIlEES8_S8_S8_S8_S8_S8_S8_S8_EEEEPS9_S9_NSD_9__find_if7functorIS9_EEEE10hipError_tPvRmT1_T2_T3_mT4_P12ihipStream_tbEUlT_E1_NS1_11comp_targetILNS1_3genE0ELNS1_11target_archE4294967295ELNS1_3gpuE0ELNS1_3repE0EEENS1_30default_config_static_selectorELNS0_4arch9wavefront6targetE0EEEvS14_ ; -- Begin function _ZN7rocprim17ROCPRIM_400000_NS6detail17trampoline_kernelINS0_14default_configENS1_22reduce_config_selectorIN6thrust23THRUST_200600_302600_NS5tupleIblNS6_9null_typeES8_S8_S8_S8_S8_S8_S8_EEEEZNS1_11reduce_implILb1ES3_NS6_12zip_iteratorINS7_INS6_11hip_rocprim26transform_input_iterator_tIbNSD_35transform_pair_of_input_iterators_tIbNS6_6detail15normal_iteratorINS6_10device_ptrIKxEEEESL_NS6_8equal_toIxEEEENSG_9not_fun_tINSD_8identityEEEEENSD_19counting_iterator_tIlEES8_S8_S8_S8_S8_S8_S8_S8_EEEEPS9_S9_NSD_9__find_if7functorIS9_EEEE10hipError_tPvRmT1_T2_T3_mT4_P12ihipStream_tbEUlT_E1_NS1_11comp_targetILNS1_3genE0ELNS1_11target_archE4294967295ELNS1_3gpuE0ELNS1_3repE0EEENS1_30default_config_static_selectorELNS0_4arch9wavefront6targetE0EEEvS14_
	.globl	_ZN7rocprim17ROCPRIM_400000_NS6detail17trampoline_kernelINS0_14default_configENS1_22reduce_config_selectorIN6thrust23THRUST_200600_302600_NS5tupleIblNS6_9null_typeES8_S8_S8_S8_S8_S8_S8_EEEEZNS1_11reduce_implILb1ES3_NS6_12zip_iteratorINS7_INS6_11hip_rocprim26transform_input_iterator_tIbNSD_35transform_pair_of_input_iterators_tIbNS6_6detail15normal_iteratorINS6_10device_ptrIKxEEEESL_NS6_8equal_toIxEEEENSG_9not_fun_tINSD_8identityEEEEENSD_19counting_iterator_tIlEES8_S8_S8_S8_S8_S8_S8_S8_EEEEPS9_S9_NSD_9__find_if7functorIS9_EEEE10hipError_tPvRmT1_T2_T3_mT4_P12ihipStream_tbEUlT_E1_NS1_11comp_targetILNS1_3genE0ELNS1_11target_archE4294967295ELNS1_3gpuE0ELNS1_3repE0EEENS1_30default_config_static_selectorELNS0_4arch9wavefront6targetE0EEEvS14_
	.p2align	8
	.type	_ZN7rocprim17ROCPRIM_400000_NS6detail17trampoline_kernelINS0_14default_configENS1_22reduce_config_selectorIN6thrust23THRUST_200600_302600_NS5tupleIblNS6_9null_typeES8_S8_S8_S8_S8_S8_S8_EEEEZNS1_11reduce_implILb1ES3_NS6_12zip_iteratorINS7_INS6_11hip_rocprim26transform_input_iterator_tIbNSD_35transform_pair_of_input_iterators_tIbNS6_6detail15normal_iteratorINS6_10device_ptrIKxEEEESL_NS6_8equal_toIxEEEENSG_9not_fun_tINSD_8identityEEEEENSD_19counting_iterator_tIlEES8_S8_S8_S8_S8_S8_S8_S8_EEEEPS9_S9_NSD_9__find_if7functorIS9_EEEE10hipError_tPvRmT1_T2_T3_mT4_P12ihipStream_tbEUlT_E1_NS1_11comp_targetILNS1_3genE0ELNS1_11target_archE4294967295ELNS1_3gpuE0ELNS1_3repE0EEENS1_30default_config_static_selectorELNS0_4arch9wavefront6targetE0EEEvS14_,@function
_ZN7rocprim17ROCPRIM_400000_NS6detail17trampoline_kernelINS0_14default_configENS1_22reduce_config_selectorIN6thrust23THRUST_200600_302600_NS5tupleIblNS6_9null_typeES8_S8_S8_S8_S8_S8_S8_EEEEZNS1_11reduce_implILb1ES3_NS6_12zip_iteratorINS7_INS6_11hip_rocprim26transform_input_iterator_tIbNSD_35transform_pair_of_input_iterators_tIbNS6_6detail15normal_iteratorINS6_10device_ptrIKxEEEESL_NS6_8equal_toIxEEEENSG_9not_fun_tINSD_8identityEEEEENSD_19counting_iterator_tIlEES8_S8_S8_S8_S8_S8_S8_S8_EEEEPS9_S9_NSD_9__find_if7functorIS9_EEEE10hipError_tPvRmT1_T2_T3_mT4_P12ihipStream_tbEUlT_E1_NS1_11comp_targetILNS1_3genE0ELNS1_11target_archE4294967295ELNS1_3gpuE0ELNS1_3repE0EEENS1_30default_config_static_selectorELNS0_4arch9wavefront6targetE0EEEvS14_: ; @_ZN7rocprim17ROCPRIM_400000_NS6detail17trampoline_kernelINS0_14default_configENS1_22reduce_config_selectorIN6thrust23THRUST_200600_302600_NS5tupleIblNS6_9null_typeES8_S8_S8_S8_S8_S8_S8_EEEEZNS1_11reduce_implILb1ES3_NS6_12zip_iteratorINS7_INS6_11hip_rocprim26transform_input_iterator_tIbNSD_35transform_pair_of_input_iterators_tIbNS6_6detail15normal_iteratorINS6_10device_ptrIKxEEEESL_NS6_8equal_toIxEEEENSG_9not_fun_tINSD_8identityEEEEENSD_19counting_iterator_tIlEES8_S8_S8_S8_S8_S8_S8_S8_EEEEPS9_S9_NSD_9__find_if7functorIS9_EEEE10hipError_tPvRmT1_T2_T3_mT4_P12ihipStream_tbEUlT_E1_NS1_11comp_targetILNS1_3genE0ELNS1_11target_archE4294967295ELNS1_3gpuE0ELNS1_3repE0EEENS1_30default_config_static_selectorELNS0_4arch9wavefront6targetE0EEEvS14_
; %bb.0:
	.section	.rodata,"a",@progbits
	.p2align	6, 0x0
	.amdhsa_kernel _ZN7rocprim17ROCPRIM_400000_NS6detail17trampoline_kernelINS0_14default_configENS1_22reduce_config_selectorIN6thrust23THRUST_200600_302600_NS5tupleIblNS6_9null_typeES8_S8_S8_S8_S8_S8_S8_EEEEZNS1_11reduce_implILb1ES3_NS6_12zip_iteratorINS7_INS6_11hip_rocprim26transform_input_iterator_tIbNSD_35transform_pair_of_input_iterators_tIbNS6_6detail15normal_iteratorINS6_10device_ptrIKxEEEESL_NS6_8equal_toIxEEEENSG_9not_fun_tINSD_8identityEEEEENSD_19counting_iterator_tIlEES8_S8_S8_S8_S8_S8_S8_S8_EEEEPS9_S9_NSD_9__find_if7functorIS9_EEEE10hipError_tPvRmT1_T2_T3_mT4_P12ihipStream_tbEUlT_E1_NS1_11comp_targetILNS1_3genE0ELNS1_11target_archE4294967295ELNS1_3gpuE0ELNS1_3repE0EEENS1_30default_config_static_selectorELNS0_4arch9wavefront6targetE0EEEvS14_
		.amdhsa_group_segment_fixed_size 0
		.amdhsa_private_segment_fixed_size 0
		.amdhsa_kernarg_size 88
		.amdhsa_user_sgpr_count 6
		.amdhsa_user_sgpr_private_segment_buffer 1
		.amdhsa_user_sgpr_dispatch_ptr 0
		.amdhsa_user_sgpr_queue_ptr 0
		.amdhsa_user_sgpr_kernarg_segment_ptr 1
		.amdhsa_user_sgpr_dispatch_id 0
		.amdhsa_user_sgpr_flat_scratch_init 0
		.amdhsa_user_sgpr_private_segment_size 0
		.amdhsa_wavefront_size32 1
		.amdhsa_uses_dynamic_stack 0
		.amdhsa_system_sgpr_private_segment_wavefront_offset 0
		.amdhsa_system_sgpr_workgroup_id_x 1
		.amdhsa_system_sgpr_workgroup_id_y 0
		.amdhsa_system_sgpr_workgroup_id_z 0
		.amdhsa_system_sgpr_workgroup_info 0
		.amdhsa_system_vgpr_workitem_id 0
		.amdhsa_next_free_vgpr 1
		.amdhsa_next_free_sgpr 1
		.amdhsa_reserve_vcc 0
		.amdhsa_reserve_flat_scratch 0
		.amdhsa_float_round_mode_32 0
		.amdhsa_float_round_mode_16_64 0
		.amdhsa_float_denorm_mode_32 3
		.amdhsa_float_denorm_mode_16_64 3
		.amdhsa_dx10_clamp 1
		.amdhsa_ieee_mode 1
		.amdhsa_fp16_overflow 0
		.amdhsa_workgroup_processor_mode 1
		.amdhsa_memory_ordered 1
		.amdhsa_forward_progress 1
		.amdhsa_shared_vgpr_count 0
		.amdhsa_exception_fp_ieee_invalid_op 0
		.amdhsa_exception_fp_denorm_src 0
		.amdhsa_exception_fp_ieee_div_zero 0
		.amdhsa_exception_fp_ieee_overflow 0
		.amdhsa_exception_fp_ieee_underflow 0
		.amdhsa_exception_fp_ieee_inexact 0
		.amdhsa_exception_int_div_zero 0
	.end_amdhsa_kernel
	.section	.text._ZN7rocprim17ROCPRIM_400000_NS6detail17trampoline_kernelINS0_14default_configENS1_22reduce_config_selectorIN6thrust23THRUST_200600_302600_NS5tupleIblNS6_9null_typeES8_S8_S8_S8_S8_S8_S8_EEEEZNS1_11reduce_implILb1ES3_NS6_12zip_iteratorINS7_INS6_11hip_rocprim26transform_input_iterator_tIbNSD_35transform_pair_of_input_iterators_tIbNS6_6detail15normal_iteratorINS6_10device_ptrIKxEEEESL_NS6_8equal_toIxEEEENSG_9not_fun_tINSD_8identityEEEEENSD_19counting_iterator_tIlEES8_S8_S8_S8_S8_S8_S8_S8_EEEEPS9_S9_NSD_9__find_if7functorIS9_EEEE10hipError_tPvRmT1_T2_T3_mT4_P12ihipStream_tbEUlT_E1_NS1_11comp_targetILNS1_3genE0ELNS1_11target_archE4294967295ELNS1_3gpuE0ELNS1_3repE0EEENS1_30default_config_static_selectorELNS0_4arch9wavefront6targetE0EEEvS14_,"axG",@progbits,_ZN7rocprim17ROCPRIM_400000_NS6detail17trampoline_kernelINS0_14default_configENS1_22reduce_config_selectorIN6thrust23THRUST_200600_302600_NS5tupleIblNS6_9null_typeES8_S8_S8_S8_S8_S8_S8_EEEEZNS1_11reduce_implILb1ES3_NS6_12zip_iteratorINS7_INS6_11hip_rocprim26transform_input_iterator_tIbNSD_35transform_pair_of_input_iterators_tIbNS6_6detail15normal_iteratorINS6_10device_ptrIKxEEEESL_NS6_8equal_toIxEEEENSG_9not_fun_tINSD_8identityEEEEENSD_19counting_iterator_tIlEES8_S8_S8_S8_S8_S8_S8_S8_EEEEPS9_S9_NSD_9__find_if7functorIS9_EEEE10hipError_tPvRmT1_T2_T3_mT4_P12ihipStream_tbEUlT_E1_NS1_11comp_targetILNS1_3genE0ELNS1_11target_archE4294967295ELNS1_3gpuE0ELNS1_3repE0EEENS1_30default_config_static_selectorELNS0_4arch9wavefront6targetE0EEEvS14_,comdat
.Lfunc_end234:
	.size	_ZN7rocprim17ROCPRIM_400000_NS6detail17trampoline_kernelINS0_14default_configENS1_22reduce_config_selectorIN6thrust23THRUST_200600_302600_NS5tupleIblNS6_9null_typeES8_S8_S8_S8_S8_S8_S8_EEEEZNS1_11reduce_implILb1ES3_NS6_12zip_iteratorINS7_INS6_11hip_rocprim26transform_input_iterator_tIbNSD_35transform_pair_of_input_iterators_tIbNS6_6detail15normal_iteratorINS6_10device_ptrIKxEEEESL_NS6_8equal_toIxEEEENSG_9not_fun_tINSD_8identityEEEEENSD_19counting_iterator_tIlEES8_S8_S8_S8_S8_S8_S8_S8_EEEEPS9_S9_NSD_9__find_if7functorIS9_EEEE10hipError_tPvRmT1_T2_T3_mT4_P12ihipStream_tbEUlT_E1_NS1_11comp_targetILNS1_3genE0ELNS1_11target_archE4294967295ELNS1_3gpuE0ELNS1_3repE0EEENS1_30default_config_static_selectorELNS0_4arch9wavefront6targetE0EEEvS14_, .Lfunc_end234-_ZN7rocprim17ROCPRIM_400000_NS6detail17trampoline_kernelINS0_14default_configENS1_22reduce_config_selectorIN6thrust23THRUST_200600_302600_NS5tupleIblNS6_9null_typeES8_S8_S8_S8_S8_S8_S8_EEEEZNS1_11reduce_implILb1ES3_NS6_12zip_iteratorINS7_INS6_11hip_rocprim26transform_input_iterator_tIbNSD_35transform_pair_of_input_iterators_tIbNS6_6detail15normal_iteratorINS6_10device_ptrIKxEEEESL_NS6_8equal_toIxEEEENSG_9not_fun_tINSD_8identityEEEEENSD_19counting_iterator_tIlEES8_S8_S8_S8_S8_S8_S8_S8_EEEEPS9_S9_NSD_9__find_if7functorIS9_EEEE10hipError_tPvRmT1_T2_T3_mT4_P12ihipStream_tbEUlT_E1_NS1_11comp_targetILNS1_3genE0ELNS1_11target_archE4294967295ELNS1_3gpuE0ELNS1_3repE0EEENS1_30default_config_static_selectorELNS0_4arch9wavefront6targetE0EEEvS14_
                                        ; -- End function
	.set _ZN7rocprim17ROCPRIM_400000_NS6detail17trampoline_kernelINS0_14default_configENS1_22reduce_config_selectorIN6thrust23THRUST_200600_302600_NS5tupleIblNS6_9null_typeES8_S8_S8_S8_S8_S8_S8_EEEEZNS1_11reduce_implILb1ES3_NS6_12zip_iteratorINS7_INS6_11hip_rocprim26transform_input_iterator_tIbNSD_35transform_pair_of_input_iterators_tIbNS6_6detail15normal_iteratorINS6_10device_ptrIKxEEEESL_NS6_8equal_toIxEEEENSG_9not_fun_tINSD_8identityEEEEENSD_19counting_iterator_tIlEES8_S8_S8_S8_S8_S8_S8_S8_EEEEPS9_S9_NSD_9__find_if7functorIS9_EEEE10hipError_tPvRmT1_T2_T3_mT4_P12ihipStream_tbEUlT_E1_NS1_11comp_targetILNS1_3genE0ELNS1_11target_archE4294967295ELNS1_3gpuE0ELNS1_3repE0EEENS1_30default_config_static_selectorELNS0_4arch9wavefront6targetE0EEEvS14_.num_vgpr, 0
	.set _ZN7rocprim17ROCPRIM_400000_NS6detail17trampoline_kernelINS0_14default_configENS1_22reduce_config_selectorIN6thrust23THRUST_200600_302600_NS5tupleIblNS6_9null_typeES8_S8_S8_S8_S8_S8_S8_EEEEZNS1_11reduce_implILb1ES3_NS6_12zip_iteratorINS7_INS6_11hip_rocprim26transform_input_iterator_tIbNSD_35transform_pair_of_input_iterators_tIbNS6_6detail15normal_iteratorINS6_10device_ptrIKxEEEESL_NS6_8equal_toIxEEEENSG_9not_fun_tINSD_8identityEEEEENSD_19counting_iterator_tIlEES8_S8_S8_S8_S8_S8_S8_S8_EEEEPS9_S9_NSD_9__find_if7functorIS9_EEEE10hipError_tPvRmT1_T2_T3_mT4_P12ihipStream_tbEUlT_E1_NS1_11comp_targetILNS1_3genE0ELNS1_11target_archE4294967295ELNS1_3gpuE0ELNS1_3repE0EEENS1_30default_config_static_selectorELNS0_4arch9wavefront6targetE0EEEvS14_.num_agpr, 0
	.set _ZN7rocprim17ROCPRIM_400000_NS6detail17trampoline_kernelINS0_14default_configENS1_22reduce_config_selectorIN6thrust23THRUST_200600_302600_NS5tupleIblNS6_9null_typeES8_S8_S8_S8_S8_S8_S8_EEEEZNS1_11reduce_implILb1ES3_NS6_12zip_iteratorINS7_INS6_11hip_rocprim26transform_input_iterator_tIbNSD_35transform_pair_of_input_iterators_tIbNS6_6detail15normal_iteratorINS6_10device_ptrIKxEEEESL_NS6_8equal_toIxEEEENSG_9not_fun_tINSD_8identityEEEEENSD_19counting_iterator_tIlEES8_S8_S8_S8_S8_S8_S8_S8_EEEEPS9_S9_NSD_9__find_if7functorIS9_EEEE10hipError_tPvRmT1_T2_T3_mT4_P12ihipStream_tbEUlT_E1_NS1_11comp_targetILNS1_3genE0ELNS1_11target_archE4294967295ELNS1_3gpuE0ELNS1_3repE0EEENS1_30default_config_static_selectorELNS0_4arch9wavefront6targetE0EEEvS14_.numbered_sgpr, 0
	.set _ZN7rocprim17ROCPRIM_400000_NS6detail17trampoline_kernelINS0_14default_configENS1_22reduce_config_selectorIN6thrust23THRUST_200600_302600_NS5tupleIblNS6_9null_typeES8_S8_S8_S8_S8_S8_S8_EEEEZNS1_11reduce_implILb1ES3_NS6_12zip_iteratorINS7_INS6_11hip_rocprim26transform_input_iterator_tIbNSD_35transform_pair_of_input_iterators_tIbNS6_6detail15normal_iteratorINS6_10device_ptrIKxEEEESL_NS6_8equal_toIxEEEENSG_9not_fun_tINSD_8identityEEEEENSD_19counting_iterator_tIlEES8_S8_S8_S8_S8_S8_S8_S8_EEEEPS9_S9_NSD_9__find_if7functorIS9_EEEE10hipError_tPvRmT1_T2_T3_mT4_P12ihipStream_tbEUlT_E1_NS1_11comp_targetILNS1_3genE0ELNS1_11target_archE4294967295ELNS1_3gpuE0ELNS1_3repE0EEENS1_30default_config_static_selectorELNS0_4arch9wavefront6targetE0EEEvS14_.num_named_barrier, 0
	.set _ZN7rocprim17ROCPRIM_400000_NS6detail17trampoline_kernelINS0_14default_configENS1_22reduce_config_selectorIN6thrust23THRUST_200600_302600_NS5tupleIblNS6_9null_typeES8_S8_S8_S8_S8_S8_S8_EEEEZNS1_11reduce_implILb1ES3_NS6_12zip_iteratorINS7_INS6_11hip_rocprim26transform_input_iterator_tIbNSD_35transform_pair_of_input_iterators_tIbNS6_6detail15normal_iteratorINS6_10device_ptrIKxEEEESL_NS6_8equal_toIxEEEENSG_9not_fun_tINSD_8identityEEEEENSD_19counting_iterator_tIlEES8_S8_S8_S8_S8_S8_S8_S8_EEEEPS9_S9_NSD_9__find_if7functorIS9_EEEE10hipError_tPvRmT1_T2_T3_mT4_P12ihipStream_tbEUlT_E1_NS1_11comp_targetILNS1_3genE0ELNS1_11target_archE4294967295ELNS1_3gpuE0ELNS1_3repE0EEENS1_30default_config_static_selectorELNS0_4arch9wavefront6targetE0EEEvS14_.private_seg_size, 0
	.set _ZN7rocprim17ROCPRIM_400000_NS6detail17trampoline_kernelINS0_14default_configENS1_22reduce_config_selectorIN6thrust23THRUST_200600_302600_NS5tupleIblNS6_9null_typeES8_S8_S8_S8_S8_S8_S8_EEEEZNS1_11reduce_implILb1ES3_NS6_12zip_iteratorINS7_INS6_11hip_rocprim26transform_input_iterator_tIbNSD_35transform_pair_of_input_iterators_tIbNS6_6detail15normal_iteratorINS6_10device_ptrIKxEEEESL_NS6_8equal_toIxEEEENSG_9not_fun_tINSD_8identityEEEEENSD_19counting_iterator_tIlEES8_S8_S8_S8_S8_S8_S8_S8_EEEEPS9_S9_NSD_9__find_if7functorIS9_EEEE10hipError_tPvRmT1_T2_T3_mT4_P12ihipStream_tbEUlT_E1_NS1_11comp_targetILNS1_3genE0ELNS1_11target_archE4294967295ELNS1_3gpuE0ELNS1_3repE0EEENS1_30default_config_static_selectorELNS0_4arch9wavefront6targetE0EEEvS14_.uses_vcc, 0
	.set _ZN7rocprim17ROCPRIM_400000_NS6detail17trampoline_kernelINS0_14default_configENS1_22reduce_config_selectorIN6thrust23THRUST_200600_302600_NS5tupleIblNS6_9null_typeES8_S8_S8_S8_S8_S8_S8_EEEEZNS1_11reduce_implILb1ES3_NS6_12zip_iteratorINS7_INS6_11hip_rocprim26transform_input_iterator_tIbNSD_35transform_pair_of_input_iterators_tIbNS6_6detail15normal_iteratorINS6_10device_ptrIKxEEEESL_NS6_8equal_toIxEEEENSG_9not_fun_tINSD_8identityEEEEENSD_19counting_iterator_tIlEES8_S8_S8_S8_S8_S8_S8_S8_EEEEPS9_S9_NSD_9__find_if7functorIS9_EEEE10hipError_tPvRmT1_T2_T3_mT4_P12ihipStream_tbEUlT_E1_NS1_11comp_targetILNS1_3genE0ELNS1_11target_archE4294967295ELNS1_3gpuE0ELNS1_3repE0EEENS1_30default_config_static_selectorELNS0_4arch9wavefront6targetE0EEEvS14_.uses_flat_scratch, 0
	.set _ZN7rocprim17ROCPRIM_400000_NS6detail17trampoline_kernelINS0_14default_configENS1_22reduce_config_selectorIN6thrust23THRUST_200600_302600_NS5tupleIblNS6_9null_typeES8_S8_S8_S8_S8_S8_S8_EEEEZNS1_11reduce_implILb1ES3_NS6_12zip_iteratorINS7_INS6_11hip_rocprim26transform_input_iterator_tIbNSD_35transform_pair_of_input_iterators_tIbNS6_6detail15normal_iteratorINS6_10device_ptrIKxEEEESL_NS6_8equal_toIxEEEENSG_9not_fun_tINSD_8identityEEEEENSD_19counting_iterator_tIlEES8_S8_S8_S8_S8_S8_S8_S8_EEEEPS9_S9_NSD_9__find_if7functorIS9_EEEE10hipError_tPvRmT1_T2_T3_mT4_P12ihipStream_tbEUlT_E1_NS1_11comp_targetILNS1_3genE0ELNS1_11target_archE4294967295ELNS1_3gpuE0ELNS1_3repE0EEENS1_30default_config_static_selectorELNS0_4arch9wavefront6targetE0EEEvS14_.has_dyn_sized_stack, 0
	.set _ZN7rocprim17ROCPRIM_400000_NS6detail17trampoline_kernelINS0_14default_configENS1_22reduce_config_selectorIN6thrust23THRUST_200600_302600_NS5tupleIblNS6_9null_typeES8_S8_S8_S8_S8_S8_S8_EEEEZNS1_11reduce_implILb1ES3_NS6_12zip_iteratorINS7_INS6_11hip_rocprim26transform_input_iterator_tIbNSD_35transform_pair_of_input_iterators_tIbNS6_6detail15normal_iteratorINS6_10device_ptrIKxEEEESL_NS6_8equal_toIxEEEENSG_9not_fun_tINSD_8identityEEEEENSD_19counting_iterator_tIlEES8_S8_S8_S8_S8_S8_S8_S8_EEEEPS9_S9_NSD_9__find_if7functorIS9_EEEE10hipError_tPvRmT1_T2_T3_mT4_P12ihipStream_tbEUlT_E1_NS1_11comp_targetILNS1_3genE0ELNS1_11target_archE4294967295ELNS1_3gpuE0ELNS1_3repE0EEENS1_30default_config_static_selectorELNS0_4arch9wavefront6targetE0EEEvS14_.has_recursion, 0
	.set _ZN7rocprim17ROCPRIM_400000_NS6detail17trampoline_kernelINS0_14default_configENS1_22reduce_config_selectorIN6thrust23THRUST_200600_302600_NS5tupleIblNS6_9null_typeES8_S8_S8_S8_S8_S8_S8_EEEEZNS1_11reduce_implILb1ES3_NS6_12zip_iteratorINS7_INS6_11hip_rocprim26transform_input_iterator_tIbNSD_35transform_pair_of_input_iterators_tIbNS6_6detail15normal_iteratorINS6_10device_ptrIKxEEEESL_NS6_8equal_toIxEEEENSG_9not_fun_tINSD_8identityEEEEENSD_19counting_iterator_tIlEES8_S8_S8_S8_S8_S8_S8_S8_EEEEPS9_S9_NSD_9__find_if7functorIS9_EEEE10hipError_tPvRmT1_T2_T3_mT4_P12ihipStream_tbEUlT_E1_NS1_11comp_targetILNS1_3genE0ELNS1_11target_archE4294967295ELNS1_3gpuE0ELNS1_3repE0EEENS1_30default_config_static_selectorELNS0_4arch9wavefront6targetE0EEEvS14_.has_indirect_call, 0
	.section	.AMDGPU.csdata,"",@progbits
; Kernel info:
; codeLenInByte = 0
; TotalNumSgprs: 0
; NumVgprs: 0
; ScratchSize: 0
; MemoryBound: 0
; FloatMode: 240
; IeeeMode: 1
; LDSByteSize: 0 bytes/workgroup (compile time only)
; SGPRBlocks: 0
; VGPRBlocks: 0
; NumSGPRsForWavesPerEU: 1
; NumVGPRsForWavesPerEU: 1
; Occupancy: 16
; WaveLimiterHint : 0
; COMPUTE_PGM_RSRC2:SCRATCH_EN: 0
; COMPUTE_PGM_RSRC2:USER_SGPR: 6
; COMPUTE_PGM_RSRC2:TRAP_HANDLER: 0
; COMPUTE_PGM_RSRC2:TGID_X_EN: 1
; COMPUTE_PGM_RSRC2:TGID_Y_EN: 0
; COMPUTE_PGM_RSRC2:TGID_Z_EN: 0
; COMPUTE_PGM_RSRC2:TIDIG_COMP_CNT: 0
	.section	.text._ZN7rocprim17ROCPRIM_400000_NS6detail17trampoline_kernelINS0_14default_configENS1_22reduce_config_selectorIN6thrust23THRUST_200600_302600_NS5tupleIblNS6_9null_typeES8_S8_S8_S8_S8_S8_S8_EEEEZNS1_11reduce_implILb1ES3_NS6_12zip_iteratorINS7_INS6_11hip_rocprim26transform_input_iterator_tIbNSD_35transform_pair_of_input_iterators_tIbNS6_6detail15normal_iteratorINS6_10device_ptrIKxEEEESL_NS6_8equal_toIxEEEENSG_9not_fun_tINSD_8identityEEEEENSD_19counting_iterator_tIlEES8_S8_S8_S8_S8_S8_S8_S8_EEEEPS9_S9_NSD_9__find_if7functorIS9_EEEE10hipError_tPvRmT1_T2_T3_mT4_P12ihipStream_tbEUlT_E1_NS1_11comp_targetILNS1_3genE5ELNS1_11target_archE942ELNS1_3gpuE9ELNS1_3repE0EEENS1_30default_config_static_selectorELNS0_4arch9wavefront6targetE0EEEvS14_,"axG",@progbits,_ZN7rocprim17ROCPRIM_400000_NS6detail17trampoline_kernelINS0_14default_configENS1_22reduce_config_selectorIN6thrust23THRUST_200600_302600_NS5tupleIblNS6_9null_typeES8_S8_S8_S8_S8_S8_S8_EEEEZNS1_11reduce_implILb1ES3_NS6_12zip_iteratorINS7_INS6_11hip_rocprim26transform_input_iterator_tIbNSD_35transform_pair_of_input_iterators_tIbNS6_6detail15normal_iteratorINS6_10device_ptrIKxEEEESL_NS6_8equal_toIxEEEENSG_9not_fun_tINSD_8identityEEEEENSD_19counting_iterator_tIlEES8_S8_S8_S8_S8_S8_S8_S8_EEEEPS9_S9_NSD_9__find_if7functorIS9_EEEE10hipError_tPvRmT1_T2_T3_mT4_P12ihipStream_tbEUlT_E1_NS1_11comp_targetILNS1_3genE5ELNS1_11target_archE942ELNS1_3gpuE9ELNS1_3repE0EEENS1_30default_config_static_selectorELNS0_4arch9wavefront6targetE0EEEvS14_,comdat
	.protected	_ZN7rocprim17ROCPRIM_400000_NS6detail17trampoline_kernelINS0_14default_configENS1_22reduce_config_selectorIN6thrust23THRUST_200600_302600_NS5tupleIblNS6_9null_typeES8_S8_S8_S8_S8_S8_S8_EEEEZNS1_11reduce_implILb1ES3_NS6_12zip_iteratorINS7_INS6_11hip_rocprim26transform_input_iterator_tIbNSD_35transform_pair_of_input_iterators_tIbNS6_6detail15normal_iteratorINS6_10device_ptrIKxEEEESL_NS6_8equal_toIxEEEENSG_9not_fun_tINSD_8identityEEEEENSD_19counting_iterator_tIlEES8_S8_S8_S8_S8_S8_S8_S8_EEEEPS9_S9_NSD_9__find_if7functorIS9_EEEE10hipError_tPvRmT1_T2_T3_mT4_P12ihipStream_tbEUlT_E1_NS1_11comp_targetILNS1_3genE5ELNS1_11target_archE942ELNS1_3gpuE9ELNS1_3repE0EEENS1_30default_config_static_selectorELNS0_4arch9wavefront6targetE0EEEvS14_ ; -- Begin function _ZN7rocprim17ROCPRIM_400000_NS6detail17trampoline_kernelINS0_14default_configENS1_22reduce_config_selectorIN6thrust23THRUST_200600_302600_NS5tupleIblNS6_9null_typeES8_S8_S8_S8_S8_S8_S8_EEEEZNS1_11reduce_implILb1ES3_NS6_12zip_iteratorINS7_INS6_11hip_rocprim26transform_input_iterator_tIbNSD_35transform_pair_of_input_iterators_tIbNS6_6detail15normal_iteratorINS6_10device_ptrIKxEEEESL_NS6_8equal_toIxEEEENSG_9not_fun_tINSD_8identityEEEEENSD_19counting_iterator_tIlEES8_S8_S8_S8_S8_S8_S8_S8_EEEEPS9_S9_NSD_9__find_if7functorIS9_EEEE10hipError_tPvRmT1_T2_T3_mT4_P12ihipStream_tbEUlT_E1_NS1_11comp_targetILNS1_3genE5ELNS1_11target_archE942ELNS1_3gpuE9ELNS1_3repE0EEENS1_30default_config_static_selectorELNS0_4arch9wavefront6targetE0EEEvS14_
	.globl	_ZN7rocprim17ROCPRIM_400000_NS6detail17trampoline_kernelINS0_14default_configENS1_22reduce_config_selectorIN6thrust23THRUST_200600_302600_NS5tupleIblNS6_9null_typeES8_S8_S8_S8_S8_S8_S8_EEEEZNS1_11reduce_implILb1ES3_NS6_12zip_iteratorINS7_INS6_11hip_rocprim26transform_input_iterator_tIbNSD_35transform_pair_of_input_iterators_tIbNS6_6detail15normal_iteratorINS6_10device_ptrIKxEEEESL_NS6_8equal_toIxEEEENSG_9not_fun_tINSD_8identityEEEEENSD_19counting_iterator_tIlEES8_S8_S8_S8_S8_S8_S8_S8_EEEEPS9_S9_NSD_9__find_if7functorIS9_EEEE10hipError_tPvRmT1_T2_T3_mT4_P12ihipStream_tbEUlT_E1_NS1_11comp_targetILNS1_3genE5ELNS1_11target_archE942ELNS1_3gpuE9ELNS1_3repE0EEENS1_30default_config_static_selectorELNS0_4arch9wavefront6targetE0EEEvS14_
	.p2align	8
	.type	_ZN7rocprim17ROCPRIM_400000_NS6detail17trampoline_kernelINS0_14default_configENS1_22reduce_config_selectorIN6thrust23THRUST_200600_302600_NS5tupleIblNS6_9null_typeES8_S8_S8_S8_S8_S8_S8_EEEEZNS1_11reduce_implILb1ES3_NS6_12zip_iteratorINS7_INS6_11hip_rocprim26transform_input_iterator_tIbNSD_35transform_pair_of_input_iterators_tIbNS6_6detail15normal_iteratorINS6_10device_ptrIKxEEEESL_NS6_8equal_toIxEEEENSG_9not_fun_tINSD_8identityEEEEENSD_19counting_iterator_tIlEES8_S8_S8_S8_S8_S8_S8_S8_EEEEPS9_S9_NSD_9__find_if7functorIS9_EEEE10hipError_tPvRmT1_T2_T3_mT4_P12ihipStream_tbEUlT_E1_NS1_11comp_targetILNS1_3genE5ELNS1_11target_archE942ELNS1_3gpuE9ELNS1_3repE0EEENS1_30default_config_static_selectorELNS0_4arch9wavefront6targetE0EEEvS14_,@function
_ZN7rocprim17ROCPRIM_400000_NS6detail17trampoline_kernelINS0_14default_configENS1_22reduce_config_selectorIN6thrust23THRUST_200600_302600_NS5tupleIblNS6_9null_typeES8_S8_S8_S8_S8_S8_S8_EEEEZNS1_11reduce_implILb1ES3_NS6_12zip_iteratorINS7_INS6_11hip_rocprim26transform_input_iterator_tIbNSD_35transform_pair_of_input_iterators_tIbNS6_6detail15normal_iteratorINS6_10device_ptrIKxEEEESL_NS6_8equal_toIxEEEENSG_9not_fun_tINSD_8identityEEEEENSD_19counting_iterator_tIlEES8_S8_S8_S8_S8_S8_S8_S8_EEEEPS9_S9_NSD_9__find_if7functorIS9_EEEE10hipError_tPvRmT1_T2_T3_mT4_P12ihipStream_tbEUlT_E1_NS1_11comp_targetILNS1_3genE5ELNS1_11target_archE942ELNS1_3gpuE9ELNS1_3repE0EEENS1_30default_config_static_selectorELNS0_4arch9wavefront6targetE0EEEvS14_: ; @_ZN7rocprim17ROCPRIM_400000_NS6detail17trampoline_kernelINS0_14default_configENS1_22reduce_config_selectorIN6thrust23THRUST_200600_302600_NS5tupleIblNS6_9null_typeES8_S8_S8_S8_S8_S8_S8_EEEEZNS1_11reduce_implILb1ES3_NS6_12zip_iteratorINS7_INS6_11hip_rocprim26transform_input_iterator_tIbNSD_35transform_pair_of_input_iterators_tIbNS6_6detail15normal_iteratorINS6_10device_ptrIKxEEEESL_NS6_8equal_toIxEEEENSG_9not_fun_tINSD_8identityEEEEENSD_19counting_iterator_tIlEES8_S8_S8_S8_S8_S8_S8_S8_EEEEPS9_S9_NSD_9__find_if7functorIS9_EEEE10hipError_tPvRmT1_T2_T3_mT4_P12ihipStream_tbEUlT_E1_NS1_11comp_targetILNS1_3genE5ELNS1_11target_archE942ELNS1_3gpuE9ELNS1_3repE0EEENS1_30default_config_static_selectorELNS0_4arch9wavefront6targetE0EEEvS14_
; %bb.0:
	.section	.rodata,"a",@progbits
	.p2align	6, 0x0
	.amdhsa_kernel _ZN7rocprim17ROCPRIM_400000_NS6detail17trampoline_kernelINS0_14default_configENS1_22reduce_config_selectorIN6thrust23THRUST_200600_302600_NS5tupleIblNS6_9null_typeES8_S8_S8_S8_S8_S8_S8_EEEEZNS1_11reduce_implILb1ES3_NS6_12zip_iteratorINS7_INS6_11hip_rocprim26transform_input_iterator_tIbNSD_35transform_pair_of_input_iterators_tIbNS6_6detail15normal_iteratorINS6_10device_ptrIKxEEEESL_NS6_8equal_toIxEEEENSG_9not_fun_tINSD_8identityEEEEENSD_19counting_iterator_tIlEES8_S8_S8_S8_S8_S8_S8_S8_EEEEPS9_S9_NSD_9__find_if7functorIS9_EEEE10hipError_tPvRmT1_T2_T3_mT4_P12ihipStream_tbEUlT_E1_NS1_11comp_targetILNS1_3genE5ELNS1_11target_archE942ELNS1_3gpuE9ELNS1_3repE0EEENS1_30default_config_static_selectorELNS0_4arch9wavefront6targetE0EEEvS14_
		.amdhsa_group_segment_fixed_size 0
		.amdhsa_private_segment_fixed_size 0
		.amdhsa_kernarg_size 88
		.amdhsa_user_sgpr_count 6
		.amdhsa_user_sgpr_private_segment_buffer 1
		.amdhsa_user_sgpr_dispatch_ptr 0
		.amdhsa_user_sgpr_queue_ptr 0
		.amdhsa_user_sgpr_kernarg_segment_ptr 1
		.amdhsa_user_sgpr_dispatch_id 0
		.amdhsa_user_sgpr_flat_scratch_init 0
		.amdhsa_user_sgpr_private_segment_size 0
		.amdhsa_wavefront_size32 1
		.amdhsa_uses_dynamic_stack 0
		.amdhsa_system_sgpr_private_segment_wavefront_offset 0
		.amdhsa_system_sgpr_workgroup_id_x 1
		.amdhsa_system_sgpr_workgroup_id_y 0
		.amdhsa_system_sgpr_workgroup_id_z 0
		.amdhsa_system_sgpr_workgroup_info 0
		.amdhsa_system_vgpr_workitem_id 0
		.amdhsa_next_free_vgpr 1
		.amdhsa_next_free_sgpr 1
		.amdhsa_reserve_vcc 0
		.amdhsa_reserve_flat_scratch 0
		.amdhsa_float_round_mode_32 0
		.amdhsa_float_round_mode_16_64 0
		.amdhsa_float_denorm_mode_32 3
		.amdhsa_float_denorm_mode_16_64 3
		.amdhsa_dx10_clamp 1
		.amdhsa_ieee_mode 1
		.amdhsa_fp16_overflow 0
		.amdhsa_workgroup_processor_mode 1
		.amdhsa_memory_ordered 1
		.amdhsa_forward_progress 1
		.amdhsa_shared_vgpr_count 0
		.amdhsa_exception_fp_ieee_invalid_op 0
		.amdhsa_exception_fp_denorm_src 0
		.amdhsa_exception_fp_ieee_div_zero 0
		.amdhsa_exception_fp_ieee_overflow 0
		.amdhsa_exception_fp_ieee_underflow 0
		.amdhsa_exception_fp_ieee_inexact 0
		.amdhsa_exception_int_div_zero 0
	.end_amdhsa_kernel
	.section	.text._ZN7rocprim17ROCPRIM_400000_NS6detail17trampoline_kernelINS0_14default_configENS1_22reduce_config_selectorIN6thrust23THRUST_200600_302600_NS5tupleIblNS6_9null_typeES8_S8_S8_S8_S8_S8_S8_EEEEZNS1_11reduce_implILb1ES3_NS6_12zip_iteratorINS7_INS6_11hip_rocprim26transform_input_iterator_tIbNSD_35transform_pair_of_input_iterators_tIbNS6_6detail15normal_iteratorINS6_10device_ptrIKxEEEESL_NS6_8equal_toIxEEEENSG_9not_fun_tINSD_8identityEEEEENSD_19counting_iterator_tIlEES8_S8_S8_S8_S8_S8_S8_S8_EEEEPS9_S9_NSD_9__find_if7functorIS9_EEEE10hipError_tPvRmT1_T2_T3_mT4_P12ihipStream_tbEUlT_E1_NS1_11comp_targetILNS1_3genE5ELNS1_11target_archE942ELNS1_3gpuE9ELNS1_3repE0EEENS1_30default_config_static_selectorELNS0_4arch9wavefront6targetE0EEEvS14_,"axG",@progbits,_ZN7rocprim17ROCPRIM_400000_NS6detail17trampoline_kernelINS0_14default_configENS1_22reduce_config_selectorIN6thrust23THRUST_200600_302600_NS5tupleIblNS6_9null_typeES8_S8_S8_S8_S8_S8_S8_EEEEZNS1_11reduce_implILb1ES3_NS6_12zip_iteratorINS7_INS6_11hip_rocprim26transform_input_iterator_tIbNSD_35transform_pair_of_input_iterators_tIbNS6_6detail15normal_iteratorINS6_10device_ptrIKxEEEESL_NS6_8equal_toIxEEEENSG_9not_fun_tINSD_8identityEEEEENSD_19counting_iterator_tIlEES8_S8_S8_S8_S8_S8_S8_S8_EEEEPS9_S9_NSD_9__find_if7functorIS9_EEEE10hipError_tPvRmT1_T2_T3_mT4_P12ihipStream_tbEUlT_E1_NS1_11comp_targetILNS1_3genE5ELNS1_11target_archE942ELNS1_3gpuE9ELNS1_3repE0EEENS1_30default_config_static_selectorELNS0_4arch9wavefront6targetE0EEEvS14_,comdat
.Lfunc_end235:
	.size	_ZN7rocprim17ROCPRIM_400000_NS6detail17trampoline_kernelINS0_14default_configENS1_22reduce_config_selectorIN6thrust23THRUST_200600_302600_NS5tupleIblNS6_9null_typeES8_S8_S8_S8_S8_S8_S8_EEEEZNS1_11reduce_implILb1ES3_NS6_12zip_iteratorINS7_INS6_11hip_rocprim26transform_input_iterator_tIbNSD_35transform_pair_of_input_iterators_tIbNS6_6detail15normal_iteratorINS6_10device_ptrIKxEEEESL_NS6_8equal_toIxEEEENSG_9not_fun_tINSD_8identityEEEEENSD_19counting_iterator_tIlEES8_S8_S8_S8_S8_S8_S8_S8_EEEEPS9_S9_NSD_9__find_if7functorIS9_EEEE10hipError_tPvRmT1_T2_T3_mT4_P12ihipStream_tbEUlT_E1_NS1_11comp_targetILNS1_3genE5ELNS1_11target_archE942ELNS1_3gpuE9ELNS1_3repE0EEENS1_30default_config_static_selectorELNS0_4arch9wavefront6targetE0EEEvS14_, .Lfunc_end235-_ZN7rocprim17ROCPRIM_400000_NS6detail17trampoline_kernelINS0_14default_configENS1_22reduce_config_selectorIN6thrust23THRUST_200600_302600_NS5tupleIblNS6_9null_typeES8_S8_S8_S8_S8_S8_S8_EEEEZNS1_11reduce_implILb1ES3_NS6_12zip_iteratorINS7_INS6_11hip_rocprim26transform_input_iterator_tIbNSD_35transform_pair_of_input_iterators_tIbNS6_6detail15normal_iteratorINS6_10device_ptrIKxEEEESL_NS6_8equal_toIxEEEENSG_9not_fun_tINSD_8identityEEEEENSD_19counting_iterator_tIlEES8_S8_S8_S8_S8_S8_S8_S8_EEEEPS9_S9_NSD_9__find_if7functorIS9_EEEE10hipError_tPvRmT1_T2_T3_mT4_P12ihipStream_tbEUlT_E1_NS1_11comp_targetILNS1_3genE5ELNS1_11target_archE942ELNS1_3gpuE9ELNS1_3repE0EEENS1_30default_config_static_selectorELNS0_4arch9wavefront6targetE0EEEvS14_
                                        ; -- End function
	.set _ZN7rocprim17ROCPRIM_400000_NS6detail17trampoline_kernelINS0_14default_configENS1_22reduce_config_selectorIN6thrust23THRUST_200600_302600_NS5tupleIblNS6_9null_typeES8_S8_S8_S8_S8_S8_S8_EEEEZNS1_11reduce_implILb1ES3_NS6_12zip_iteratorINS7_INS6_11hip_rocprim26transform_input_iterator_tIbNSD_35transform_pair_of_input_iterators_tIbNS6_6detail15normal_iteratorINS6_10device_ptrIKxEEEESL_NS6_8equal_toIxEEEENSG_9not_fun_tINSD_8identityEEEEENSD_19counting_iterator_tIlEES8_S8_S8_S8_S8_S8_S8_S8_EEEEPS9_S9_NSD_9__find_if7functorIS9_EEEE10hipError_tPvRmT1_T2_T3_mT4_P12ihipStream_tbEUlT_E1_NS1_11comp_targetILNS1_3genE5ELNS1_11target_archE942ELNS1_3gpuE9ELNS1_3repE0EEENS1_30default_config_static_selectorELNS0_4arch9wavefront6targetE0EEEvS14_.num_vgpr, 0
	.set _ZN7rocprim17ROCPRIM_400000_NS6detail17trampoline_kernelINS0_14default_configENS1_22reduce_config_selectorIN6thrust23THRUST_200600_302600_NS5tupleIblNS6_9null_typeES8_S8_S8_S8_S8_S8_S8_EEEEZNS1_11reduce_implILb1ES3_NS6_12zip_iteratorINS7_INS6_11hip_rocprim26transform_input_iterator_tIbNSD_35transform_pair_of_input_iterators_tIbNS6_6detail15normal_iteratorINS6_10device_ptrIKxEEEESL_NS6_8equal_toIxEEEENSG_9not_fun_tINSD_8identityEEEEENSD_19counting_iterator_tIlEES8_S8_S8_S8_S8_S8_S8_S8_EEEEPS9_S9_NSD_9__find_if7functorIS9_EEEE10hipError_tPvRmT1_T2_T3_mT4_P12ihipStream_tbEUlT_E1_NS1_11comp_targetILNS1_3genE5ELNS1_11target_archE942ELNS1_3gpuE9ELNS1_3repE0EEENS1_30default_config_static_selectorELNS0_4arch9wavefront6targetE0EEEvS14_.num_agpr, 0
	.set _ZN7rocprim17ROCPRIM_400000_NS6detail17trampoline_kernelINS0_14default_configENS1_22reduce_config_selectorIN6thrust23THRUST_200600_302600_NS5tupleIblNS6_9null_typeES8_S8_S8_S8_S8_S8_S8_EEEEZNS1_11reduce_implILb1ES3_NS6_12zip_iteratorINS7_INS6_11hip_rocprim26transform_input_iterator_tIbNSD_35transform_pair_of_input_iterators_tIbNS6_6detail15normal_iteratorINS6_10device_ptrIKxEEEESL_NS6_8equal_toIxEEEENSG_9not_fun_tINSD_8identityEEEEENSD_19counting_iterator_tIlEES8_S8_S8_S8_S8_S8_S8_S8_EEEEPS9_S9_NSD_9__find_if7functorIS9_EEEE10hipError_tPvRmT1_T2_T3_mT4_P12ihipStream_tbEUlT_E1_NS1_11comp_targetILNS1_3genE5ELNS1_11target_archE942ELNS1_3gpuE9ELNS1_3repE0EEENS1_30default_config_static_selectorELNS0_4arch9wavefront6targetE0EEEvS14_.numbered_sgpr, 0
	.set _ZN7rocprim17ROCPRIM_400000_NS6detail17trampoline_kernelINS0_14default_configENS1_22reduce_config_selectorIN6thrust23THRUST_200600_302600_NS5tupleIblNS6_9null_typeES8_S8_S8_S8_S8_S8_S8_EEEEZNS1_11reduce_implILb1ES3_NS6_12zip_iteratorINS7_INS6_11hip_rocprim26transform_input_iterator_tIbNSD_35transform_pair_of_input_iterators_tIbNS6_6detail15normal_iteratorINS6_10device_ptrIKxEEEESL_NS6_8equal_toIxEEEENSG_9not_fun_tINSD_8identityEEEEENSD_19counting_iterator_tIlEES8_S8_S8_S8_S8_S8_S8_S8_EEEEPS9_S9_NSD_9__find_if7functorIS9_EEEE10hipError_tPvRmT1_T2_T3_mT4_P12ihipStream_tbEUlT_E1_NS1_11comp_targetILNS1_3genE5ELNS1_11target_archE942ELNS1_3gpuE9ELNS1_3repE0EEENS1_30default_config_static_selectorELNS0_4arch9wavefront6targetE0EEEvS14_.num_named_barrier, 0
	.set _ZN7rocprim17ROCPRIM_400000_NS6detail17trampoline_kernelINS0_14default_configENS1_22reduce_config_selectorIN6thrust23THRUST_200600_302600_NS5tupleIblNS6_9null_typeES8_S8_S8_S8_S8_S8_S8_EEEEZNS1_11reduce_implILb1ES3_NS6_12zip_iteratorINS7_INS6_11hip_rocprim26transform_input_iterator_tIbNSD_35transform_pair_of_input_iterators_tIbNS6_6detail15normal_iteratorINS6_10device_ptrIKxEEEESL_NS6_8equal_toIxEEEENSG_9not_fun_tINSD_8identityEEEEENSD_19counting_iterator_tIlEES8_S8_S8_S8_S8_S8_S8_S8_EEEEPS9_S9_NSD_9__find_if7functorIS9_EEEE10hipError_tPvRmT1_T2_T3_mT4_P12ihipStream_tbEUlT_E1_NS1_11comp_targetILNS1_3genE5ELNS1_11target_archE942ELNS1_3gpuE9ELNS1_3repE0EEENS1_30default_config_static_selectorELNS0_4arch9wavefront6targetE0EEEvS14_.private_seg_size, 0
	.set _ZN7rocprim17ROCPRIM_400000_NS6detail17trampoline_kernelINS0_14default_configENS1_22reduce_config_selectorIN6thrust23THRUST_200600_302600_NS5tupleIblNS6_9null_typeES8_S8_S8_S8_S8_S8_S8_EEEEZNS1_11reduce_implILb1ES3_NS6_12zip_iteratorINS7_INS6_11hip_rocprim26transform_input_iterator_tIbNSD_35transform_pair_of_input_iterators_tIbNS6_6detail15normal_iteratorINS6_10device_ptrIKxEEEESL_NS6_8equal_toIxEEEENSG_9not_fun_tINSD_8identityEEEEENSD_19counting_iterator_tIlEES8_S8_S8_S8_S8_S8_S8_S8_EEEEPS9_S9_NSD_9__find_if7functorIS9_EEEE10hipError_tPvRmT1_T2_T3_mT4_P12ihipStream_tbEUlT_E1_NS1_11comp_targetILNS1_3genE5ELNS1_11target_archE942ELNS1_3gpuE9ELNS1_3repE0EEENS1_30default_config_static_selectorELNS0_4arch9wavefront6targetE0EEEvS14_.uses_vcc, 0
	.set _ZN7rocprim17ROCPRIM_400000_NS6detail17trampoline_kernelINS0_14default_configENS1_22reduce_config_selectorIN6thrust23THRUST_200600_302600_NS5tupleIblNS6_9null_typeES8_S8_S8_S8_S8_S8_S8_EEEEZNS1_11reduce_implILb1ES3_NS6_12zip_iteratorINS7_INS6_11hip_rocprim26transform_input_iterator_tIbNSD_35transform_pair_of_input_iterators_tIbNS6_6detail15normal_iteratorINS6_10device_ptrIKxEEEESL_NS6_8equal_toIxEEEENSG_9not_fun_tINSD_8identityEEEEENSD_19counting_iterator_tIlEES8_S8_S8_S8_S8_S8_S8_S8_EEEEPS9_S9_NSD_9__find_if7functorIS9_EEEE10hipError_tPvRmT1_T2_T3_mT4_P12ihipStream_tbEUlT_E1_NS1_11comp_targetILNS1_3genE5ELNS1_11target_archE942ELNS1_3gpuE9ELNS1_3repE0EEENS1_30default_config_static_selectorELNS0_4arch9wavefront6targetE0EEEvS14_.uses_flat_scratch, 0
	.set _ZN7rocprim17ROCPRIM_400000_NS6detail17trampoline_kernelINS0_14default_configENS1_22reduce_config_selectorIN6thrust23THRUST_200600_302600_NS5tupleIblNS6_9null_typeES8_S8_S8_S8_S8_S8_S8_EEEEZNS1_11reduce_implILb1ES3_NS6_12zip_iteratorINS7_INS6_11hip_rocprim26transform_input_iterator_tIbNSD_35transform_pair_of_input_iterators_tIbNS6_6detail15normal_iteratorINS6_10device_ptrIKxEEEESL_NS6_8equal_toIxEEEENSG_9not_fun_tINSD_8identityEEEEENSD_19counting_iterator_tIlEES8_S8_S8_S8_S8_S8_S8_S8_EEEEPS9_S9_NSD_9__find_if7functorIS9_EEEE10hipError_tPvRmT1_T2_T3_mT4_P12ihipStream_tbEUlT_E1_NS1_11comp_targetILNS1_3genE5ELNS1_11target_archE942ELNS1_3gpuE9ELNS1_3repE0EEENS1_30default_config_static_selectorELNS0_4arch9wavefront6targetE0EEEvS14_.has_dyn_sized_stack, 0
	.set _ZN7rocprim17ROCPRIM_400000_NS6detail17trampoline_kernelINS0_14default_configENS1_22reduce_config_selectorIN6thrust23THRUST_200600_302600_NS5tupleIblNS6_9null_typeES8_S8_S8_S8_S8_S8_S8_EEEEZNS1_11reduce_implILb1ES3_NS6_12zip_iteratorINS7_INS6_11hip_rocprim26transform_input_iterator_tIbNSD_35transform_pair_of_input_iterators_tIbNS6_6detail15normal_iteratorINS6_10device_ptrIKxEEEESL_NS6_8equal_toIxEEEENSG_9not_fun_tINSD_8identityEEEEENSD_19counting_iterator_tIlEES8_S8_S8_S8_S8_S8_S8_S8_EEEEPS9_S9_NSD_9__find_if7functorIS9_EEEE10hipError_tPvRmT1_T2_T3_mT4_P12ihipStream_tbEUlT_E1_NS1_11comp_targetILNS1_3genE5ELNS1_11target_archE942ELNS1_3gpuE9ELNS1_3repE0EEENS1_30default_config_static_selectorELNS0_4arch9wavefront6targetE0EEEvS14_.has_recursion, 0
	.set _ZN7rocprim17ROCPRIM_400000_NS6detail17trampoline_kernelINS0_14default_configENS1_22reduce_config_selectorIN6thrust23THRUST_200600_302600_NS5tupleIblNS6_9null_typeES8_S8_S8_S8_S8_S8_S8_EEEEZNS1_11reduce_implILb1ES3_NS6_12zip_iteratorINS7_INS6_11hip_rocprim26transform_input_iterator_tIbNSD_35transform_pair_of_input_iterators_tIbNS6_6detail15normal_iteratorINS6_10device_ptrIKxEEEESL_NS6_8equal_toIxEEEENSG_9not_fun_tINSD_8identityEEEEENSD_19counting_iterator_tIlEES8_S8_S8_S8_S8_S8_S8_S8_EEEEPS9_S9_NSD_9__find_if7functorIS9_EEEE10hipError_tPvRmT1_T2_T3_mT4_P12ihipStream_tbEUlT_E1_NS1_11comp_targetILNS1_3genE5ELNS1_11target_archE942ELNS1_3gpuE9ELNS1_3repE0EEENS1_30default_config_static_selectorELNS0_4arch9wavefront6targetE0EEEvS14_.has_indirect_call, 0
	.section	.AMDGPU.csdata,"",@progbits
; Kernel info:
; codeLenInByte = 0
; TotalNumSgprs: 0
; NumVgprs: 0
; ScratchSize: 0
; MemoryBound: 0
; FloatMode: 240
; IeeeMode: 1
; LDSByteSize: 0 bytes/workgroup (compile time only)
; SGPRBlocks: 0
; VGPRBlocks: 0
; NumSGPRsForWavesPerEU: 1
; NumVGPRsForWavesPerEU: 1
; Occupancy: 16
; WaveLimiterHint : 0
; COMPUTE_PGM_RSRC2:SCRATCH_EN: 0
; COMPUTE_PGM_RSRC2:USER_SGPR: 6
; COMPUTE_PGM_RSRC2:TRAP_HANDLER: 0
; COMPUTE_PGM_RSRC2:TGID_X_EN: 1
; COMPUTE_PGM_RSRC2:TGID_Y_EN: 0
; COMPUTE_PGM_RSRC2:TGID_Z_EN: 0
; COMPUTE_PGM_RSRC2:TIDIG_COMP_CNT: 0
	.section	.text._ZN7rocprim17ROCPRIM_400000_NS6detail17trampoline_kernelINS0_14default_configENS1_22reduce_config_selectorIN6thrust23THRUST_200600_302600_NS5tupleIblNS6_9null_typeES8_S8_S8_S8_S8_S8_S8_EEEEZNS1_11reduce_implILb1ES3_NS6_12zip_iteratorINS7_INS6_11hip_rocprim26transform_input_iterator_tIbNSD_35transform_pair_of_input_iterators_tIbNS6_6detail15normal_iteratorINS6_10device_ptrIKxEEEESL_NS6_8equal_toIxEEEENSG_9not_fun_tINSD_8identityEEEEENSD_19counting_iterator_tIlEES8_S8_S8_S8_S8_S8_S8_S8_EEEEPS9_S9_NSD_9__find_if7functorIS9_EEEE10hipError_tPvRmT1_T2_T3_mT4_P12ihipStream_tbEUlT_E1_NS1_11comp_targetILNS1_3genE4ELNS1_11target_archE910ELNS1_3gpuE8ELNS1_3repE0EEENS1_30default_config_static_selectorELNS0_4arch9wavefront6targetE0EEEvS14_,"axG",@progbits,_ZN7rocprim17ROCPRIM_400000_NS6detail17trampoline_kernelINS0_14default_configENS1_22reduce_config_selectorIN6thrust23THRUST_200600_302600_NS5tupleIblNS6_9null_typeES8_S8_S8_S8_S8_S8_S8_EEEEZNS1_11reduce_implILb1ES3_NS6_12zip_iteratorINS7_INS6_11hip_rocprim26transform_input_iterator_tIbNSD_35transform_pair_of_input_iterators_tIbNS6_6detail15normal_iteratorINS6_10device_ptrIKxEEEESL_NS6_8equal_toIxEEEENSG_9not_fun_tINSD_8identityEEEEENSD_19counting_iterator_tIlEES8_S8_S8_S8_S8_S8_S8_S8_EEEEPS9_S9_NSD_9__find_if7functorIS9_EEEE10hipError_tPvRmT1_T2_T3_mT4_P12ihipStream_tbEUlT_E1_NS1_11comp_targetILNS1_3genE4ELNS1_11target_archE910ELNS1_3gpuE8ELNS1_3repE0EEENS1_30default_config_static_selectorELNS0_4arch9wavefront6targetE0EEEvS14_,comdat
	.protected	_ZN7rocprim17ROCPRIM_400000_NS6detail17trampoline_kernelINS0_14default_configENS1_22reduce_config_selectorIN6thrust23THRUST_200600_302600_NS5tupleIblNS6_9null_typeES8_S8_S8_S8_S8_S8_S8_EEEEZNS1_11reduce_implILb1ES3_NS6_12zip_iteratorINS7_INS6_11hip_rocprim26transform_input_iterator_tIbNSD_35transform_pair_of_input_iterators_tIbNS6_6detail15normal_iteratorINS6_10device_ptrIKxEEEESL_NS6_8equal_toIxEEEENSG_9not_fun_tINSD_8identityEEEEENSD_19counting_iterator_tIlEES8_S8_S8_S8_S8_S8_S8_S8_EEEEPS9_S9_NSD_9__find_if7functorIS9_EEEE10hipError_tPvRmT1_T2_T3_mT4_P12ihipStream_tbEUlT_E1_NS1_11comp_targetILNS1_3genE4ELNS1_11target_archE910ELNS1_3gpuE8ELNS1_3repE0EEENS1_30default_config_static_selectorELNS0_4arch9wavefront6targetE0EEEvS14_ ; -- Begin function _ZN7rocprim17ROCPRIM_400000_NS6detail17trampoline_kernelINS0_14default_configENS1_22reduce_config_selectorIN6thrust23THRUST_200600_302600_NS5tupleIblNS6_9null_typeES8_S8_S8_S8_S8_S8_S8_EEEEZNS1_11reduce_implILb1ES3_NS6_12zip_iteratorINS7_INS6_11hip_rocprim26transform_input_iterator_tIbNSD_35transform_pair_of_input_iterators_tIbNS6_6detail15normal_iteratorINS6_10device_ptrIKxEEEESL_NS6_8equal_toIxEEEENSG_9not_fun_tINSD_8identityEEEEENSD_19counting_iterator_tIlEES8_S8_S8_S8_S8_S8_S8_S8_EEEEPS9_S9_NSD_9__find_if7functorIS9_EEEE10hipError_tPvRmT1_T2_T3_mT4_P12ihipStream_tbEUlT_E1_NS1_11comp_targetILNS1_3genE4ELNS1_11target_archE910ELNS1_3gpuE8ELNS1_3repE0EEENS1_30default_config_static_selectorELNS0_4arch9wavefront6targetE0EEEvS14_
	.globl	_ZN7rocprim17ROCPRIM_400000_NS6detail17trampoline_kernelINS0_14default_configENS1_22reduce_config_selectorIN6thrust23THRUST_200600_302600_NS5tupleIblNS6_9null_typeES8_S8_S8_S8_S8_S8_S8_EEEEZNS1_11reduce_implILb1ES3_NS6_12zip_iteratorINS7_INS6_11hip_rocprim26transform_input_iterator_tIbNSD_35transform_pair_of_input_iterators_tIbNS6_6detail15normal_iteratorINS6_10device_ptrIKxEEEESL_NS6_8equal_toIxEEEENSG_9not_fun_tINSD_8identityEEEEENSD_19counting_iterator_tIlEES8_S8_S8_S8_S8_S8_S8_S8_EEEEPS9_S9_NSD_9__find_if7functorIS9_EEEE10hipError_tPvRmT1_T2_T3_mT4_P12ihipStream_tbEUlT_E1_NS1_11comp_targetILNS1_3genE4ELNS1_11target_archE910ELNS1_3gpuE8ELNS1_3repE0EEENS1_30default_config_static_selectorELNS0_4arch9wavefront6targetE0EEEvS14_
	.p2align	8
	.type	_ZN7rocprim17ROCPRIM_400000_NS6detail17trampoline_kernelINS0_14default_configENS1_22reduce_config_selectorIN6thrust23THRUST_200600_302600_NS5tupleIblNS6_9null_typeES8_S8_S8_S8_S8_S8_S8_EEEEZNS1_11reduce_implILb1ES3_NS6_12zip_iteratorINS7_INS6_11hip_rocprim26transform_input_iterator_tIbNSD_35transform_pair_of_input_iterators_tIbNS6_6detail15normal_iteratorINS6_10device_ptrIKxEEEESL_NS6_8equal_toIxEEEENSG_9not_fun_tINSD_8identityEEEEENSD_19counting_iterator_tIlEES8_S8_S8_S8_S8_S8_S8_S8_EEEEPS9_S9_NSD_9__find_if7functorIS9_EEEE10hipError_tPvRmT1_T2_T3_mT4_P12ihipStream_tbEUlT_E1_NS1_11comp_targetILNS1_3genE4ELNS1_11target_archE910ELNS1_3gpuE8ELNS1_3repE0EEENS1_30default_config_static_selectorELNS0_4arch9wavefront6targetE0EEEvS14_,@function
_ZN7rocprim17ROCPRIM_400000_NS6detail17trampoline_kernelINS0_14default_configENS1_22reduce_config_selectorIN6thrust23THRUST_200600_302600_NS5tupleIblNS6_9null_typeES8_S8_S8_S8_S8_S8_S8_EEEEZNS1_11reduce_implILb1ES3_NS6_12zip_iteratorINS7_INS6_11hip_rocprim26transform_input_iterator_tIbNSD_35transform_pair_of_input_iterators_tIbNS6_6detail15normal_iteratorINS6_10device_ptrIKxEEEESL_NS6_8equal_toIxEEEENSG_9not_fun_tINSD_8identityEEEEENSD_19counting_iterator_tIlEES8_S8_S8_S8_S8_S8_S8_S8_EEEEPS9_S9_NSD_9__find_if7functorIS9_EEEE10hipError_tPvRmT1_T2_T3_mT4_P12ihipStream_tbEUlT_E1_NS1_11comp_targetILNS1_3genE4ELNS1_11target_archE910ELNS1_3gpuE8ELNS1_3repE0EEENS1_30default_config_static_selectorELNS0_4arch9wavefront6targetE0EEEvS14_: ; @_ZN7rocprim17ROCPRIM_400000_NS6detail17trampoline_kernelINS0_14default_configENS1_22reduce_config_selectorIN6thrust23THRUST_200600_302600_NS5tupleIblNS6_9null_typeES8_S8_S8_S8_S8_S8_S8_EEEEZNS1_11reduce_implILb1ES3_NS6_12zip_iteratorINS7_INS6_11hip_rocprim26transform_input_iterator_tIbNSD_35transform_pair_of_input_iterators_tIbNS6_6detail15normal_iteratorINS6_10device_ptrIKxEEEESL_NS6_8equal_toIxEEEENSG_9not_fun_tINSD_8identityEEEEENSD_19counting_iterator_tIlEES8_S8_S8_S8_S8_S8_S8_S8_EEEEPS9_S9_NSD_9__find_if7functorIS9_EEEE10hipError_tPvRmT1_T2_T3_mT4_P12ihipStream_tbEUlT_E1_NS1_11comp_targetILNS1_3genE4ELNS1_11target_archE910ELNS1_3gpuE8ELNS1_3repE0EEENS1_30default_config_static_selectorELNS0_4arch9wavefront6targetE0EEEvS14_
; %bb.0:
	.section	.rodata,"a",@progbits
	.p2align	6, 0x0
	.amdhsa_kernel _ZN7rocprim17ROCPRIM_400000_NS6detail17trampoline_kernelINS0_14default_configENS1_22reduce_config_selectorIN6thrust23THRUST_200600_302600_NS5tupleIblNS6_9null_typeES8_S8_S8_S8_S8_S8_S8_EEEEZNS1_11reduce_implILb1ES3_NS6_12zip_iteratorINS7_INS6_11hip_rocprim26transform_input_iterator_tIbNSD_35transform_pair_of_input_iterators_tIbNS6_6detail15normal_iteratorINS6_10device_ptrIKxEEEESL_NS6_8equal_toIxEEEENSG_9not_fun_tINSD_8identityEEEEENSD_19counting_iterator_tIlEES8_S8_S8_S8_S8_S8_S8_S8_EEEEPS9_S9_NSD_9__find_if7functorIS9_EEEE10hipError_tPvRmT1_T2_T3_mT4_P12ihipStream_tbEUlT_E1_NS1_11comp_targetILNS1_3genE4ELNS1_11target_archE910ELNS1_3gpuE8ELNS1_3repE0EEENS1_30default_config_static_selectorELNS0_4arch9wavefront6targetE0EEEvS14_
		.amdhsa_group_segment_fixed_size 0
		.amdhsa_private_segment_fixed_size 0
		.amdhsa_kernarg_size 88
		.amdhsa_user_sgpr_count 6
		.amdhsa_user_sgpr_private_segment_buffer 1
		.amdhsa_user_sgpr_dispatch_ptr 0
		.amdhsa_user_sgpr_queue_ptr 0
		.amdhsa_user_sgpr_kernarg_segment_ptr 1
		.amdhsa_user_sgpr_dispatch_id 0
		.amdhsa_user_sgpr_flat_scratch_init 0
		.amdhsa_user_sgpr_private_segment_size 0
		.amdhsa_wavefront_size32 1
		.amdhsa_uses_dynamic_stack 0
		.amdhsa_system_sgpr_private_segment_wavefront_offset 0
		.amdhsa_system_sgpr_workgroup_id_x 1
		.amdhsa_system_sgpr_workgroup_id_y 0
		.amdhsa_system_sgpr_workgroup_id_z 0
		.amdhsa_system_sgpr_workgroup_info 0
		.amdhsa_system_vgpr_workitem_id 0
		.amdhsa_next_free_vgpr 1
		.amdhsa_next_free_sgpr 1
		.amdhsa_reserve_vcc 0
		.amdhsa_reserve_flat_scratch 0
		.amdhsa_float_round_mode_32 0
		.amdhsa_float_round_mode_16_64 0
		.amdhsa_float_denorm_mode_32 3
		.amdhsa_float_denorm_mode_16_64 3
		.amdhsa_dx10_clamp 1
		.amdhsa_ieee_mode 1
		.amdhsa_fp16_overflow 0
		.amdhsa_workgroup_processor_mode 1
		.amdhsa_memory_ordered 1
		.amdhsa_forward_progress 1
		.amdhsa_shared_vgpr_count 0
		.amdhsa_exception_fp_ieee_invalid_op 0
		.amdhsa_exception_fp_denorm_src 0
		.amdhsa_exception_fp_ieee_div_zero 0
		.amdhsa_exception_fp_ieee_overflow 0
		.amdhsa_exception_fp_ieee_underflow 0
		.amdhsa_exception_fp_ieee_inexact 0
		.amdhsa_exception_int_div_zero 0
	.end_amdhsa_kernel
	.section	.text._ZN7rocprim17ROCPRIM_400000_NS6detail17trampoline_kernelINS0_14default_configENS1_22reduce_config_selectorIN6thrust23THRUST_200600_302600_NS5tupleIblNS6_9null_typeES8_S8_S8_S8_S8_S8_S8_EEEEZNS1_11reduce_implILb1ES3_NS6_12zip_iteratorINS7_INS6_11hip_rocprim26transform_input_iterator_tIbNSD_35transform_pair_of_input_iterators_tIbNS6_6detail15normal_iteratorINS6_10device_ptrIKxEEEESL_NS6_8equal_toIxEEEENSG_9not_fun_tINSD_8identityEEEEENSD_19counting_iterator_tIlEES8_S8_S8_S8_S8_S8_S8_S8_EEEEPS9_S9_NSD_9__find_if7functorIS9_EEEE10hipError_tPvRmT1_T2_T3_mT4_P12ihipStream_tbEUlT_E1_NS1_11comp_targetILNS1_3genE4ELNS1_11target_archE910ELNS1_3gpuE8ELNS1_3repE0EEENS1_30default_config_static_selectorELNS0_4arch9wavefront6targetE0EEEvS14_,"axG",@progbits,_ZN7rocprim17ROCPRIM_400000_NS6detail17trampoline_kernelINS0_14default_configENS1_22reduce_config_selectorIN6thrust23THRUST_200600_302600_NS5tupleIblNS6_9null_typeES8_S8_S8_S8_S8_S8_S8_EEEEZNS1_11reduce_implILb1ES3_NS6_12zip_iteratorINS7_INS6_11hip_rocprim26transform_input_iterator_tIbNSD_35transform_pair_of_input_iterators_tIbNS6_6detail15normal_iteratorINS6_10device_ptrIKxEEEESL_NS6_8equal_toIxEEEENSG_9not_fun_tINSD_8identityEEEEENSD_19counting_iterator_tIlEES8_S8_S8_S8_S8_S8_S8_S8_EEEEPS9_S9_NSD_9__find_if7functorIS9_EEEE10hipError_tPvRmT1_T2_T3_mT4_P12ihipStream_tbEUlT_E1_NS1_11comp_targetILNS1_3genE4ELNS1_11target_archE910ELNS1_3gpuE8ELNS1_3repE0EEENS1_30default_config_static_selectorELNS0_4arch9wavefront6targetE0EEEvS14_,comdat
.Lfunc_end236:
	.size	_ZN7rocprim17ROCPRIM_400000_NS6detail17trampoline_kernelINS0_14default_configENS1_22reduce_config_selectorIN6thrust23THRUST_200600_302600_NS5tupleIblNS6_9null_typeES8_S8_S8_S8_S8_S8_S8_EEEEZNS1_11reduce_implILb1ES3_NS6_12zip_iteratorINS7_INS6_11hip_rocprim26transform_input_iterator_tIbNSD_35transform_pair_of_input_iterators_tIbNS6_6detail15normal_iteratorINS6_10device_ptrIKxEEEESL_NS6_8equal_toIxEEEENSG_9not_fun_tINSD_8identityEEEEENSD_19counting_iterator_tIlEES8_S8_S8_S8_S8_S8_S8_S8_EEEEPS9_S9_NSD_9__find_if7functorIS9_EEEE10hipError_tPvRmT1_T2_T3_mT4_P12ihipStream_tbEUlT_E1_NS1_11comp_targetILNS1_3genE4ELNS1_11target_archE910ELNS1_3gpuE8ELNS1_3repE0EEENS1_30default_config_static_selectorELNS0_4arch9wavefront6targetE0EEEvS14_, .Lfunc_end236-_ZN7rocprim17ROCPRIM_400000_NS6detail17trampoline_kernelINS0_14default_configENS1_22reduce_config_selectorIN6thrust23THRUST_200600_302600_NS5tupleIblNS6_9null_typeES8_S8_S8_S8_S8_S8_S8_EEEEZNS1_11reduce_implILb1ES3_NS6_12zip_iteratorINS7_INS6_11hip_rocprim26transform_input_iterator_tIbNSD_35transform_pair_of_input_iterators_tIbNS6_6detail15normal_iteratorINS6_10device_ptrIKxEEEESL_NS6_8equal_toIxEEEENSG_9not_fun_tINSD_8identityEEEEENSD_19counting_iterator_tIlEES8_S8_S8_S8_S8_S8_S8_S8_EEEEPS9_S9_NSD_9__find_if7functorIS9_EEEE10hipError_tPvRmT1_T2_T3_mT4_P12ihipStream_tbEUlT_E1_NS1_11comp_targetILNS1_3genE4ELNS1_11target_archE910ELNS1_3gpuE8ELNS1_3repE0EEENS1_30default_config_static_selectorELNS0_4arch9wavefront6targetE0EEEvS14_
                                        ; -- End function
	.set _ZN7rocprim17ROCPRIM_400000_NS6detail17trampoline_kernelINS0_14default_configENS1_22reduce_config_selectorIN6thrust23THRUST_200600_302600_NS5tupleIblNS6_9null_typeES8_S8_S8_S8_S8_S8_S8_EEEEZNS1_11reduce_implILb1ES3_NS6_12zip_iteratorINS7_INS6_11hip_rocprim26transform_input_iterator_tIbNSD_35transform_pair_of_input_iterators_tIbNS6_6detail15normal_iteratorINS6_10device_ptrIKxEEEESL_NS6_8equal_toIxEEEENSG_9not_fun_tINSD_8identityEEEEENSD_19counting_iterator_tIlEES8_S8_S8_S8_S8_S8_S8_S8_EEEEPS9_S9_NSD_9__find_if7functorIS9_EEEE10hipError_tPvRmT1_T2_T3_mT4_P12ihipStream_tbEUlT_E1_NS1_11comp_targetILNS1_3genE4ELNS1_11target_archE910ELNS1_3gpuE8ELNS1_3repE0EEENS1_30default_config_static_selectorELNS0_4arch9wavefront6targetE0EEEvS14_.num_vgpr, 0
	.set _ZN7rocprim17ROCPRIM_400000_NS6detail17trampoline_kernelINS0_14default_configENS1_22reduce_config_selectorIN6thrust23THRUST_200600_302600_NS5tupleIblNS6_9null_typeES8_S8_S8_S8_S8_S8_S8_EEEEZNS1_11reduce_implILb1ES3_NS6_12zip_iteratorINS7_INS6_11hip_rocprim26transform_input_iterator_tIbNSD_35transform_pair_of_input_iterators_tIbNS6_6detail15normal_iteratorINS6_10device_ptrIKxEEEESL_NS6_8equal_toIxEEEENSG_9not_fun_tINSD_8identityEEEEENSD_19counting_iterator_tIlEES8_S8_S8_S8_S8_S8_S8_S8_EEEEPS9_S9_NSD_9__find_if7functorIS9_EEEE10hipError_tPvRmT1_T2_T3_mT4_P12ihipStream_tbEUlT_E1_NS1_11comp_targetILNS1_3genE4ELNS1_11target_archE910ELNS1_3gpuE8ELNS1_3repE0EEENS1_30default_config_static_selectorELNS0_4arch9wavefront6targetE0EEEvS14_.num_agpr, 0
	.set _ZN7rocprim17ROCPRIM_400000_NS6detail17trampoline_kernelINS0_14default_configENS1_22reduce_config_selectorIN6thrust23THRUST_200600_302600_NS5tupleIblNS6_9null_typeES8_S8_S8_S8_S8_S8_S8_EEEEZNS1_11reduce_implILb1ES3_NS6_12zip_iteratorINS7_INS6_11hip_rocprim26transform_input_iterator_tIbNSD_35transform_pair_of_input_iterators_tIbNS6_6detail15normal_iteratorINS6_10device_ptrIKxEEEESL_NS6_8equal_toIxEEEENSG_9not_fun_tINSD_8identityEEEEENSD_19counting_iterator_tIlEES8_S8_S8_S8_S8_S8_S8_S8_EEEEPS9_S9_NSD_9__find_if7functorIS9_EEEE10hipError_tPvRmT1_T2_T3_mT4_P12ihipStream_tbEUlT_E1_NS1_11comp_targetILNS1_3genE4ELNS1_11target_archE910ELNS1_3gpuE8ELNS1_3repE0EEENS1_30default_config_static_selectorELNS0_4arch9wavefront6targetE0EEEvS14_.numbered_sgpr, 0
	.set _ZN7rocprim17ROCPRIM_400000_NS6detail17trampoline_kernelINS0_14default_configENS1_22reduce_config_selectorIN6thrust23THRUST_200600_302600_NS5tupleIblNS6_9null_typeES8_S8_S8_S8_S8_S8_S8_EEEEZNS1_11reduce_implILb1ES3_NS6_12zip_iteratorINS7_INS6_11hip_rocprim26transform_input_iterator_tIbNSD_35transform_pair_of_input_iterators_tIbNS6_6detail15normal_iteratorINS6_10device_ptrIKxEEEESL_NS6_8equal_toIxEEEENSG_9not_fun_tINSD_8identityEEEEENSD_19counting_iterator_tIlEES8_S8_S8_S8_S8_S8_S8_S8_EEEEPS9_S9_NSD_9__find_if7functorIS9_EEEE10hipError_tPvRmT1_T2_T3_mT4_P12ihipStream_tbEUlT_E1_NS1_11comp_targetILNS1_3genE4ELNS1_11target_archE910ELNS1_3gpuE8ELNS1_3repE0EEENS1_30default_config_static_selectorELNS0_4arch9wavefront6targetE0EEEvS14_.num_named_barrier, 0
	.set _ZN7rocprim17ROCPRIM_400000_NS6detail17trampoline_kernelINS0_14default_configENS1_22reduce_config_selectorIN6thrust23THRUST_200600_302600_NS5tupleIblNS6_9null_typeES8_S8_S8_S8_S8_S8_S8_EEEEZNS1_11reduce_implILb1ES3_NS6_12zip_iteratorINS7_INS6_11hip_rocprim26transform_input_iterator_tIbNSD_35transform_pair_of_input_iterators_tIbNS6_6detail15normal_iteratorINS6_10device_ptrIKxEEEESL_NS6_8equal_toIxEEEENSG_9not_fun_tINSD_8identityEEEEENSD_19counting_iterator_tIlEES8_S8_S8_S8_S8_S8_S8_S8_EEEEPS9_S9_NSD_9__find_if7functorIS9_EEEE10hipError_tPvRmT1_T2_T3_mT4_P12ihipStream_tbEUlT_E1_NS1_11comp_targetILNS1_3genE4ELNS1_11target_archE910ELNS1_3gpuE8ELNS1_3repE0EEENS1_30default_config_static_selectorELNS0_4arch9wavefront6targetE0EEEvS14_.private_seg_size, 0
	.set _ZN7rocprim17ROCPRIM_400000_NS6detail17trampoline_kernelINS0_14default_configENS1_22reduce_config_selectorIN6thrust23THRUST_200600_302600_NS5tupleIblNS6_9null_typeES8_S8_S8_S8_S8_S8_S8_EEEEZNS1_11reduce_implILb1ES3_NS6_12zip_iteratorINS7_INS6_11hip_rocprim26transform_input_iterator_tIbNSD_35transform_pair_of_input_iterators_tIbNS6_6detail15normal_iteratorINS6_10device_ptrIKxEEEESL_NS6_8equal_toIxEEEENSG_9not_fun_tINSD_8identityEEEEENSD_19counting_iterator_tIlEES8_S8_S8_S8_S8_S8_S8_S8_EEEEPS9_S9_NSD_9__find_if7functorIS9_EEEE10hipError_tPvRmT1_T2_T3_mT4_P12ihipStream_tbEUlT_E1_NS1_11comp_targetILNS1_3genE4ELNS1_11target_archE910ELNS1_3gpuE8ELNS1_3repE0EEENS1_30default_config_static_selectorELNS0_4arch9wavefront6targetE0EEEvS14_.uses_vcc, 0
	.set _ZN7rocprim17ROCPRIM_400000_NS6detail17trampoline_kernelINS0_14default_configENS1_22reduce_config_selectorIN6thrust23THRUST_200600_302600_NS5tupleIblNS6_9null_typeES8_S8_S8_S8_S8_S8_S8_EEEEZNS1_11reduce_implILb1ES3_NS6_12zip_iteratorINS7_INS6_11hip_rocprim26transform_input_iterator_tIbNSD_35transform_pair_of_input_iterators_tIbNS6_6detail15normal_iteratorINS6_10device_ptrIKxEEEESL_NS6_8equal_toIxEEEENSG_9not_fun_tINSD_8identityEEEEENSD_19counting_iterator_tIlEES8_S8_S8_S8_S8_S8_S8_S8_EEEEPS9_S9_NSD_9__find_if7functorIS9_EEEE10hipError_tPvRmT1_T2_T3_mT4_P12ihipStream_tbEUlT_E1_NS1_11comp_targetILNS1_3genE4ELNS1_11target_archE910ELNS1_3gpuE8ELNS1_3repE0EEENS1_30default_config_static_selectorELNS0_4arch9wavefront6targetE0EEEvS14_.uses_flat_scratch, 0
	.set _ZN7rocprim17ROCPRIM_400000_NS6detail17trampoline_kernelINS0_14default_configENS1_22reduce_config_selectorIN6thrust23THRUST_200600_302600_NS5tupleIblNS6_9null_typeES8_S8_S8_S8_S8_S8_S8_EEEEZNS1_11reduce_implILb1ES3_NS6_12zip_iteratorINS7_INS6_11hip_rocprim26transform_input_iterator_tIbNSD_35transform_pair_of_input_iterators_tIbNS6_6detail15normal_iteratorINS6_10device_ptrIKxEEEESL_NS6_8equal_toIxEEEENSG_9not_fun_tINSD_8identityEEEEENSD_19counting_iterator_tIlEES8_S8_S8_S8_S8_S8_S8_S8_EEEEPS9_S9_NSD_9__find_if7functorIS9_EEEE10hipError_tPvRmT1_T2_T3_mT4_P12ihipStream_tbEUlT_E1_NS1_11comp_targetILNS1_3genE4ELNS1_11target_archE910ELNS1_3gpuE8ELNS1_3repE0EEENS1_30default_config_static_selectorELNS0_4arch9wavefront6targetE0EEEvS14_.has_dyn_sized_stack, 0
	.set _ZN7rocprim17ROCPRIM_400000_NS6detail17trampoline_kernelINS0_14default_configENS1_22reduce_config_selectorIN6thrust23THRUST_200600_302600_NS5tupleIblNS6_9null_typeES8_S8_S8_S8_S8_S8_S8_EEEEZNS1_11reduce_implILb1ES3_NS6_12zip_iteratorINS7_INS6_11hip_rocprim26transform_input_iterator_tIbNSD_35transform_pair_of_input_iterators_tIbNS6_6detail15normal_iteratorINS6_10device_ptrIKxEEEESL_NS6_8equal_toIxEEEENSG_9not_fun_tINSD_8identityEEEEENSD_19counting_iterator_tIlEES8_S8_S8_S8_S8_S8_S8_S8_EEEEPS9_S9_NSD_9__find_if7functorIS9_EEEE10hipError_tPvRmT1_T2_T3_mT4_P12ihipStream_tbEUlT_E1_NS1_11comp_targetILNS1_3genE4ELNS1_11target_archE910ELNS1_3gpuE8ELNS1_3repE0EEENS1_30default_config_static_selectorELNS0_4arch9wavefront6targetE0EEEvS14_.has_recursion, 0
	.set _ZN7rocprim17ROCPRIM_400000_NS6detail17trampoline_kernelINS0_14default_configENS1_22reduce_config_selectorIN6thrust23THRUST_200600_302600_NS5tupleIblNS6_9null_typeES8_S8_S8_S8_S8_S8_S8_EEEEZNS1_11reduce_implILb1ES3_NS6_12zip_iteratorINS7_INS6_11hip_rocprim26transform_input_iterator_tIbNSD_35transform_pair_of_input_iterators_tIbNS6_6detail15normal_iteratorINS6_10device_ptrIKxEEEESL_NS6_8equal_toIxEEEENSG_9not_fun_tINSD_8identityEEEEENSD_19counting_iterator_tIlEES8_S8_S8_S8_S8_S8_S8_S8_EEEEPS9_S9_NSD_9__find_if7functorIS9_EEEE10hipError_tPvRmT1_T2_T3_mT4_P12ihipStream_tbEUlT_E1_NS1_11comp_targetILNS1_3genE4ELNS1_11target_archE910ELNS1_3gpuE8ELNS1_3repE0EEENS1_30default_config_static_selectorELNS0_4arch9wavefront6targetE0EEEvS14_.has_indirect_call, 0
	.section	.AMDGPU.csdata,"",@progbits
; Kernel info:
; codeLenInByte = 0
; TotalNumSgprs: 0
; NumVgprs: 0
; ScratchSize: 0
; MemoryBound: 0
; FloatMode: 240
; IeeeMode: 1
; LDSByteSize: 0 bytes/workgroup (compile time only)
; SGPRBlocks: 0
; VGPRBlocks: 0
; NumSGPRsForWavesPerEU: 1
; NumVGPRsForWavesPerEU: 1
; Occupancy: 16
; WaveLimiterHint : 0
; COMPUTE_PGM_RSRC2:SCRATCH_EN: 0
; COMPUTE_PGM_RSRC2:USER_SGPR: 6
; COMPUTE_PGM_RSRC2:TRAP_HANDLER: 0
; COMPUTE_PGM_RSRC2:TGID_X_EN: 1
; COMPUTE_PGM_RSRC2:TGID_Y_EN: 0
; COMPUTE_PGM_RSRC2:TGID_Z_EN: 0
; COMPUTE_PGM_RSRC2:TIDIG_COMP_CNT: 0
	.section	.text._ZN7rocprim17ROCPRIM_400000_NS6detail17trampoline_kernelINS0_14default_configENS1_22reduce_config_selectorIN6thrust23THRUST_200600_302600_NS5tupleIblNS6_9null_typeES8_S8_S8_S8_S8_S8_S8_EEEEZNS1_11reduce_implILb1ES3_NS6_12zip_iteratorINS7_INS6_11hip_rocprim26transform_input_iterator_tIbNSD_35transform_pair_of_input_iterators_tIbNS6_6detail15normal_iteratorINS6_10device_ptrIKxEEEESL_NS6_8equal_toIxEEEENSG_9not_fun_tINSD_8identityEEEEENSD_19counting_iterator_tIlEES8_S8_S8_S8_S8_S8_S8_S8_EEEEPS9_S9_NSD_9__find_if7functorIS9_EEEE10hipError_tPvRmT1_T2_T3_mT4_P12ihipStream_tbEUlT_E1_NS1_11comp_targetILNS1_3genE3ELNS1_11target_archE908ELNS1_3gpuE7ELNS1_3repE0EEENS1_30default_config_static_selectorELNS0_4arch9wavefront6targetE0EEEvS14_,"axG",@progbits,_ZN7rocprim17ROCPRIM_400000_NS6detail17trampoline_kernelINS0_14default_configENS1_22reduce_config_selectorIN6thrust23THRUST_200600_302600_NS5tupleIblNS6_9null_typeES8_S8_S8_S8_S8_S8_S8_EEEEZNS1_11reduce_implILb1ES3_NS6_12zip_iteratorINS7_INS6_11hip_rocprim26transform_input_iterator_tIbNSD_35transform_pair_of_input_iterators_tIbNS6_6detail15normal_iteratorINS6_10device_ptrIKxEEEESL_NS6_8equal_toIxEEEENSG_9not_fun_tINSD_8identityEEEEENSD_19counting_iterator_tIlEES8_S8_S8_S8_S8_S8_S8_S8_EEEEPS9_S9_NSD_9__find_if7functorIS9_EEEE10hipError_tPvRmT1_T2_T3_mT4_P12ihipStream_tbEUlT_E1_NS1_11comp_targetILNS1_3genE3ELNS1_11target_archE908ELNS1_3gpuE7ELNS1_3repE0EEENS1_30default_config_static_selectorELNS0_4arch9wavefront6targetE0EEEvS14_,comdat
	.protected	_ZN7rocprim17ROCPRIM_400000_NS6detail17trampoline_kernelINS0_14default_configENS1_22reduce_config_selectorIN6thrust23THRUST_200600_302600_NS5tupleIblNS6_9null_typeES8_S8_S8_S8_S8_S8_S8_EEEEZNS1_11reduce_implILb1ES3_NS6_12zip_iteratorINS7_INS6_11hip_rocprim26transform_input_iterator_tIbNSD_35transform_pair_of_input_iterators_tIbNS6_6detail15normal_iteratorINS6_10device_ptrIKxEEEESL_NS6_8equal_toIxEEEENSG_9not_fun_tINSD_8identityEEEEENSD_19counting_iterator_tIlEES8_S8_S8_S8_S8_S8_S8_S8_EEEEPS9_S9_NSD_9__find_if7functorIS9_EEEE10hipError_tPvRmT1_T2_T3_mT4_P12ihipStream_tbEUlT_E1_NS1_11comp_targetILNS1_3genE3ELNS1_11target_archE908ELNS1_3gpuE7ELNS1_3repE0EEENS1_30default_config_static_selectorELNS0_4arch9wavefront6targetE0EEEvS14_ ; -- Begin function _ZN7rocprim17ROCPRIM_400000_NS6detail17trampoline_kernelINS0_14default_configENS1_22reduce_config_selectorIN6thrust23THRUST_200600_302600_NS5tupleIblNS6_9null_typeES8_S8_S8_S8_S8_S8_S8_EEEEZNS1_11reduce_implILb1ES3_NS6_12zip_iteratorINS7_INS6_11hip_rocprim26transform_input_iterator_tIbNSD_35transform_pair_of_input_iterators_tIbNS6_6detail15normal_iteratorINS6_10device_ptrIKxEEEESL_NS6_8equal_toIxEEEENSG_9not_fun_tINSD_8identityEEEEENSD_19counting_iterator_tIlEES8_S8_S8_S8_S8_S8_S8_S8_EEEEPS9_S9_NSD_9__find_if7functorIS9_EEEE10hipError_tPvRmT1_T2_T3_mT4_P12ihipStream_tbEUlT_E1_NS1_11comp_targetILNS1_3genE3ELNS1_11target_archE908ELNS1_3gpuE7ELNS1_3repE0EEENS1_30default_config_static_selectorELNS0_4arch9wavefront6targetE0EEEvS14_
	.globl	_ZN7rocprim17ROCPRIM_400000_NS6detail17trampoline_kernelINS0_14default_configENS1_22reduce_config_selectorIN6thrust23THRUST_200600_302600_NS5tupleIblNS6_9null_typeES8_S8_S8_S8_S8_S8_S8_EEEEZNS1_11reduce_implILb1ES3_NS6_12zip_iteratorINS7_INS6_11hip_rocprim26transform_input_iterator_tIbNSD_35transform_pair_of_input_iterators_tIbNS6_6detail15normal_iteratorINS6_10device_ptrIKxEEEESL_NS6_8equal_toIxEEEENSG_9not_fun_tINSD_8identityEEEEENSD_19counting_iterator_tIlEES8_S8_S8_S8_S8_S8_S8_S8_EEEEPS9_S9_NSD_9__find_if7functorIS9_EEEE10hipError_tPvRmT1_T2_T3_mT4_P12ihipStream_tbEUlT_E1_NS1_11comp_targetILNS1_3genE3ELNS1_11target_archE908ELNS1_3gpuE7ELNS1_3repE0EEENS1_30default_config_static_selectorELNS0_4arch9wavefront6targetE0EEEvS14_
	.p2align	8
	.type	_ZN7rocprim17ROCPRIM_400000_NS6detail17trampoline_kernelINS0_14default_configENS1_22reduce_config_selectorIN6thrust23THRUST_200600_302600_NS5tupleIblNS6_9null_typeES8_S8_S8_S8_S8_S8_S8_EEEEZNS1_11reduce_implILb1ES3_NS6_12zip_iteratorINS7_INS6_11hip_rocprim26transform_input_iterator_tIbNSD_35transform_pair_of_input_iterators_tIbNS6_6detail15normal_iteratorINS6_10device_ptrIKxEEEESL_NS6_8equal_toIxEEEENSG_9not_fun_tINSD_8identityEEEEENSD_19counting_iterator_tIlEES8_S8_S8_S8_S8_S8_S8_S8_EEEEPS9_S9_NSD_9__find_if7functorIS9_EEEE10hipError_tPvRmT1_T2_T3_mT4_P12ihipStream_tbEUlT_E1_NS1_11comp_targetILNS1_3genE3ELNS1_11target_archE908ELNS1_3gpuE7ELNS1_3repE0EEENS1_30default_config_static_selectorELNS0_4arch9wavefront6targetE0EEEvS14_,@function
_ZN7rocprim17ROCPRIM_400000_NS6detail17trampoline_kernelINS0_14default_configENS1_22reduce_config_selectorIN6thrust23THRUST_200600_302600_NS5tupleIblNS6_9null_typeES8_S8_S8_S8_S8_S8_S8_EEEEZNS1_11reduce_implILb1ES3_NS6_12zip_iteratorINS7_INS6_11hip_rocprim26transform_input_iterator_tIbNSD_35transform_pair_of_input_iterators_tIbNS6_6detail15normal_iteratorINS6_10device_ptrIKxEEEESL_NS6_8equal_toIxEEEENSG_9not_fun_tINSD_8identityEEEEENSD_19counting_iterator_tIlEES8_S8_S8_S8_S8_S8_S8_S8_EEEEPS9_S9_NSD_9__find_if7functorIS9_EEEE10hipError_tPvRmT1_T2_T3_mT4_P12ihipStream_tbEUlT_E1_NS1_11comp_targetILNS1_3genE3ELNS1_11target_archE908ELNS1_3gpuE7ELNS1_3repE0EEENS1_30default_config_static_selectorELNS0_4arch9wavefront6targetE0EEEvS14_: ; @_ZN7rocprim17ROCPRIM_400000_NS6detail17trampoline_kernelINS0_14default_configENS1_22reduce_config_selectorIN6thrust23THRUST_200600_302600_NS5tupleIblNS6_9null_typeES8_S8_S8_S8_S8_S8_S8_EEEEZNS1_11reduce_implILb1ES3_NS6_12zip_iteratorINS7_INS6_11hip_rocprim26transform_input_iterator_tIbNSD_35transform_pair_of_input_iterators_tIbNS6_6detail15normal_iteratorINS6_10device_ptrIKxEEEESL_NS6_8equal_toIxEEEENSG_9not_fun_tINSD_8identityEEEEENSD_19counting_iterator_tIlEES8_S8_S8_S8_S8_S8_S8_S8_EEEEPS9_S9_NSD_9__find_if7functorIS9_EEEE10hipError_tPvRmT1_T2_T3_mT4_P12ihipStream_tbEUlT_E1_NS1_11comp_targetILNS1_3genE3ELNS1_11target_archE908ELNS1_3gpuE7ELNS1_3repE0EEENS1_30default_config_static_selectorELNS0_4arch9wavefront6targetE0EEEvS14_
; %bb.0:
	.section	.rodata,"a",@progbits
	.p2align	6, 0x0
	.amdhsa_kernel _ZN7rocprim17ROCPRIM_400000_NS6detail17trampoline_kernelINS0_14default_configENS1_22reduce_config_selectorIN6thrust23THRUST_200600_302600_NS5tupleIblNS6_9null_typeES8_S8_S8_S8_S8_S8_S8_EEEEZNS1_11reduce_implILb1ES3_NS6_12zip_iteratorINS7_INS6_11hip_rocprim26transform_input_iterator_tIbNSD_35transform_pair_of_input_iterators_tIbNS6_6detail15normal_iteratorINS6_10device_ptrIKxEEEESL_NS6_8equal_toIxEEEENSG_9not_fun_tINSD_8identityEEEEENSD_19counting_iterator_tIlEES8_S8_S8_S8_S8_S8_S8_S8_EEEEPS9_S9_NSD_9__find_if7functorIS9_EEEE10hipError_tPvRmT1_T2_T3_mT4_P12ihipStream_tbEUlT_E1_NS1_11comp_targetILNS1_3genE3ELNS1_11target_archE908ELNS1_3gpuE7ELNS1_3repE0EEENS1_30default_config_static_selectorELNS0_4arch9wavefront6targetE0EEEvS14_
		.amdhsa_group_segment_fixed_size 0
		.amdhsa_private_segment_fixed_size 0
		.amdhsa_kernarg_size 88
		.amdhsa_user_sgpr_count 6
		.amdhsa_user_sgpr_private_segment_buffer 1
		.amdhsa_user_sgpr_dispatch_ptr 0
		.amdhsa_user_sgpr_queue_ptr 0
		.amdhsa_user_sgpr_kernarg_segment_ptr 1
		.amdhsa_user_sgpr_dispatch_id 0
		.amdhsa_user_sgpr_flat_scratch_init 0
		.amdhsa_user_sgpr_private_segment_size 0
		.amdhsa_wavefront_size32 1
		.amdhsa_uses_dynamic_stack 0
		.amdhsa_system_sgpr_private_segment_wavefront_offset 0
		.amdhsa_system_sgpr_workgroup_id_x 1
		.amdhsa_system_sgpr_workgroup_id_y 0
		.amdhsa_system_sgpr_workgroup_id_z 0
		.amdhsa_system_sgpr_workgroup_info 0
		.amdhsa_system_vgpr_workitem_id 0
		.amdhsa_next_free_vgpr 1
		.amdhsa_next_free_sgpr 1
		.amdhsa_reserve_vcc 0
		.amdhsa_reserve_flat_scratch 0
		.amdhsa_float_round_mode_32 0
		.amdhsa_float_round_mode_16_64 0
		.amdhsa_float_denorm_mode_32 3
		.amdhsa_float_denorm_mode_16_64 3
		.amdhsa_dx10_clamp 1
		.amdhsa_ieee_mode 1
		.amdhsa_fp16_overflow 0
		.amdhsa_workgroup_processor_mode 1
		.amdhsa_memory_ordered 1
		.amdhsa_forward_progress 1
		.amdhsa_shared_vgpr_count 0
		.amdhsa_exception_fp_ieee_invalid_op 0
		.amdhsa_exception_fp_denorm_src 0
		.amdhsa_exception_fp_ieee_div_zero 0
		.amdhsa_exception_fp_ieee_overflow 0
		.amdhsa_exception_fp_ieee_underflow 0
		.amdhsa_exception_fp_ieee_inexact 0
		.amdhsa_exception_int_div_zero 0
	.end_amdhsa_kernel
	.section	.text._ZN7rocprim17ROCPRIM_400000_NS6detail17trampoline_kernelINS0_14default_configENS1_22reduce_config_selectorIN6thrust23THRUST_200600_302600_NS5tupleIblNS6_9null_typeES8_S8_S8_S8_S8_S8_S8_EEEEZNS1_11reduce_implILb1ES3_NS6_12zip_iteratorINS7_INS6_11hip_rocprim26transform_input_iterator_tIbNSD_35transform_pair_of_input_iterators_tIbNS6_6detail15normal_iteratorINS6_10device_ptrIKxEEEESL_NS6_8equal_toIxEEEENSG_9not_fun_tINSD_8identityEEEEENSD_19counting_iterator_tIlEES8_S8_S8_S8_S8_S8_S8_S8_EEEEPS9_S9_NSD_9__find_if7functorIS9_EEEE10hipError_tPvRmT1_T2_T3_mT4_P12ihipStream_tbEUlT_E1_NS1_11comp_targetILNS1_3genE3ELNS1_11target_archE908ELNS1_3gpuE7ELNS1_3repE0EEENS1_30default_config_static_selectorELNS0_4arch9wavefront6targetE0EEEvS14_,"axG",@progbits,_ZN7rocprim17ROCPRIM_400000_NS6detail17trampoline_kernelINS0_14default_configENS1_22reduce_config_selectorIN6thrust23THRUST_200600_302600_NS5tupleIblNS6_9null_typeES8_S8_S8_S8_S8_S8_S8_EEEEZNS1_11reduce_implILb1ES3_NS6_12zip_iteratorINS7_INS6_11hip_rocprim26transform_input_iterator_tIbNSD_35transform_pair_of_input_iterators_tIbNS6_6detail15normal_iteratorINS6_10device_ptrIKxEEEESL_NS6_8equal_toIxEEEENSG_9not_fun_tINSD_8identityEEEEENSD_19counting_iterator_tIlEES8_S8_S8_S8_S8_S8_S8_S8_EEEEPS9_S9_NSD_9__find_if7functorIS9_EEEE10hipError_tPvRmT1_T2_T3_mT4_P12ihipStream_tbEUlT_E1_NS1_11comp_targetILNS1_3genE3ELNS1_11target_archE908ELNS1_3gpuE7ELNS1_3repE0EEENS1_30default_config_static_selectorELNS0_4arch9wavefront6targetE0EEEvS14_,comdat
.Lfunc_end237:
	.size	_ZN7rocprim17ROCPRIM_400000_NS6detail17trampoline_kernelINS0_14default_configENS1_22reduce_config_selectorIN6thrust23THRUST_200600_302600_NS5tupleIblNS6_9null_typeES8_S8_S8_S8_S8_S8_S8_EEEEZNS1_11reduce_implILb1ES3_NS6_12zip_iteratorINS7_INS6_11hip_rocprim26transform_input_iterator_tIbNSD_35transform_pair_of_input_iterators_tIbNS6_6detail15normal_iteratorINS6_10device_ptrIKxEEEESL_NS6_8equal_toIxEEEENSG_9not_fun_tINSD_8identityEEEEENSD_19counting_iterator_tIlEES8_S8_S8_S8_S8_S8_S8_S8_EEEEPS9_S9_NSD_9__find_if7functorIS9_EEEE10hipError_tPvRmT1_T2_T3_mT4_P12ihipStream_tbEUlT_E1_NS1_11comp_targetILNS1_3genE3ELNS1_11target_archE908ELNS1_3gpuE7ELNS1_3repE0EEENS1_30default_config_static_selectorELNS0_4arch9wavefront6targetE0EEEvS14_, .Lfunc_end237-_ZN7rocprim17ROCPRIM_400000_NS6detail17trampoline_kernelINS0_14default_configENS1_22reduce_config_selectorIN6thrust23THRUST_200600_302600_NS5tupleIblNS6_9null_typeES8_S8_S8_S8_S8_S8_S8_EEEEZNS1_11reduce_implILb1ES3_NS6_12zip_iteratorINS7_INS6_11hip_rocprim26transform_input_iterator_tIbNSD_35transform_pair_of_input_iterators_tIbNS6_6detail15normal_iteratorINS6_10device_ptrIKxEEEESL_NS6_8equal_toIxEEEENSG_9not_fun_tINSD_8identityEEEEENSD_19counting_iterator_tIlEES8_S8_S8_S8_S8_S8_S8_S8_EEEEPS9_S9_NSD_9__find_if7functorIS9_EEEE10hipError_tPvRmT1_T2_T3_mT4_P12ihipStream_tbEUlT_E1_NS1_11comp_targetILNS1_3genE3ELNS1_11target_archE908ELNS1_3gpuE7ELNS1_3repE0EEENS1_30default_config_static_selectorELNS0_4arch9wavefront6targetE0EEEvS14_
                                        ; -- End function
	.set _ZN7rocprim17ROCPRIM_400000_NS6detail17trampoline_kernelINS0_14default_configENS1_22reduce_config_selectorIN6thrust23THRUST_200600_302600_NS5tupleIblNS6_9null_typeES8_S8_S8_S8_S8_S8_S8_EEEEZNS1_11reduce_implILb1ES3_NS6_12zip_iteratorINS7_INS6_11hip_rocprim26transform_input_iterator_tIbNSD_35transform_pair_of_input_iterators_tIbNS6_6detail15normal_iteratorINS6_10device_ptrIKxEEEESL_NS6_8equal_toIxEEEENSG_9not_fun_tINSD_8identityEEEEENSD_19counting_iterator_tIlEES8_S8_S8_S8_S8_S8_S8_S8_EEEEPS9_S9_NSD_9__find_if7functorIS9_EEEE10hipError_tPvRmT1_T2_T3_mT4_P12ihipStream_tbEUlT_E1_NS1_11comp_targetILNS1_3genE3ELNS1_11target_archE908ELNS1_3gpuE7ELNS1_3repE0EEENS1_30default_config_static_selectorELNS0_4arch9wavefront6targetE0EEEvS14_.num_vgpr, 0
	.set _ZN7rocprim17ROCPRIM_400000_NS6detail17trampoline_kernelINS0_14default_configENS1_22reduce_config_selectorIN6thrust23THRUST_200600_302600_NS5tupleIblNS6_9null_typeES8_S8_S8_S8_S8_S8_S8_EEEEZNS1_11reduce_implILb1ES3_NS6_12zip_iteratorINS7_INS6_11hip_rocprim26transform_input_iterator_tIbNSD_35transform_pair_of_input_iterators_tIbNS6_6detail15normal_iteratorINS6_10device_ptrIKxEEEESL_NS6_8equal_toIxEEEENSG_9not_fun_tINSD_8identityEEEEENSD_19counting_iterator_tIlEES8_S8_S8_S8_S8_S8_S8_S8_EEEEPS9_S9_NSD_9__find_if7functorIS9_EEEE10hipError_tPvRmT1_T2_T3_mT4_P12ihipStream_tbEUlT_E1_NS1_11comp_targetILNS1_3genE3ELNS1_11target_archE908ELNS1_3gpuE7ELNS1_3repE0EEENS1_30default_config_static_selectorELNS0_4arch9wavefront6targetE0EEEvS14_.num_agpr, 0
	.set _ZN7rocprim17ROCPRIM_400000_NS6detail17trampoline_kernelINS0_14default_configENS1_22reduce_config_selectorIN6thrust23THRUST_200600_302600_NS5tupleIblNS6_9null_typeES8_S8_S8_S8_S8_S8_S8_EEEEZNS1_11reduce_implILb1ES3_NS6_12zip_iteratorINS7_INS6_11hip_rocprim26transform_input_iterator_tIbNSD_35transform_pair_of_input_iterators_tIbNS6_6detail15normal_iteratorINS6_10device_ptrIKxEEEESL_NS6_8equal_toIxEEEENSG_9not_fun_tINSD_8identityEEEEENSD_19counting_iterator_tIlEES8_S8_S8_S8_S8_S8_S8_S8_EEEEPS9_S9_NSD_9__find_if7functorIS9_EEEE10hipError_tPvRmT1_T2_T3_mT4_P12ihipStream_tbEUlT_E1_NS1_11comp_targetILNS1_3genE3ELNS1_11target_archE908ELNS1_3gpuE7ELNS1_3repE0EEENS1_30default_config_static_selectorELNS0_4arch9wavefront6targetE0EEEvS14_.numbered_sgpr, 0
	.set _ZN7rocprim17ROCPRIM_400000_NS6detail17trampoline_kernelINS0_14default_configENS1_22reduce_config_selectorIN6thrust23THRUST_200600_302600_NS5tupleIblNS6_9null_typeES8_S8_S8_S8_S8_S8_S8_EEEEZNS1_11reduce_implILb1ES3_NS6_12zip_iteratorINS7_INS6_11hip_rocprim26transform_input_iterator_tIbNSD_35transform_pair_of_input_iterators_tIbNS6_6detail15normal_iteratorINS6_10device_ptrIKxEEEESL_NS6_8equal_toIxEEEENSG_9not_fun_tINSD_8identityEEEEENSD_19counting_iterator_tIlEES8_S8_S8_S8_S8_S8_S8_S8_EEEEPS9_S9_NSD_9__find_if7functorIS9_EEEE10hipError_tPvRmT1_T2_T3_mT4_P12ihipStream_tbEUlT_E1_NS1_11comp_targetILNS1_3genE3ELNS1_11target_archE908ELNS1_3gpuE7ELNS1_3repE0EEENS1_30default_config_static_selectorELNS0_4arch9wavefront6targetE0EEEvS14_.num_named_barrier, 0
	.set _ZN7rocprim17ROCPRIM_400000_NS6detail17trampoline_kernelINS0_14default_configENS1_22reduce_config_selectorIN6thrust23THRUST_200600_302600_NS5tupleIblNS6_9null_typeES8_S8_S8_S8_S8_S8_S8_EEEEZNS1_11reduce_implILb1ES3_NS6_12zip_iteratorINS7_INS6_11hip_rocprim26transform_input_iterator_tIbNSD_35transform_pair_of_input_iterators_tIbNS6_6detail15normal_iteratorINS6_10device_ptrIKxEEEESL_NS6_8equal_toIxEEEENSG_9not_fun_tINSD_8identityEEEEENSD_19counting_iterator_tIlEES8_S8_S8_S8_S8_S8_S8_S8_EEEEPS9_S9_NSD_9__find_if7functorIS9_EEEE10hipError_tPvRmT1_T2_T3_mT4_P12ihipStream_tbEUlT_E1_NS1_11comp_targetILNS1_3genE3ELNS1_11target_archE908ELNS1_3gpuE7ELNS1_3repE0EEENS1_30default_config_static_selectorELNS0_4arch9wavefront6targetE0EEEvS14_.private_seg_size, 0
	.set _ZN7rocprim17ROCPRIM_400000_NS6detail17trampoline_kernelINS0_14default_configENS1_22reduce_config_selectorIN6thrust23THRUST_200600_302600_NS5tupleIblNS6_9null_typeES8_S8_S8_S8_S8_S8_S8_EEEEZNS1_11reduce_implILb1ES3_NS6_12zip_iteratorINS7_INS6_11hip_rocprim26transform_input_iterator_tIbNSD_35transform_pair_of_input_iterators_tIbNS6_6detail15normal_iteratorINS6_10device_ptrIKxEEEESL_NS6_8equal_toIxEEEENSG_9not_fun_tINSD_8identityEEEEENSD_19counting_iterator_tIlEES8_S8_S8_S8_S8_S8_S8_S8_EEEEPS9_S9_NSD_9__find_if7functorIS9_EEEE10hipError_tPvRmT1_T2_T3_mT4_P12ihipStream_tbEUlT_E1_NS1_11comp_targetILNS1_3genE3ELNS1_11target_archE908ELNS1_3gpuE7ELNS1_3repE0EEENS1_30default_config_static_selectorELNS0_4arch9wavefront6targetE0EEEvS14_.uses_vcc, 0
	.set _ZN7rocprim17ROCPRIM_400000_NS6detail17trampoline_kernelINS0_14default_configENS1_22reduce_config_selectorIN6thrust23THRUST_200600_302600_NS5tupleIblNS6_9null_typeES8_S8_S8_S8_S8_S8_S8_EEEEZNS1_11reduce_implILb1ES3_NS6_12zip_iteratorINS7_INS6_11hip_rocprim26transform_input_iterator_tIbNSD_35transform_pair_of_input_iterators_tIbNS6_6detail15normal_iteratorINS6_10device_ptrIKxEEEESL_NS6_8equal_toIxEEEENSG_9not_fun_tINSD_8identityEEEEENSD_19counting_iterator_tIlEES8_S8_S8_S8_S8_S8_S8_S8_EEEEPS9_S9_NSD_9__find_if7functorIS9_EEEE10hipError_tPvRmT1_T2_T3_mT4_P12ihipStream_tbEUlT_E1_NS1_11comp_targetILNS1_3genE3ELNS1_11target_archE908ELNS1_3gpuE7ELNS1_3repE0EEENS1_30default_config_static_selectorELNS0_4arch9wavefront6targetE0EEEvS14_.uses_flat_scratch, 0
	.set _ZN7rocprim17ROCPRIM_400000_NS6detail17trampoline_kernelINS0_14default_configENS1_22reduce_config_selectorIN6thrust23THRUST_200600_302600_NS5tupleIblNS6_9null_typeES8_S8_S8_S8_S8_S8_S8_EEEEZNS1_11reduce_implILb1ES3_NS6_12zip_iteratorINS7_INS6_11hip_rocprim26transform_input_iterator_tIbNSD_35transform_pair_of_input_iterators_tIbNS6_6detail15normal_iteratorINS6_10device_ptrIKxEEEESL_NS6_8equal_toIxEEEENSG_9not_fun_tINSD_8identityEEEEENSD_19counting_iterator_tIlEES8_S8_S8_S8_S8_S8_S8_S8_EEEEPS9_S9_NSD_9__find_if7functorIS9_EEEE10hipError_tPvRmT1_T2_T3_mT4_P12ihipStream_tbEUlT_E1_NS1_11comp_targetILNS1_3genE3ELNS1_11target_archE908ELNS1_3gpuE7ELNS1_3repE0EEENS1_30default_config_static_selectorELNS0_4arch9wavefront6targetE0EEEvS14_.has_dyn_sized_stack, 0
	.set _ZN7rocprim17ROCPRIM_400000_NS6detail17trampoline_kernelINS0_14default_configENS1_22reduce_config_selectorIN6thrust23THRUST_200600_302600_NS5tupleIblNS6_9null_typeES8_S8_S8_S8_S8_S8_S8_EEEEZNS1_11reduce_implILb1ES3_NS6_12zip_iteratorINS7_INS6_11hip_rocprim26transform_input_iterator_tIbNSD_35transform_pair_of_input_iterators_tIbNS6_6detail15normal_iteratorINS6_10device_ptrIKxEEEESL_NS6_8equal_toIxEEEENSG_9not_fun_tINSD_8identityEEEEENSD_19counting_iterator_tIlEES8_S8_S8_S8_S8_S8_S8_S8_EEEEPS9_S9_NSD_9__find_if7functorIS9_EEEE10hipError_tPvRmT1_T2_T3_mT4_P12ihipStream_tbEUlT_E1_NS1_11comp_targetILNS1_3genE3ELNS1_11target_archE908ELNS1_3gpuE7ELNS1_3repE0EEENS1_30default_config_static_selectorELNS0_4arch9wavefront6targetE0EEEvS14_.has_recursion, 0
	.set _ZN7rocprim17ROCPRIM_400000_NS6detail17trampoline_kernelINS0_14default_configENS1_22reduce_config_selectorIN6thrust23THRUST_200600_302600_NS5tupleIblNS6_9null_typeES8_S8_S8_S8_S8_S8_S8_EEEEZNS1_11reduce_implILb1ES3_NS6_12zip_iteratorINS7_INS6_11hip_rocprim26transform_input_iterator_tIbNSD_35transform_pair_of_input_iterators_tIbNS6_6detail15normal_iteratorINS6_10device_ptrIKxEEEESL_NS6_8equal_toIxEEEENSG_9not_fun_tINSD_8identityEEEEENSD_19counting_iterator_tIlEES8_S8_S8_S8_S8_S8_S8_S8_EEEEPS9_S9_NSD_9__find_if7functorIS9_EEEE10hipError_tPvRmT1_T2_T3_mT4_P12ihipStream_tbEUlT_E1_NS1_11comp_targetILNS1_3genE3ELNS1_11target_archE908ELNS1_3gpuE7ELNS1_3repE0EEENS1_30default_config_static_selectorELNS0_4arch9wavefront6targetE0EEEvS14_.has_indirect_call, 0
	.section	.AMDGPU.csdata,"",@progbits
; Kernel info:
; codeLenInByte = 0
; TotalNumSgprs: 0
; NumVgprs: 0
; ScratchSize: 0
; MemoryBound: 0
; FloatMode: 240
; IeeeMode: 1
; LDSByteSize: 0 bytes/workgroup (compile time only)
; SGPRBlocks: 0
; VGPRBlocks: 0
; NumSGPRsForWavesPerEU: 1
; NumVGPRsForWavesPerEU: 1
; Occupancy: 16
; WaveLimiterHint : 0
; COMPUTE_PGM_RSRC2:SCRATCH_EN: 0
; COMPUTE_PGM_RSRC2:USER_SGPR: 6
; COMPUTE_PGM_RSRC2:TRAP_HANDLER: 0
; COMPUTE_PGM_RSRC2:TGID_X_EN: 1
; COMPUTE_PGM_RSRC2:TGID_Y_EN: 0
; COMPUTE_PGM_RSRC2:TGID_Z_EN: 0
; COMPUTE_PGM_RSRC2:TIDIG_COMP_CNT: 0
	.section	.text._ZN7rocprim17ROCPRIM_400000_NS6detail17trampoline_kernelINS0_14default_configENS1_22reduce_config_selectorIN6thrust23THRUST_200600_302600_NS5tupleIblNS6_9null_typeES8_S8_S8_S8_S8_S8_S8_EEEEZNS1_11reduce_implILb1ES3_NS6_12zip_iteratorINS7_INS6_11hip_rocprim26transform_input_iterator_tIbNSD_35transform_pair_of_input_iterators_tIbNS6_6detail15normal_iteratorINS6_10device_ptrIKxEEEESL_NS6_8equal_toIxEEEENSG_9not_fun_tINSD_8identityEEEEENSD_19counting_iterator_tIlEES8_S8_S8_S8_S8_S8_S8_S8_EEEEPS9_S9_NSD_9__find_if7functorIS9_EEEE10hipError_tPvRmT1_T2_T3_mT4_P12ihipStream_tbEUlT_E1_NS1_11comp_targetILNS1_3genE2ELNS1_11target_archE906ELNS1_3gpuE6ELNS1_3repE0EEENS1_30default_config_static_selectorELNS0_4arch9wavefront6targetE0EEEvS14_,"axG",@progbits,_ZN7rocprim17ROCPRIM_400000_NS6detail17trampoline_kernelINS0_14default_configENS1_22reduce_config_selectorIN6thrust23THRUST_200600_302600_NS5tupleIblNS6_9null_typeES8_S8_S8_S8_S8_S8_S8_EEEEZNS1_11reduce_implILb1ES3_NS6_12zip_iteratorINS7_INS6_11hip_rocprim26transform_input_iterator_tIbNSD_35transform_pair_of_input_iterators_tIbNS6_6detail15normal_iteratorINS6_10device_ptrIKxEEEESL_NS6_8equal_toIxEEEENSG_9not_fun_tINSD_8identityEEEEENSD_19counting_iterator_tIlEES8_S8_S8_S8_S8_S8_S8_S8_EEEEPS9_S9_NSD_9__find_if7functorIS9_EEEE10hipError_tPvRmT1_T2_T3_mT4_P12ihipStream_tbEUlT_E1_NS1_11comp_targetILNS1_3genE2ELNS1_11target_archE906ELNS1_3gpuE6ELNS1_3repE0EEENS1_30default_config_static_selectorELNS0_4arch9wavefront6targetE0EEEvS14_,comdat
	.protected	_ZN7rocprim17ROCPRIM_400000_NS6detail17trampoline_kernelINS0_14default_configENS1_22reduce_config_selectorIN6thrust23THRUST_200600_302600_NS5tupleIblNS6_9null_typeES8_S8_S8_S8_S8_S8_S8_EEEEZNS1_11reduce_implILb1ES3_NS6_12zip_iteratorINS7_INS6_11hip_rocprim26transform_input_iterator_tIbNSD_35transform_pair_of_input_iterators_tIbNS6_6detail15normal_iteratorINS6_10device_ptrIKxEEEESL_NS6_8equal_toIxEEEENSG_9not_fun_tINSD_8identityEEEEENSD_19counting_iterator_tIlEES8_S8_S8_S8_S8_S8_S8_S8_EEEEPS9_S9_NSD_9__find_if7functorIS9_EEEE10hipError_tPvRmT1_T2_T3_mT4_P12ihipStream_tbEUlT_E1_NS1_11comp_targetILNS1_3genE2ELNS1_11target_archE906ELNS1_3gpuE6ELNS1_3repE0EEENS1_30default_config_static_selectorELNS0_4arch9wavefront6targetE0EEEvS14_ ; -- Begin function _ZN7rocprim17ROCPRIM_400000_NS6detail17trampoline_kernelINS0_14default_configENS1_22reduce_config_selectorIN6thrust23THRUST_200600_302600_NS5tupleIblNS6_9null_typeES8_S8_S8_S8_S8_S8_S8_EEEEZNS1_11reduce_implILb1ES3_NS6_12zip_iteratorINS7_INS6_11hip_rocprim26transform_input_iterator_tIbNSD_35transform_pair_of_input_iterators_tIbNS6_6detail15normal_iteratorINS6_10device_ptrIKxEEEESL_NS6_8equal_toIxEEEENSG_9not_fun_tINSD_8identityEEEEENSD_19counting_iterator_tIlEES8_S8_S8_S8_S8_S8_S8_S8_EEEEPS9_S9_NSD_9__find_if7functorIS9_EEEE10hipError_tPvRmT1_T2_T3_mT4_P12ihipStream_tbEUlT_E1_NS1_11comp_targetILNS1_3genE2ELNS1_11target_archE906ELNS1_3gpuE6ELNS1_3repE0EEENS1_30default_config_static_selectorELNS0_4arch9wavefront6targetE0EEEvS14_
	.globl	_ZN7rocprim17ROCPRIM_400000_NS6detail17trampoline_kernelINS0_14default_configENS1_22reduce_config_selectorIN6thrust23THRUST_200600_302600_NS5tupleIblNS6_9null_typeES8_S8_S8_S8_S8_S8_S8_EEEEZNS1_11reduce_implILb1ES3_NS6_12zip_iteratorINS7_INS6_11hip_rocprim26transform_input_iterator_tIbNSD_35transform_pair_of_input_iterators_tIbNS6_6detail15normal_iteratorINS6_10device_ptrIKxEEEESL_NS6_8equal_toIxEEEENSG_9not_fun_tINSD_8identityEEEEENSD_19counting_iterator_tIlEES8_S8_S8_S8_S8_S8_S8_S8_EEEEPS9_S9_NSD_9__find_if7functorIS9_EEEE10hipError_tPvRmT1_T2_T3_mT4_P12ihipStream_tbEUlT_E1_NS1_11comp_targetILNS1_3genE2ELNS1_11target_archE906ELNS1_3gpuE6ELNS1_3repE0EEENS1_30default_config_static_selectorELNS0_4arch9wavefront6targetE0EEEvS14_
	.p2align	8
	.type	_ZN7rocprim17ROCPRIM_400000_NS6detail17trampoline_kernelINS0_14default_configENS1_22reduce_config_selectorIN6thrust23THRUST_200600_302600_NS5tupleIblNS6_9null_typeES8_S8_S8_S8_S8_S8_S8_EEEEZNS1_11reduce_implILb1ES3_NS6_12zip_iteratorINS7_INS6_11hip_rocprim26transform_input_iterator_tIbNSD_35transform_pair_of_input_iterators_tIbNS6_6detail15normal_iteratorINS6_10device_ptrIKxEEEESL_NS6_8equal_toIxEEEENSG_9not_fun_tINSD_8identityEEEEENSD_19counting_iterator_tIlEES8_S8_S8_S8_S8_S8_S8_S8_EEEEPS9_S9_NSD_9__find_if7functorIS9_EEEE10hipError_tPvRmT1_T2_T3_mT4_P12ihipStream_tbEUlT_E1_NS1_11comp_targetILNS1_3genE2ELNS1_11target_archE906ELNS1_3gpuE6ELNS1_3repE0EEENS1_30default_config_static_selectorELNS0_4arch9wavefront6targetE0EEEvS14_,@function
_ZN7rocprim17ROCPRIM_400000_NS6detail17trampoline_kernelINS0_14default_configENS1_22reduce_config_selectorIN6thrust23THRUST_200600_302600_NS5tupleIblNS6_9null_typeES8_S8_S8_S8_S8_S8_S8_EEEEZNS1_11reduce_implILb1ES3_NS6_12zip_iteratorINS7_INS6_11hip_rocprim26transform_input_iterator_tIbNSD_35transform_pair_of_input_iterators_tIbNS6_6detail15normal_iteratorINS6_10device_ptrIKxEEEESL_NS6_8equal_toIxEEEENSG_9not_fun_tINSD_8identityEEEEENSD_19counting_iterator_tIlEES8_S8_S8_S8_S8_S8_S8_S8_EEEEPS9_S9_NSD_9__find_if7functorIS9_EEEE10hipError_tPvRmT1_T2_T3_mT4_P12ihipStream_tbEUlT_E1_NS1_11comp_targetILNS1_3genE2ELNS1_11target_archE906ELNS1_3gpuE6ELNS1_3repE0EEENS1_30default_config_static_selectorELNS0_4arch9wavefront6targetE0EEEvS14_: ; @_ZN7rocprim17ROCPRIM_400000_NS6detail17trampoline_kernelINS0_14default_configENS1_22reduce_config_selectorIN6thrust23THRUST_200600_302600_NS5tupleIblNS6_9null_typeES8_S8_S8_S8_S8_S8_S8_EEEEZNS1_11reduce_implILb1ES3_NS6_12zip_iteratorINS7_INS6_11hip_rocprim26transform_input_iterator_tIbNSD_35transform_pair_of_input_iterators_tIbNS6_6detail15normal_iteratorINS6_10device_ptrIKxEEEESL_NS6_8equal_toIxEEEENSG_9not_fun_tINSD_8identityEEEEENSD_19counting_iterator_tIlEES8_S8_S8_S8_S8_S8_S8_S8_EEEEPS9_S9_NSD_9__find_if7functorIS9_EEEE10hipError_tPvRmT1_T2_T3_mT4_P12ihipStream_tbEUlT_E1_NS1_11comp_targetILNS1_3genE2ELNS1_11target_archE906ELNS1_3gpuE6ELNS1_3repE0EEENS1_30default_config_static_selectorELNS0_4arch9wavefront6targetE0EEEvS14_
; %bb.0:
	.section	.rodata,"a",@progbits
	.p2align	6, 0x0
	.amdhsa_kernel _ZN7rocprim17ROCPRIM_400000_NS6detail17trampoline_kernelINS0_14default_configENS1_22reduce_config_selectorIN6thrust23THRUST_200600_302600_NS5tupleIblNS6_9null_typeES8_S8_S8_S8_S8_S8_S8_EEEEZNS1_11reduce_implILb1ES3_NS6_12zip_iteratorINS7_INS6_11hip_rocprim26transform_input_iterator_tIbNSD_35transform_pair_of_input_iterators_tIbNS6_6detail15normal_iteratorINS6_10device_ptrIKxEEEESL_NS6_8equal_toIxEEEENSG_9not_fun_tINSD_8identityEEEEENSD_19counting_iterator_tIlEES8_S8_S8_S8_S8_S8_S8_S8_EEEEPS9_S9_NSD_9__find_if7functorIS9_EEEE10hipError_tPvRmT1_T2_T3_mT4_P12ihipStream_tbEUlT_E1_NS1_11comp_targetILNS1_3genE2ELNS1_11target_archE906ELNS1_3gpuE6ELNS1_3repE0EEENS1_30default_config_static_selectorELNS0_4arch9wavefront6targetE0EEEvS14_
		.amdhsa_group_segment_fixed_size 0
		.amdhsa_private_segment_fixed_size 0
		.amdhsa_kernarg_size 88
		.amdhsa_user_sgpr_count 6
		.amdhsa_user_sgpr_private_segment_buffer 1
		.amdhsa_user_sgpr_dispatch_ptr 0
		.amdhsa_user_sgpr_queue_ptr 0
		.amdhsa_user_sgpr_kernarg_segment_ptr 1
		.amdhsa_user_sgpr_dispatch_id 0
		.amdhsa_user_sgpr_flat_scratch_init 0
		.amdhsa_user_sgpr_private_segment_size 0
		.amdhsa_wavefront_size32 1
		.amdhsa_uses_dynamic_stack 0
		.amdhsa_system_sgpr_private_segment_wavefront_offset 0
		.amdhsa_system_sgpr_workgroup_id_x 1
		.amdhsa_system_sgpr_workgroup_id_y 0
		.amdhsa_system_sgpr_workgroup_id_z 0
		.amdhsa_system_sgpr_workgroup_info 0
		.amdhsa_system_vgpr_workitem_id 0
		.amdhsa_next_free_vgpr 1
		.amdhsa_next_free_sgpr 1
		.amdhsa_reserve_vcc 0
		.amdhsa_reserve_flat_scratch 0
		.amdhsa_float_round_mode_32 0
		.amdhsa_float_round_mode_16_64 0
		.amdhsa_float_denorm_mode_32 3
		.amdhsa_float_denorm_mode_16_64 3
		.amdhsa_dx10_clamp 1
		.amdhsa_ieee_mode 1
		.amdhsa_fp16_overflow 0
		.amdhsa_workgroup_processor_mode 1
		.amdhsa_memory_ordered 1
		.amdhsa_forward_progress 1
		.amdhsa_shared_vgpr_count 0
		.amdhsa_exception_fp_ieee_invalid_op 0
		.amdhsa_exception_fp_denorm_src 0
		.amdhsa_exception_fp_ieee_div_zero 0
		.amdhsa_exception_fp_ieee_overflow 0
		.amdhsa_exception_fp_ieee_underflow 0
		.amdhsa_exception_fp_ieee_inexact 0
		.amdhsa_exception_int_div_zero 0
	.end_amdhsa_kernel
	.section	.text._ZN7rocprim17ROCPRIM_400000_NS6detail17trampoline_kernelINS0_14default_configENS1_22reduce_config_selectorIN6thrust23THRUST_200600_302600_NS5tupleIblNS6_9null_typeES8_S8_S8_S8_S8_S8_S8_EEEEZNS1_11reduce_implILb1ES3_NS6_12zip_iteratorINS7_INS6_11hip_rocprim26transform_input_iterator_tIbNSD_35transform_pair_of_input_iterators_tIbNS6_6detail15normal_iteratorINS6_10device_ptrIKxEEEESL_NS6_8equal_toIxEEEENSG_9not_fun_tINSD_8identityEEEEENSD_19counting_iterator_tIlEES8_S8_S8_S8_S8_S8_S8_S8_EEEEPS9_S9_NSD_9__find_if7functorIS9_EEEE10hipError_tPvRmT1_T2_T3_mT4_P12ihipStream_tbEUlT_E1_NS1_11comp_targetILNS1_3genE2ELNS1_11target_archE906ELNS1_3gpuE6ELNS1_3repE0EEENS1_30default_config_static_selectorELNS0_4arch9wavefront6targetE0EEEvS14_,"axG",@progbits,_ZN7rocprim17ROCPRIM_400000_NS6detail17trampoline_kernelINS0_14default_configENS1_22reduce_config_selectorIN6thrust23THRUST_200600_302600_NS5tupleIblNS6_9null_typeES8_S8_S8_S8_S8_S8_S8_EEEEZNS1_11reduce_implILb1ES3_NS6_12zip_iteratorINS7_INS6_11hip_rocprim26transform_input_iterator_tIbNSD_35transform_pair_of_input_iterators_tIbNS6_6detail15normal_iteratorINS6_10device_ptrIKxEEEESL_NS6_8equal_toIxEEEENSG_9not_fun_tINSD_8identityEEEEENSD_19counting_iterator_tIlEES8_S8_S8_S8_S8_S8_S8_S8_EEEEPS9_S9_NSD_9__find_if7functorIS9_EEEE10hipError_tPvRmT1_T2_T3_mT4_P12ihipStream_tbEUlT_E1_NS1_11comp_targetILNS1_3genE2ELNS1_11target_archE906ELNS1_3gpuE6ELNS1_3repE0EEENS1_30default_config_static_selectorELNS0_4arch9wavefront6targetE0EEEvS14_,comdat
.Lfunc_end238:
	.size	_ZN7rocprim17ROCPRIM_400000_NS6detail17trampoline_kernelINS0_14default_configENS1_22reduce_config_selectorIN6thrust23THRUST_200600_302600_NS5tupleIblNS6_9null_typeES8_S8_S8_S8_S8_S8_S8_EEEEZNS1_11reduce_implILb1ES3_NS6_12zip_iteratorINS7_INS6_11hip_rocprim26transform_input_iterator_tIbNSD_35transform_pair_of_input_iterators_tIbNS6_6detail15normal_iteratorINS6_10device_ptrIKxEEEESL_NS6_8equal_toIxEEEENSG_9not_fun_tINSD_8identityEEEEENSD_19counting_iterator_tIlEES8_S8_S8_S8_S8_S8_S8_S8_EEEEPS9_S9_NSD_9__find_if7functorIS9_EEEE10hipError_tPvRmT1_T2_T3_mT4_P12ihipStream_tbEUlT_E1_NS1_11comp_targetILNS1_3genE2ELNS1_11target_archE906ELNS1_3gpuE6ELNS1_3repE0EEENS1_30default_config_static_selectorELNS0_4arch9wavefront6targetE0EEEvS14_, .Lfunc_end238-_ZN7rocprim17ROCPRIM_400000_NS6detail17trampoline_kernelINS0_14default_configENS1_22reduce_config_selectorIN6thrust23THRUST_200600_302600_NS5tupleIblNS6_9null_typeES8_S8_S8_S8_S8_S8_S8_EEEEZNS1_11reduce_implILb1ES3_NS6_12zip_iteratorINS7_INS6_11hip_rocprim26transform_input_iterator_tIbNSD_35transform_pair_of_input_iterators_tIbNS6_6detail15normal_iteratorINS6_10device_ptrIKxEEEESL_NS6_8equal_toIxEEEENSG_9not_fun_tINSD_8identityEEEEENSD_19counting_iterator_tIlEES8_S8_S8_S8_S8_S8_S8_S8_EEEEPS9_S9_NSD_9__find_if7functorIS9_EEEE10hipError_tPvRmT1_T2_T3_mT4_P12ihipStream_tbEUlT_E1_NS1_11comp_targetILNS1_3genE2ELNS1_11target_archE906ELNS1_3gpuE6ELNS1_3repE0EEENS1_30default_config_static_selectorELNS0_4arch9wavefront6targetE0EEEvS14_
                                        ; -- End function
	.set _ZN7rocprim17ROCPRIM_400000_NS6detail17trampoline_kernelINS0_14default_configENS1_22reduce_config_selectorIN6thrust23THRUST_200600_302600_NS5tupleIblNS6_9null_typeES8_S8_S8_S8_S8_S8_S8_EEEEZNS1_11reduce_implILb1ES3_NS6_12zip_iteratorINS7_INS6_11hip_rocprim26transform_input_iterator_tIbNSD_35transform_pair_of_input_iterators_tIbNS6_6detail15normal_iteratorINS6_10device_ptrIKxEEEESL_NS6_8equal_toIxEEEENSG_9not_fun_tINSD_8identityEEEEENSD_19counting_iterator_tIlEES8_S8_S8_S8_S8_S8_S8_S8_EEEEPS9_S9_NSD_9__find_if7functorIS9_EEEE10hipError_tPvRmT1_T2_T3_mT4_P12ihipStream_tbEUlT_E1_NS1_11comp_targetILNS1_3genE2ELNS1_11target_archE906ELNS1_3gpuE6ELNS1_3repE0EEENS1_30default_config_static_selectorELNS0_4arch9wavefront6targetE0EEEvS14_.num_vgpr, 0
	.set _ZN7rocprim17ROCPRIM_400000_NS6detail17trampoline_kernelINS0_14default_configENS1_22reduce_config_selectorIN6thrust23THRUST_200600_302600_NS5tupleIblNS6_9null_typeES8_S8_S8_S8_S8_S8_S8_EEEEZNS1_11reduce_implILb1ES3_NS6_12zip_iteratorINS7_INS6_11hip_rocprim26transform_input_iterator_tIbNSD_35transform_pair_of_input_iterators_tIbNS6_6detail15normal_iteratorINS6_10device_ptrIKxEEEESL_NS6_8equal_toIxEEEENSG_9not_fun_tINSD_8identityEEEEENSD_19counting_iterator_tIlEES8_S8_S8_S8_S8_S8_S8_S8_EEEEPS9_S9_NSD_9__find_if7functorIS9_EEEE10hipError_tPvRmT1_T2_T3_mT4_P12ihipStream_tbEUlT_E1_NS1_11comp_targetILNS1_3genE2ELNS1_11target_archE906ELNS1_3gpuE6ELNS1_3repE0EEENS1_30default_config_static_selectorELNS0_4arch9wavefront6targetE0EEEvS14_.num_agpr, 0
	.set _ZN7rocprim17ROCPRIM_400000_NS6detail17trampoline_kernelINS0_14default_configENS1_22reduce_config_selectorIN6thrust23THRUST_200600_302600_NS5tupleIblNS6_9null_typeES8_S8_S8_S8_S8_S8_S8_EEEEZNS1_11reduce_implILb1ES3_NS6_12zip_iteratorINS7_INS6_11hip_rocprim26transform_input_iterator_tIbNSD_35transform_pair_of_input_iterators_tIbNS6_6detail15normal_iteratorINS6_10device_ptrIKxEEEESL_NS6_8equal_toIxEEEENSG_9not_fun_tINSD_8identityEEEEENSD_19counting_iterator_tIlEES8_S8_S8_S8_S8_S8_S8_S8_EEEEPS9_S9_NSD_9__find_if7functorIS9_EEEE10hipError_tPvRmT1_T2_T3_mT4_P12ihipStream_tbEUlT_E1_NS1_11comp_targetILNS1_3genE2ELNS1_11target_archE906ELNS1_3gpuE6ELNS1_3repE0EEENS1_30default_config_static_selectorELNS0_4arch9wavefront6targetE0EEEvS14_.numbered_sgpr, 0
	.set _ZN7rocprim17ROCPRIM_400000_NS6detail17trampoline_kernelINS0_14default_configENS1_22reduce_config_selectorIN6thrust23THRUST_200600_302600_NS5tupleIblNS6_9null_typeES8_S8_S8_S8_S8_S8_S8_EEEEZNS1_11reduce_implILb1ES3_NS6_12zip_iteratorINS7_INS6_11hip_rocprim26transform_input_iterator_tIbNSD_35transform_pair_of_input_iterators_tIbNS6_6detail15normal_iteratorINS6_10device_ptrIKxEEEESL_NS6_8equal_toIxEEEENSG_9not_fun_tINSD_8identityEEEEENSD_19counting_iterator_tIlEES8_S8_S8_S8_S8_S8_S8_S8_EEEEPS9_S9_NSD_9__find_if7functorIS9_EEEE10hipError_tPvRmT1_T2_T3_mT4_P12ihipStream_tbEUlT_E1_NS1_11comp_targetILNS1_3genE2ELNS1_11target_archE906ELNS1_3gpuE6ELNS1_3repE0EEENS1_30default_config_static_selectorELNS0_4arch9wavefront6targetE0EEEvS14_.num_named_barrier, 0
	.set _ZN7rocprim17ROCPRIM_400000_NS6detail17trampoline_kernelINS0_14default_configENS1_22reduce_config_selectorIN6thrust23THRUST_200600_302600_NS5tupleIblNS6_9null_typeES8_S8_S8_S8_S8_S8_S8_EEEEZNS1_11reduce_implILb1ES3_NS6_12zip_iteratorINS7_INS6_11hip_rocprim26transform_input_iterator_tIbNSD_35transform_pair_of_input_iterators_tIbNS6_6detail15normal_iteratorINS6_10device_ptrIKxEEEESL_NS6_8equal_toIxEEEENSG_9not_fun_tINSD_8identityEEEEENSD_19counting_iterator_tIlEES8_S8_S8_S8_S8_S8_S8_S8_EEEEPS9_S9_NSD_9__find_if7functorIS9_EEEE10hipError_tPvRmT1_T2_T3_mT4_P12ihipStream_tbEUlT_E1_NS1_11comp_targetILNS1_3genE2ELNS1_11target_archE906ELNS1_3gpuE6ELNS1_3repE0EEENS1_30default_config_static_selectorELNS0_4arch9wavefront6targetE0EEEvS14_.private_seg_size, 0
	.set _ZN7rocprim17ROCPRIM_400000_NS6detail17trampoline_kernelINS0_14default_configENS1_22reduce_config_selectorIN6thrust23THRUST_200600_302600_NS5tupleIblNS6_9null_typeES8_S8_S8_S8_S8_S8_S8_EEEEZNS1_11reduce_implILb1ES3_NS6_12zip_iteratorINS7_INS6_11hip_rocprim26transform_input_iterator_tIbNSD_35transform_pair_of_input_iterators_tIbNS6_6detail15normal_iteratorINS6_10device_ptrIKxEEEESL_NS6_8equal_toIxEEEENSG_9not_fun_tINSD_8identityEEEEENSD_19counting_iterator_tIlEES8_S8_S8_S8_S8_S8_S8_S8_EEEEPS9_S9_NSD_9__find_if7functorIS9_EEEE10hipError_tPvRmT1_T2_T3_mT4_P12ihipStream_tbEUlT_E1_NS1_11comp_targetILNS1_3genE2ELNS1_11target_archE906ELNS1_3gpuE6ELNS1_3repE0EEENS1_30default_config_static_selectorELNS0_4arch9wavefront6targetE0EEEvS14_.uses_vcc, 0
	.set _ZN7rocprim17ROCPRIM_400000_NS6detail17trampoline_kernelINS0_14default_configENS1_22reduce_config_selectorIN6thrust23THRUST_200600_302600_NS5tupleIblNS6_9null_typeES8_S8_S8_S8_S8_S8_S8_EEEEZNS1_11reduce_implILb1ES3_NS6_12zip_iteratorINS7_INS6_11hip_rocprim26transform_input_iterator_tIbNSD_35transform_pair_of_input_iterators_tIbNS6_6detail15normal_iteratorINS6_10device_ptrIKxEEEESL_NS6_8equal_toIxEEEENSG_9not_fun_tINSD_8identityEEEEENSD_19counting_iterator_tIlEES8_S8_S8_S8_S8_S8_S8_S8_EEEEPS9_S9_NSD_9__find_if7functorIS9_EEEE10hipError_tPvRmT1_T2_T3_mT4_P12ihipStream_tbEUlT_E1_NS1_11comp_targetILNS1_3genE2ELNS1_11target_archE906ELNS1_3gpuE6ELNS1_3repE0EEENS1_30default_config_static_selectorELNS0_4arch9wavefront6targetE0EEEvS14_.uses_flat_scratch, 0
	.set _ZN7rocprim17ROCPRIM_400000_NS6detail17trampoline_kernelINS0_14default_configENS1_22reduce_config_selectorIN6thrust23THRUST_200600_302600_NS5tupleIblNS6_9null_typeES8_S8_S8_S8_S8_S8_S8_EEEEZNS1_11reduce_implILb1ES3_NS6_12zip_iteratorINS7_INS6_11hip_rocprim26transform_input_iterator_tIbNSD_35transform_pair_of_input_iterators_tIbNS6_6detail15normal_iteratorINS6_10device_ptrIKxEEEESL_NS6_8equal_toIxEEEENSG_9not_fun_tINSD_8identityEEEEENSD_19counting_iterator_tIlEES8_S8_S8_S8_S8_S8_S8_S8_EEEEPS9_S9_NSD_9__find_if7functorIS9_EEEE10hipError_tPvRmT1_T2_T3_mT4_P12ihipStream_tbEUlT_E1_NS1_11comp_targetILNS1_3genE2ELNS1_11target_archE906ELNS1_3gpuE6ELNS1_3repE0EEENS1_30default_config_static_selectorELNS0_4arch9wavefront6targetE0EEEvS14_.has_dyn_sized_stack, 0
	.set _ZN7rocprim17ROCPRIM_400000_NS6detail17trampoline_kernelINS0_14default_configENS1_22reduce_config_selectorIN6thrust23THRUST_200600_302600_NS5tupleIblNS6_9null_typeES8_S8_S8_S8_S8_S8_S8_EEEEZNS1_11reduce_implILb1ES3_NS6_12zip_iteratorINS7_INS6_11hip_rocprim26transform_input_iterator_tIbNSD_35transform_pair_of_input_iterators_tIbNS6_6detail15normal_iteratorINS6_10device_ptrIKxEEEESL_NS6_8equal_toIxEEEENSG_9not_fun_tINSD_8identityEEEEENSD_19counting_iterator_tIlEES8_S8_S8_S8_S8_S8_S8_S8_EEEEPS9_S9_NSD_9__find_if7functorIS9_EEEE10hipError_tPvRmT1_T2_T3_mT4_P12ihipStream_tbEUlT_E1_NS1_11comp_targetILNS1_3genE2ELNS1_11target_archE906ELNS1_3gpuE6ELNS1_3repE0EEENS1_30default_config_static_selectorELNS0_4arch9wavefront6targetE0EEEvS14_.has_recursion, 0
	.set _ZN7rocprim17ROCPRIM_400000_NS6detail17trampoline_kernelINS0_14default_configENS1_22reduce_config_selectorIN6thrust23THRUST_200600_302600_NS5tupleIblNS6_9null_typeES8_S8_S8_S8_S8_S8_S8_EEEEZNS1_11reduce_implILb1ES3_NS6_12zip_iteratorINS7_INS6_11hip_rocprim26transform_input_iterator_tIbNSD_35transform_pair_of_input_iterators_tIbNS6_6detail15normal_iteratorINS6_10device_ptrIKxEEEESL_NS6_8equal_toIxEEEENSG_9not_fun_tINSD_8identityEEEEENSD_19counting_iterator_tIlEES8_S8_S8_S8_S8_S8_S8_S8_EEEEPS9_S9_NSD_9__find_if7functorIS9_EEEE10hipError_tPvRmT1_T2_T3_mT4_P12ihipStream_tbEUlT_E1_NS1_11comp_targetILNS1_3genE2ELNS1_11target_archE906ELNS1_3gpuE6ELNS1_3repE0EEENS1_30default_config_static_selectorELNS0_4arch9wavefront6targetE0EEEvS14_.has_indirect_call, 0
	.section	.AMDGPU.csdata,"",@progbits
; Kernel info:
; codeLenInByte = 0
; TotalNumSgprs: 0
; NumVgprs: 0
; ScratchSize: 0
; MemoryBound: 0
; FloatMode: 240
; IeeeMode: 1
; LDSByteSize: 0 bytes/workgroup (compile time only)
; SGPRBlocks: 0
; VGPRBlocks: 0
; NumSGPRsForWavesPerEU: 1
; NumVGPRsForWavesPerEU: 1
; Occupancy: 16
; WaveLimiterHint : 0
; COMPUTE_PGM_RSRC2:SCRATCH_EN: 0
; COMPUTE_PGM_RSRC2:USER_SGPR: 6
; COMPUTE_PGM_RSRC2:TRAP_HANDLER: 0
; COMPUTE_PGM_RSRC2:TGID_X_EN: 1
; COMPUTE_PGM_RSRC2:TGID_Y_EN: 0
; COMPUTE_PGM_RSRC2:TGID_Z_EN: 0
; COMPUTE_PGM_RSRC2:TIDIG_COMP_CNT: 0
	.section	.text._ZN7rocprim17ROCPRIM_400000_NS6detail17trampoline_kernelINS0_14default_configENS1_22reduce_config_selectorIN6thrust23THRUST_200600_302600_NS5tupleIblNS6_9null_typeES8_S8_S8_S8_S8_S8_S8_EEEEZNS1_11reduce_implILb1ES3_NS6_12zip_iteratorINS7_INS6_11hip_rocprim26transform_input_iterator_tIbNSD_35transform_pair_of_input_iterators_tIbNS6_6detail15normal_iteratorINS6_10device_ptrIKxEEEESL_NS6_8equal_toIxEEEENSG_9not_fun_tINSD_8identityEEEEENSD_19counting_iterator_tIlEES8_S8_S8_S8_S8_S8_S8_S8_EEEEPS9_S9_NSD_9__find_if7functorIS9_EEEE10hipError_tPvRmT1_T2_T3_mT4_P12ihipStream_tbEUlT_E1_NS1_11comp_targetILNS1_3genE10ELNS1_11target_archE1201ELNS1_3gpuE5ELNS1_3repE0EEENS1_30default_config_static_selectorELNS0_4arch9wavefront6targetE0EEEvS14_,"axG",@progbits,_ZN7rocprim17ROCPRIM_400000_NS6detail17trampoline_kernelINS0_14default_configENS1_22reduce_config_selectorIN6thrust23THRUST_200600_302600_NS5tupleIblNS6_9null_typeES8_S8_S8_S8_S8_S8_S8_EEEEZNS1_11reduce_implILb1ES3_NS6_12zip_iteratorINS7_INS6_11hip_rocprim26transform_input_iterator_tIbNSD_35transform_pair_of_input_iterators_tIbNS6_6detail15normal_iteratorINS6_10device_ptrIKxEEEESL_NS6_8equal_toIxEEEENSG_9not_fun_tINSD_8identityEEEEENSD_19counting_iterator_tIlEES8_S8_S8_S8_S8_S8_S8_S8_EEEEPS9_S9_NSD_9__find_if7functorIS9_EEEE10hipError_tPvRmT1_T2_T3_mT4_P12ihipStream_tbEUlT_E1_NS1_11comp_targetILNS1_3genE10ELNS1_11target_archE1201ELNS1_3gpuE5ELNS1_3repE0EEENS1_30default_config_static_selectorELNS0_4arch9wavefront6targetE0EEEvS14_,comdat
	.protected	_ZN7rocprim17ROCPRIM_400000_NS6detail17trampoline_kernelINS0_14default_configENS1_22reduce_config_selectorIN6thrust23THRUST_200600_302600_NS5tupleIblNS6_9null_typeES8_S8_S8_S8_S8_S8_S8_EEEEZNS1_11reduce_implILb1ES3_NS6_12zip_iteratorINS7_INS6_11hip_rocprim26transform_input_iterator_tIbNSD_35transform_pair_of_input_iterators_tIbNS6_6detail15normal_iteratorINS6_10device_ptrIKxEEEESL_NS6_8equal_toIxEEEENSG_9not_fun_tINSD_8identityEEEEENSD_19counting_iterator_tIlEES8_S8_S8_S8_S8_S8_S8_S8_EEEEPS9_S9_NSD_9__find_if7functorIS9_EEEE10hipError_tPvRmT1_T2_T3_mT4_P12ihipStream_tbEUlT_E1_NS1_11comp_targetILNS1_3genE10ELNS1_11target_archE1201ELNS1_3gpuE5ELNS1_3repE0EEENS1_30default_config_static_selectorELNS0_4arch9wavefront6targetE0EEEvS14_ ; -- Begin function _ZN7rocprim17ROCPRIM_400000_NS6detail17trampoline_kernelINS0_14default_configENS1_22reduce_config_selectorIN6thrust23THRUST_200600_302600_NS5tupleIblNS6_9null_typeES8_S8_S8_S8_S8_S8_S8_EEEEZNS1_11reduce_implILb1ES3_NS6_12zip_iteratorINS7_INS6_11hip_rocprim26transform_input_iterator_tIbNSD_35transform_pair_of_input_iterators_tIbNS6_6detail15normal_iteratorINS6_10device_ptrIKxEEEESL_NS6_8equal_toIxEEEENSG_9not_fun_tINSD_8identityEEEEENSD_19counting_iterator_tIlEES8_S8_S8_S8_S8_S8_S8_S8_EEEEPS9_S9_NSD_9__find_if7functorIS9_EEEE10hipError_tPvRmT1_T2_T3_mT4_P12ihipStream_tbEUlT_E1_NS1_11comp_targetILNS1_3genE10ELNS1_11target_archE1201ELNS1_3gpuE5ELNS1_3repE0EEENS1_30default_config_static_selectorELNS0_4arch9wavefront6targetE0EEEvS14_
	.globl	_ZN7rocprim17ROCPRIM_400000_NS6detail17trampoline_kernelINS0_14default_configENS1_22reduce_config_selectorIN6thrust23THRUST_200600_302600_NS5tupleIblNS6_9null_typeES8_S8_S8_S8_S8_S8_S8_EEEEZNS1_11reduce_implILb1ES3_NS6_12zip_iteratorINS7_INS6_11hip_rocprim26transform_input_iterator_tIbNSD_35transform_pair_of_input_iterators_tIbNS6_6detail15normal_iteratorINS6_10device_ptrIKxEEEESL_NS6_8equal_toIxEEEENSG_9not_fun_tINSD_8identityEEEEENSD_19counting_iterator_tIlEES8_S8_S8_S8_S8_S8_S8_S8_EEEEPS9_S9_NSD_9__find_if7functorIS9_EEEE10hipError_tPvRmT1_T2_T3_mT4_P12ihipStream_tbEUlT_E1_NS1_11comp_targetILNS1_3genE10ELNS1_11target_archE1201ELNS1_3gpuE5ELNS1_3repE0EEENS1_30default_config_static_selectorELNS0_4arch9wavefront6targetE0EEEvS14_
	.p2align	8
	.type	_ZN7rocprim17ROCPRIM_400000_NS6detail17trampoline_kernelINS0_14default_configENS1_22reduce_config_selectorIN6thrust23THRUST_200600_302600_NS5tupleIblNS6_9null_typeES8_S8_S8_S8_S8_S8_S8_EEEEZNS1_11reduce_implILb1ES3_NS6_12zip_iteratorINS7_INS6_11hip_rocprim26transform_input_iterator_tIbNSD_35transform_pair_of_input_iterators_tIbNS6_6detail15normal_iteratorINS6_10device_ptrIKxEEEESL_NS6_8equal_toIxEEEENSG_9not_fun_tINSD_8identityEEEEENSD_19counting_iterator_tIlEES8_S8_S8_S8_S8_S8_S8_S8_EEEEPS9_S9_NSD_9__find_if7functorIS9_EEEE10hipError_tPvRmT1_T2_T3_mT4_P12ihipStream_tbEUlT_E1_NS1_11comp_targetILNS1_3genE10ELNS1_11target_archE1201ELNS1_3gpuE5ELNS1_3repE0EEENS1_30default_config_static_selectorELNS0_4arch9wavefront6targetE0EEEvS14_,@function
_ZN7rocprim17ROCPRIM_400000_NS6detail17trampoline_kernelINS0_14default_configENS1_22reduce_config_selectorIN6thrust23THRUST_200600_302600_NS5tupleIblNS6_9null_typeES8_S8_S8_S8_S8_S8_S8_EEEEZNS1_11reduce_implILb1ES3_NS6_12zip_iteratorINS7_INS6_11hip_rocprim26transform_input_iterator_tIbNSD_35transform_pair_of_input_iterators_tIbNS6_6detail15normal_iteratorINS6_10device_ptrIKxEEEESL_NS6_8equal_toIxEEEENSG_9not_fun_tINSD_8identityEEEEENSD_19counting_iterator_tIlEES8_S8_S8_S8_S8_S8_S8_S8_EEEEPS9_S9_NSD_9__find_if7functorIS9_EEEE10hipError_tPvRmT1_T2_T3_mT4_P12ihipStream_tbEUlT_E1_NS1_11comp_targetILNS1_3genE10ELNS1_11target_archE1201ELNS1_3gpuE5ELNS1_3repE0EEENS1_30default_config_static_selectorELNS0_4arch9wavefront6targetE0EEEvS14_: ; @_ZN7rocprim17ROCPRIM_400000_NS6detail17trampoline_kernelINS0_14default_configENS1_22reduce_config_selectorIN6thrust23THRUST_200600_302600_NS5tupleIblNS6_9null_typeES8_S8_S8_S8_S8_S8_S8_EEEEZNS1_11reduce_implILb1ES3_NS6_12zip_iteratorINS7_INS6_11hip_rocprim26transform_input_iterator_tIbNSD_35transform_pair_of_input_iterators_tIbNS6_6detail15normal_iteratorINS6_10device_ptrIKxEEEESL_NS6_8equal_toIxEEEENSG_9not_fun_tINSD_8identityEEEEENSD_19counting_iterator_tIlEES8_S8_S8_S8_S8_S8_S8_S8_EEEEPS9_S9_NSD_9__find_if7functorIS9_EEEE10hipError_tPvRmT1_T2_T3_mT4_P12ihipStream_tbEUlT_E1_NS1_11comp_targetILNS1_3genE10ELNS1_11target_archE1201ELNS1_3gpuE5ELNS1_3repE0EEENS1_30default_config_static_selectorELNS0_4arch9wavefront6targetE0EEEvS14_
; %bb.0:
	.section	.rodata,"a",@progbits
	.p2align	6, 0x0
	.amdhsa_kernel _ZN7rocprim17ROCPRIM_400000_NS6detail17trampoline_kernelINS0_14default_configENS1_22reduce_config_selectorIN6thrust23THRUST_200600_302600_NS5tupleIblNS6_9null_typeES8_S8_S8_S8_S8_S8_S8_EEEEZNS1_11reduce_implILb1ES3_NS6_12zip_iteratorINS7_INS6_11hip_rocprim26transform_input_iterator_tIbNSD_35transform_pair_of_input_iterators_tIbNS6_6detail15normal_iteratorINS6_10device_ptrIKxEEEESL_NS6_8equal_toIxEEEENSG_9not_fun_tINSD_8identityEEEEENSD_19counting_iterator_tIlEES8_S8_S8_S8_S8_S8_S8_S8_EEEEPS9_S9_NSD_9__find_if7functorIS9_EEEE10hipError_tPvRmT1_T2_T3_mT4_P12ihipStream_tbEUlT_E1_NS1_11comp_targetILNS1_3genE10ELNS1_11target_archE1201ELNS1_3gpuE5ELNS1_3repE0EEENS1_30default_config_static_selectorELNS0_4arch9wavefront6targetE0EEEvS14_
		.amdhsa_group_segment_fixed_size 0
		.amdhsa_private_segment_fixed_size 0
		.amdhsa_kernarg_size 88
		.amdhsa_user_sgpr_count 6
		.amdhsa_user_sgpr_private_segment_buffer 1
		.amdhsa_user_sgpr_dispatch_ptr 0
		.amdhsa_user_sgpr_queue_ptr 0
		.amdhsa_user_sgpr_kernarg_segment_ptr 1
		.amdhsa_user_sgpr_dispatch_id 0
		.amdhsa_user_sgpr_flat_scratch_init 0
		.amdhsa_user_sgpr_private_segment_size 0
		.amdhsa_wavefront_size32 1
		.amdhsa_uses_dynamic_stack 0
		.amdhsa_system_sgpr_private_segment_wavefront_offset 0
		.amdhsa_system_sgpr_workgroup_id_x 1
		.amdhsa_system_sgpr_workgroup_id_y 0
		.amdhsa_system_sgpr_workgroup_id_z 0
		.amdhsa_system_sgpr_workgroup_info 0
		.amdhsa_system_vgpr_workitem_id 0
		.amdhsa_next_free_vgpr 1
		.amdhsa_next_free_sgpr 1
		.amdhsa_reserve_vcc 0
		.amdhsa_reserve_flat_scratch 0
		.amdhsa_float_round_mode_32 0
		.amdhsa_float_round_mode_16_64 0
		.amdhsa_float_denorm_mode_32 3
		.amdhsa_float_denorm_mode_16_64 3
		.amdhsa_dx10_clamp 1
		.amdhsa_ieee_mode 1
		.amdhsa_fp16_overflow 0
		.amdhsa_workgroup_processor_mode 1
		.amdhsa_memory_ordered 1
		.amdhsa_forward_progress 1
		.amdhsa_shared_vgpr_count 0
		.amdhsa_exception_fp_ieee_invalid_op 0
		.amdhsa_exception_fp_denorm_src 0
		.amdhsa_exception_fp_ieee_div_zero 0
		.amdhsa_exception_fp_ieee_overflow 0
		.amdhsa_exception_fp_ieee_underflow 0
		.amdhsa_exception_fp_ieee_inexact 0
		.amdhsa_exception_int_div_zero 0
	.end_amdhsa_kernel
	.section	.text._ZN7rocprim17ROCPRIM_400000_NS6detail17trampoline_kernelINS0_14default_configENS1_22reduce_config_selectorIN6thrust23THRUST_200600_302600_NS5tupleIblNS6_9null_typeES8_S8_S8_S8_S8_S8_S8_EEEEZNS1_11reduce_implILb1ES3_NS6_12zip_iteratorINS7_INS6_11hip_rocprim26transform_input_iterator_tIbNSD_35transform_pair_of_input_iterators_tIbNS6_6detail15normal_iteratorINS6_10device_ptrIKxEEEESL_NS6_8equal_toIxEEEENSG_9not_fun_tINSD_8identityEEEEENSD_19counting_iterator_tIlEES8_S8_S8_S8_S8_S8_S8_S8_EEEEPS9_S9_NSD_9__find_if7functorIS9_EEEE10hipError_tPvRmT1_T2_T3_mT4_P12ihipStream_tbEUlT_E1_NS1_11comp_targetILNS1_3genE10ELNS1_11target_archE1201ELNS1_3gpuE5ELNS1_3repE0EEENS1_30default_config_static_selectorELNS0_4arch9wavefront6targetE0EEEvS14_,"axG",@progbits,_ZN7rocprim17ROCPRIM_400000_NS6detail17trampoline_kernelINS0_14default_configENS1_22reduce_config_selectorIN6thrust23THRUST_200600_302600_NS5tupleIblNS6_9null_typeES8_S8_S8_S8_S8_S8_S8_EEEEZNS1_11reduce_implILb1ES3_NS6_12zip_iteratorINS7_INS6_11hip_rocprim26transform_input_iterator_tIbNSD_35transform_pair_of_input_iterators_tIbNS6_6detail15normal_iteratorINS6_10device_ptrIKxEEEESL_NS6_8equal_toIxEEEENSG_9not_fun_tINSD_8identityEEEEENSD_19counting_iterator_tIlEES8_S8_S8_S8_S8_S8_S8_S8_EEEEPS9_S9_NSD_9__find_if7functorIS9_EEEE10hipError_tPvRmT1_T2_T3_mT4_P12ihipStream_tbEUlT_E1_NS1_11comp_targetILNS1_3genE10ELNS1_11target_archE1201ELNS1_3gpuE5ELNS1_3repE0EEENS1_30default_config_static_selectorELNS0_4arch9wavefront6targetE0EEEvS14_,comdat
.Lfunc_end239:
	.size	_ZN7rocprim17ROCPRIM_400000_NS6detail17trampoline_kernelINS0_14default_configENS1_22reduce_config_selectorIN6thrust23THRUST_200600_302600_NS5tupleIblNS6_9null_typeES8_S8_S8_S8_S8_S8_S8_EEEEZNS1_11reduce_implILb1ES3_NS6_12zip_iteratorINS7_INS6_11hip_rocprim26transform_input_iterator_tIbNSD_35transform_pair_of_input_iterators_tIbNS6_6detail15normal_iteratorINS6_10device_ptrIKxEEEESL_NS6_8equal_toIxEEEENSG_9not_fun_tINSD_8identityEEEEENSD_19counting_iterator_tIlEES8_S8_S8_S8_S8_S8_S8_S8_EEEEPS9_S9_NSD_9__find_if7functorIS9_EEEE10hipError_tPvRmT1_T2_T3_mT4_P12ihipStream_tbEUlT_E1_NS1_11comp_targetILNS1_3genE10ELNS1_11target_archE1201ELNS1_3gpuE5ELNS1_3repE0EEENS1_30default_config_static_selectorELNS0_4arch9wavefront6targetE0EEEvS14_, .Lfunc_end239-_ZN7rocprim17ROCPRIM_400000_NS6detail17trampoline_kernelINS0_14default_configENS1_22reduce_config_selectorIN6thrust23THRUST_200600_302600_NS5tupleIblNS6_9null_typeES8_S8_S8_S8_S8_S8_S8_EEEEZNS1_11reduce_implILb1ES3_NS6_12zip_iteratorINS7_INS6_11hip_rocprim26transform_input_iterator_tIbNSD_35transform_pair_of_input_iterators_tIbNS6_6detail15normal_iteratorINS6_10device_ptrIKxEEEESL_NS6_8equal_toIxEEEENSG_9not_fun_tINSD_8identityEEEEENSD_19counting_iterator_tIlEES8_S8_S8_S8_S8_S8_S8_S8_EEEEPS9_S9_NSD_9__find_if7functorIS9_EEEE10hipError_tPvRmT1_T2_T3_mT4_P12ihipStream_tbEUlT_E1_NS1_11comp_targetILNS1_3genE10ELNS1_11target_archE1201ELNS1_3gpuE5ELNS1_3repE0EEENS1_30default_config_static_selectorELNS0_4arch9wavefront6targetE0EEEvS14_
                                        ; -- End function
	.set _ZN7rocprim17ROCPRIM_400000_NS6detail17trampoline_kernelINS0_14default_configENS1_22reduce_config_selectorIN6thrust23THRUST_200600_302600_NS5tupleIblNS6_9null_typeES8_S8_S8_S8_S8_S8_S8_EEEEZNS1_11reduce_implILb1ES3_NS6_12zip_iteratorINS7_INS6_11hip_rocprim26transform_input_iterator_tIbNSD_35transform_pair_of_input_iterators_tIbNS6_6detail15normal_iteratorINS6_10device_ptrIKxEEEESL_NS6_8equal_toIxEEEENSG_9not_fun_tINSD_8identityEEEEENSD_19counting_iterator_tIlEES8_S8_S8_S8_S8_S8_S8_S8_EEEEPS9_S9_NSD_9__find_if7functorIS9_EEEE10hipError_tPvRmT1_T2_T3_mT4_P12ihipStream_tbEUlT_E1_NS1_11comp_targetILNS1_3genE10ELNS1_11target_archE1201ELNS1_3gpuE5ELNS1_3repE0EEENS1_30default_config_static_selectorELNS0_4arch9wavefront6targetE0EEEvS14_.num_vgpr, 0
	.set _ZN7rocprim17ROCPRIM_400000_NS6detail17trampoline_kernelINS0_14default_configENS1_22reduce_config_selectorIN6thrust23THRUST_200600_302600_NS5tupleIblNS6_9null_typeES8_S8_S8_S8_S8_S8_S8_EEEEZNS1_11reduce_implILb1ES3_NS6_12zip_iteratorINS7_INS6_11hip_rocprim26transform_input_iterator_tIbNSD_35transform_pair_of_input_iterators_tIbNS6_6detail15normal_iteratorINS6_10device_ptrIKxEEEESL_NS6_8equal_toIxEEEENSG_9not_fun_tINSD_8identityEEEEENSD_19counting_iterator_tIlEES8_S8_S8_S8_S8_S8_S8_S8_EEEEPS9_S9_NSD_9__find_if7functorIS9_EEEE10hipError_tPvRmT1_T2_T3_mT4_P12ihipStream_tbEUlT_E1_NS1_11comp_targetILNS1_3genE10ELNS1_11target_archE1201ELNS1_3gpuE5ELNS1_3repE0EEENS1_30default_config_static_selectorELNS0_4arch9wavefront6targetE0EEEvS14_.num_agpr, 0
	.set _ZN7rocprim17ROCPRIM_400000_NS6detail17trampoline_kernelINS0_14default_configENS1_22reduce_config_selectorIN6thrust23THRUST_200600_302600_NS5tupleIblNS6_9null_typeES8_S8_S8_S8_S8_S8_S8_EEEEZNS1_11reduce_implILb1ES3_NS6_12zip_iteratorINS7_INS6_11hip_rocprim26transform_input_iterator_tIbNSD_35transform_pair_of_input_iterators_tIbNS6_6detail15normal_iteratorINS6_10device_ptrIKxEEEESL_NS6_8equal_toIxEEEENSG_9not_fun_tINSD_8identityEEEEENSD_19counting_iterator_tIlEES8_S8_S8_S8_S8_S8_S8_S8_EEEEPS9_S9_NSD_9__find_if7functorIS9_EEEE10hipError_tPvRmT1_T2_T3_mT4_P12ihipStream_tbEUlT_E1_NS1_11comp_targetILNS1_3genE10ELNS1_11target_archE1201ELNS1_3gpuE5ELNS1_3repE0EEENS1_30default_config_static_selectorELNS0_4arch9wavefront6targetE0EEEvS14_.numbered_sgpr, 0
	.set _ZN7rocprim17ROCPRIM_400000_NS6detail17trampoline_kernelINS0_14default_configENS1_22reduce_config_selectorIN6thrust23THRUST_200600_302600_NS5tupleIblNS6_9null_typeES8_S8_S8_S8_S8_S8_S8_EEEEZNS1_11reduce_implILb1ES3_NS6_12zip_iteratorINS7_INS6_11hip_rocprim26transform_input_iterator_tIbNSD_35transform_pair_of_input_iterators_tIbNS6_6detail15normal_iteratorINS6_10device_ptrIKxEEEESL_NS6_8equal_toIxEEEENSG_9not_fun_tINSD_8identityEEEEENSD_19counting_iterator_tIlEES8_S8_S8_S8_S8_S8_S8_S8_EEEEPS9_S9_NSD_9__find_if7functorIS9_EEEE10hipError_tPvRmT1_T2_T3_mT4_P12ihipStream_tbEUlT_E1_NS1_11comp_targetILNS1_3genE10ELNS1_11target_archE1201ELNS1_3gpuE5ELNS1_3repE0EEENS1_30default_config_static_selectorELNS0_4arch9wavefront6targetE0EEEvS14_.num_named_barrier, 0
	.set _ZN7rocprim17ROCPRIM_400000_NS6detail17trampoline_kernelINS0_14default_configENS1_22reduce_config_selectorIN6thrust23THRUST_200600_302600_NS5tupleIblNS6_9null_typeES8_S8_S8_S8_S8_S8_S8_EEEEZNS1_11reduce_implILb1ES3_NS6_12zip_iteratorINS7_INS6_11hip_rocprim26transform_input_iterator_tIbNSD_35transform_pair_of_input_iterators_tIbNS6_6detail15normal_iteratorINS6_10device_ptrIKxEEEESL_NS6_8equal_toIxEEEENSG_9not_fun_tINSD_8identityEEEEENSD_19counting_iterator_tIlEES8_S8_S8_S8_S8_S8_S8_S8_EEEEPS9_S9_NSD_9__find_if7functorIS9_EEEE10hipError_tPvRmT1_T2_T3_mT4_P12ihipStream_tbEUlT_E1_NS1_11comp_targetILNS1_3genE10ELNS1_11target_archE1201ELNS1_3gpuE5ELNS1_3repE0EEENS1_30default_config_static_selectorELNS0_4arch9wavefront6targetE0EEEvS14_.private_seg_size, 0
	.set _ZN7rocprim17ROCPRIM_400000_NS6detail17trampoline_kernelINS0_14default_configENS1_22reduce_config_selectorIN6thrust23THRUST_200600_302600_NS5tupleIblNS6_9null_typeES8_S8_S8_S8_S8_S8_S8_EEEEZNS1_11reduce_implILb1ES3_NS6_12zip_iteratorINS7_INS6_11hip_rocprim26transform_input_iterator_tIbNSD_35transform_pair_of_input_iterators_tIbNS6_6detail15normal_iteratorINS6_10device_ptrIKxEEEESL_NS6_8equal_toIxEEEENSG_9not_fun_tINSD_8identityEEEEENSD_19counting_iterator_tIlEES8_S8_S8_S8_S8_S8_S8_S8_EEEEPS9_S9_NSD_9__find_if7functorIS9_EEEE10hipError_tPvRmT1_T2_T3_mT4_P12ihipStream_tbEUlT_E1_NS1_11comp_targetILNS1_3genE10ELNS1_11target_archE1201ELNS1_3gpuE5ELNS1_3repE0EEENS1_30default_config_static_selectorELNS0_4arch9wavefront6targetE0EEEvS14_.uses_vcc, 0
	.set _ZN7rocprim17ROCPRIM_400000_NS6detail17trampoline_kernelINS0_14default_configENS1_22reduce_config_selectorIN6thrust23THRUST_200600_302600_NS5tupleIblNS6_9null_typeES8_S8_S8_S8_S8_S8_S8_EEEEZNS1_11reduce_implILb1ES3_NS6_12zip_iteratorINS7_INS6_11hip_rocprim26transform_input_iterator_tIbNSD_35transform_pair_of_input_iterators_tIbNS6_6detail15normal_iteratorINS6_10device_ptrIKxEEEESL_NS6_8equal_toIxEEEENSG_9not_fun_tINSD_8identityEEEEENSD_19counting_iterator_tIlEES8_S8_S8_S8_S8_S8_S8_S8_EEEEPS9_S9_NSD_9__find_if7functorIS9_EEEE10hipError_tPvRmT1_T2_T3_mT4_P12ihipStream_tbEUlT_E1_NS1_11comp_targetILNS1_3genE10ELNS1_11target_archE1201ELNS1_3gpuE5ELNS1_3repE0EEENS1_30default_config_static_selectorELNS0_4arch9wavefront6targetE0EEEvS14_.uses_flat_scratch, 0
	.set _ZN7rocprim17ROCPRIM_400000_NS6detail17trampoline_kernelINS0_14default_configENS1_22reduce_config_selectorIN6thrust23THRUST_200600_302600_NS5tupleIblNS6_9null_typeES8_S8_S8_S8_S8_S8_S8_EEEEZNS1_11reduce_implILb1ES3_NS6_12zip_iteratorINS7_INS6_11hip_rocprim26transform_input_iterator_tIbNSD_35transform_pair_of_input_iterators_tIbNS6_6detail15normal_iteratorINS6_10device_ptrIKxEEEESL_NS6_8equal_toIxEEEENSG_9not_fun_tINSD_8identityEEEEENSD_19counting_iterator_tIlEES8_S8_S8_S8_S8_S8_S8_S8_EEEEPS9_S9_NSD_9__find_if7functorIS9_EEEE10hipError_tPvRmT1_T2_T3_mT4_P12ihipStream_tbEUlT_E1_NS1_11comp_targetILNS1_3genE10ELNS1_11target_archE1201ELNS1_3gpuE5ELNS1_3repE0EEENS1_30default_config_static_selectorELNS0_4arch9wavefront6targetE0EEEvS14_.has_dyn_sized_stack, 0
	.set _ZN7rocprim17ROCPRIM_400000_NS6detail17trampoline_kernelINS0_14default_configENS1_22reduce_config_selectorIN6thrust23THRUST_200600_302600_NS5tupleIblNS6_9null_typeES8_S8_S8_S8_S8_S8_S8_EEEEZNS1_11reduce_implILb1ES3_NS6_12zip_iteratorINS7_INS6_11hip_rocprim26transform_input_iterator_tIbNSD_35transform_pair_of_input_iterators_tIbNS6_6detail15normal_iteratorINS6_10device_ptrIKxEEEESL_NS6_8equal_toIxEEEENSG_9not_fun_tINSD_8identityEEEEENSD_19counting_iterator_tIlEES8_S8_S8_S8_S8_S8_S8_S8_EEEEPS9_S9_NSD_9__find_if7functorIS9_EEEE10hipError_tPvRmT1_T2_T3_mT4_P12ihipStream_tbEUlT_E1_NS1_11comp_targetILNS1_3genE10ELNS1_11target_archE1201ELNS1_3gpuE5ELNS1_3repE0EEENS1_30default_config_static_selectorELNS0_4arch9wavefront6targetE0EEEvS14_.has_recursion, 0
	.set _ZN7rocprim17ROCPRIM_400000_NS6detail17trampoline_kernelINS0_14default_configENS1_22reduce_config_selectorIN6thrust23THRUST_200600_302600_NS5tupleIblNS6_9null_typeES8_S8_S8_S8_S8_S8_S8_EEEEZNS1_11reduce_implILb1ES3_NS6_12zip_iteratorINS7_INS6_11hip_rocprim26transform_input_iterator_tIbNSD_35transform_pair_of_input_iterators_tIbNS6_6detail15normal_iteratorINS6_10device_ptrIKxEEEESL_NS6_8equal_toIxEEEENSG_9not_fun_tINSD_8identityEEEEENSD_19counting_iterator_tIlEES8_S8_S8_S8_S8_S8_S8_S8_EEEEPS9_S9_NSD_9__find_if7functorIS9_EEEE10hipError_tPvRmT1_T2_T3_mT4_P12ihipStream_tbEUlT_E1_NS1_11comp_targetILNS1_3genE10ELNS1_11target_archE1201ELNS1_3gpuE5ELNS1_3repE0EEENS1_30default_config_static_selectorELNS0_4arch9wavefront6targetE0EEEvS14_.has_indirect_call, 0
	.section	.AMDGPU.csdata,"",@progbits
; Kernel info:
; codeLenInByte = 0
; TotalNumSgprs: 0
; NumVgprs: 0
; ScratchSize: 0
; MemoryBound: 0
; FloatMode: 240
; IeeeMode: 1
; LDSByteSize: 0 bytes/workgroup (compile time only)
; SGPRBlocks: 0
; VGPRBlocks: 0
; NumSGPRsForWavesPerEU: 1
; NumVGPRsForWavesPerEU: 1
; Occupancy: 16
; WaveLimiterHint : 0
; COMPUTE_PGM_RSRC2:SCRATCH_EN: 0
; COMPUTE_PGM_RSRC2:USER_SGPR: 6
; COMPUTE_PGM_RSRC2:TRAP_HANDLER: 0
; COMPUTE_PGM_RSRC2:TGID_X_EN: 1
; COMPUTE_PGM_RSRC2:TGID_Y_EN: 0
; COMPUTE_PGM_RSRC2:TGID_Z_EN: 0
; COMPUTE_PGM_RSRC2:TIDIG_COMP_CNT: 0
	.section	.text._ZN7rocprim17ROCPRIM_400000_NS6detail17trampoline_kernelINS0_14default_configENS1_22reduce_config_selectorIN6thrust23THRUST_200600_302600_NS5tupleIblNS6_9null_typeES8_S8_S8_S8_S8_S8_S8_EEEEZNS1_11reduce_implILb1ES3_NS6_12zip_iteratorINS7_INS6_11hip_rocprim26transform_input_iterator_tIbNSD_35transform_pair_of_input_iterators_tIbNS6_6detail15normal_iteratorINS6_10device_ptrIKxEEEESL_NS6_8equal_toIxEEEENSG_9not_fun_tINSD_8identityEEEEENSD_19counting_iterator_tIlEES8_S8_S8_S8_S8_S8_S8_S8_EEEEPS9_S9_NSD_9__find_if7functorIS9_EEEE10hipError_tPvRmT1_T2_T3_mT4_P12ihipStream_tbEUlT_E1_NS1_11comp_targetILNS1_3genE10ELNS1_11target_archE1200ELNS1_3gpuE4ELNS1_3repE0EEENS1_30default_config_static_selectorELNS0_4arch9wavefront6targetE0EEEvS14_,"axG",@progbits,_ZN7rocprim17ROCPRIM_400000_NS6detail17trampoline_kernelINS0_14default_configENS1_22reduce_config_selectorIN6thrust23THRUST_200600_302600_NS5tupleIblNS6_9null_typeES8_S8_S8_S8_S8_S8_S8_EEEEZNS1_11reduce_implILb1ES3_NS6_12zip_iteratorINS7_INS6_11hip_rocprim26transform_input_iterator_tIbNSD_35transform_pair_of_input_iterators_tIbNS6_6detail15normal_iteratorINS6_10device_ptrIKxEEEESL_NS6_8equal_toIxEEEENSG_9not_fun_tINSD_8identityEEEEENSD_19counting_iterator_tIlEES8_S8_S8_S8_S8_S8_S8_S8_EEEEPS9_S9_NSD_9__find_if7functorIS9_EEEE10hipError_tPvRmT1_T2_T3_mT4_P12ihipStream_tbEUlT_E1_NS1_11comp_targetILNS1_3genE10ELNS1_11target_archE1200ELNS1_3gpuE4ELNS1_3repE0EEENS1_30default_config_static_selectorELNS0_4arch9wavefront6targetE0EEEvS14_,comdat
	.protected	_ZN7rocprim17ROCPRIM_400000_NS6detail17trampoline_kernelINS0_14default_configENS1_22reduce_config_selectorIN6thrust23THRUST_200600_302600_NS5tupleIblNS6_9null_typeES8_S8_S8_S8_S8_S8_S8_EEEEZNS1_11reduce_implILb1ES3_NS6_12zip_iteratorINS7_INS6_11hip_rocprim26transform_input_iterator_tIbNSD_35transform_pair_of_input_iterators_tIbNS6_6detail15normal_iteratorINS6_10device_ptrIKxEEEESL_NS6_8equal_toIxEEEENSG_9not_fun_tINSD_8identityEEEEENSD_19counting_iterator_tIlEES8_S8_S8_S8_S8_S8_S8_S8_EEEEPS9_S9_NSD_9__find_if7functorIS9_EEEE10hipError_tPvRmT1_T2_T3_mT4_P12ihipStream_tbEUlT_E1_NS1_11comp_targetILNS1_3genE10ELNS1_11target_archE1200ELNS1_3gpuE4ELNS1_3repE0EEENS1_30default_config_static_selectorELNS0_4arch9wavefront6targetE0EEEvS14_ ; -- Begin function _ZN7rocprim17ROCPRIM_400000_NS6detail17trampoline_kernelINS0_14default_configENS1_22reduce_config_selectorIN6thrust23THRUST_200600_302600_NS5tupleIblNS6_9null_typeES8_S8_S8_S8_S8_S8_S8_EEEEZNS1_11reduce_implILb1ES3_NS6_12zip_iteratorINS7_INS6_11hip_rocprim26transform_input_iterator_tIbNSD_35transform_pair_of_input_iterators_tIbNS6_6detail15normal_iteratorINS6_10device_ptrIKxEEEESL_NS6_8equal_toIxEEEENSG_9not_fun_tINSD_8identityEEEEENSD_19counting_iterator_tIlEES8_S8_S8_S8_S8_S8_S8_S8_EEEEPS9_S9_NSD_9__find_if7functorIS9_EEEE10hipError_tPvRmT1_T2_T3_mT4_P12ihipStream_tbEUlT_E1_NS1_11comp_targetILNS1_3genE10ELNS1_11target_archE1200ELNS1_3gpuE4ELNS1_3repE0EEENS1_30default_config_static_selectorELNS0_4arch9wavefront6targetE0EEEvS14_
	.globl	_ZN7rocprim17ROCPRIM_400000_NS6detail17trampoline_kernelINS0_14default_configENS1_22reduce_config_selectorIN6thrust23THRUST_200600_302600_NS5tupleIblNS6_9null_typeES8_S8_S8_S8_S8_S8_S8_EEEEZNS1_11reduce_implILb1ES3_NS6_12zip_iteratorINS7_INS6_11hip_rocprim26transform_input_iterator_tIbNSD_35transform_pair_of_input_iterators_tIbNS6_6detail15normal_iteratorINS6_10device_ptrIKxEEEESL_NS6_8equal_toIxEEEENSG_9not_fun_tINSD_8identityEEEEENSD_19counting_iterator_tIlEES8_S8_S8_S8_S8_S8_S8_S8_EEEEPS9_S9_NSD_9__find_if7functorIS9_EEEE10hipError_tPvRmT1_T2_T3_mT4_P12ihipStream_tbEUlT_E1_NS1_11comp_targetILNS1_3genE10ELNS1_11target_archE1200ELNS1_3gpuE4ELNS1_3repE0EEENS1_30default_config_static_selectorELNS0_4arch9wavefront6targetE0EEEvS14_
	.p2align	8
	.type	_ZN7rocprim17ROCPRIM_400000_NS6detail17trampoline_kernelINS0_14default_configENS1_22reduce_config_selectorIN6thrust23THRUST_200600_302600_NS5tupleIblNS6_9null_typeES8_S8_S8_S8_S8_S8_S8_EEEEZNS1_11reduce_implILb1ES3_NS6_12zip_iteratorINS7_INS6_11hip_rocprim26transform_input_iterator_tIbNSD_35transform_pair_of_input_iterators_tIbNS6_6detail15normal_iteratorINS6_10device_ptrIKxEEEESL_NS6_8equal_toIxEEEENSG_9not_fun_tINSD_8identityEEEEENSD_19counting_iterator_tIlEES8_S8_S8_S8_S8_S8_S8_S8_EEEEPS9_S9_NSD_9__find_if7functorIS9_EEEE10hipError_tPvRmT1_T2_T3_mT4_P12ihipStream_tbEUlT_E1_NS1_11comp_targetILNS1_3genE10ELNS1_11target_archE1200ELNS1_3gpuE4ELNS1_3repE0EEENS1_30default_config_static_selectorELNS0_4arch9wavefront6targetE0EEEvS14_,@function
_ZN7rocprim17ROCPRIM_400000_NS6detail17trampoline_kernelINS0_14default_configENS1_22reduce_config_selectorIN6thrust23THRUST_200600_302600_NS5tupleIblNS6_9null_typeES8_S8_S8_S8_S8_S8_S8_EEEEZNS1_11reduce_implILb1ES3_NS6_12zip_iteratorINS7_INS6_11hip_rocprim26transform_input_iterator_tIbNSD_35transform_pair_of_input_iterators_tIbNS6_6detail15normal_iteratorINS6_10device_ptrIKxEEEESL_NS6_8equal_toIxEEEENSG_9not_fun_tINSD_8identityEEEEENSD_19counting_iterator_tIlEES8_S8_S8_S8_S8_S8_S8_S8_EEEEPS9_S9_NSD_9__find_if7functorIS9_EEEE10hipError_tPvRmT1_T2_T3_mT4_P12ihipStream_tbEUlT_E1_NS1_11comp_targetILNS1_3genE10ELNS1_11target_archE1200ELNS1_3gpuE4ELNS1_3repE0EEENS1_30default_config_static_selectorELNS0_4arch9wavefront6targetE0EEEvS14_: ; @_ZN7rocprim17ROCPRIM_400000_NS6detail17trampoline_kernelINS0_14default_configENS1_22reduce_config_selectorIN6thrust23THRUST_200600_302600_NS5tupleIblNS6_9null_typeES8_S8_S8_S8_S8_S8_S8_EEEEZNS1_11reduce_implILb1ES3_NS6_12zip_iteratorINS7_INS6_11hip_rocprim26transform_input_iterator_tIbNSD_35transform_pair_of_input_iterators_tIbNS6_6detail15normal_iteratorINS6_10device_ptrIKxEEEESL_NS6_8equal_toIxEEEENSG_9not_fun_tINSD_8identityEEEEENSD_19counting_iterator_tIlEES8_S8_S8_S8_S8_S8_S8_S8_EEEEPS9_S9_NSD_9__find_if7functorIS9_EEEE10hipError_tPvRmT1_T2_T3_mT4_P12ihipStream_tbEUlT_E1_NS1_11comp_targetILNS1_3genE10ELNS1_11target_archE1200ELNS1_3gpuE4ELNS1_3repE0EEENS1_30default_config_static_selectorELNS0_4arch9wavefront6targetE0EEEvS14_
; %bb.0:
	.section	.rodata,"a",@progbits
	.p2align	6, 0x0
	.amdhsa_kernel _ZN7rocprim17ROCPRIM_400000_NS6detail17trampoline_kernelINS0_14default_configENS1_22reduce_config_selectorIN6thrust23THRUST_200600_302600_NS5tupleIblNS6_9null_typeES8_S8_S8_S8_S8_S8_S8_EEEEZNS1_11reduce_implILb1ES3_NS6_12zip_iteratorINS7_INS6_11hip_rocprim26transform_input_iterator_tIbNSD_35transform_pair_of_input_iterators_tIbNS6_6detail15normal_iteratorINS6_10device_ptrIKxEEEESL_NS6_8equal_toIxEEEENSG_9not_fun_tINSD_8identityEEEEENSD_19counting_iterator_tIlEES8_S8_S8_S8_S8_S8_S8_S8_EEEEPS9_S9_NSD_9__find_if7functorIS9_EEEE10hipError_tPvRmT1_T2_T3_mT4_P12ihipStream_tbEUlT_E1_NS1_11comp_targetILNS1_3genE10ELNS1_11target_archE1200ELNS1_3gpuE4ELNS1_3repE0EEENS1_30default_config_static_selectorELNS0_4arch9wavefront6targetE0EEEvS14_
		.amdhsa_group_segment_fixed_size 0
		.amdhsa_private_segment_fixed_size 0
		.amdhsa_kernarg_size 88
		.amdhsa_user_sgpr_count 6
		.amdhsa_user_sgpr_private_segment_buffer 1
		.amdhsa_user_sgpr_dispatch_ptr 0
		.amdhsa_user_sgpr_queue_ptr 0
		.amdhsa_user_sgpr_kernarg_segment_ptr 1
		.amdhsa_user_sgpr_dispatch_id 0
		.amdhsa_user_sgpr_flat_scratch_init 0
		.amdhsa_user_sgpr_private_segment_size 0
		.amdhsa_wavefront_size32 1
		.amdhsa_uses_dynamic_stack 0
		.amdhsa_system_sgpr_private_segment_wavefront_offset 0
		.amdhsa_system_sgpr_workgroup_id_x 1
		.amdhsa_system_sgpr_workgroup_id_y 0
		.amdhsa_system_sgpr_workgroup_id_z 0
		.amdhsa_system_sgpr_workgroup_info 0
		.amdhsa_system_vgpr_workitem_id 0
		.amdhsa_next_free_vgpr 1
		.amdhsa_next_free_sgpr 1
		.amdhsa_reserve_vcc 0
		.amdhsa_reserve_flat_scratch 0
		.amdhsa_float_round_mode_32 0
		.amdhsa_float_round_mode_16_64 0
		.amdhsa_float_denorm_mode_32 3
		.amdhsa_float_denorm_mode_16_64 3
		.amdhsa_dx10_clamp 1
		.amdhsa_ieee_mode 1
		.amdhsa_fp16_overflow 0
		.amdhsa_workgroup_processor_mode 1
		.amdhsa_memory_ordered 1
		.amdhsa_forward_progress 1
		.amdhsa_shared_vgpr_count 0
		.amdhsa_exception_fp_ieee_invalid_op 0
		.amdhsa_exception_fp_denorm_src 0
		.amdhsa_exception_fp_ieee_div_zero 0
		.amdhsa_exception_fp_ieee_overflow 0
		.amdhsa_exception_fp_ieee_underflow 0
		.amdhsa_exception_fp_ieee_inexact 0
		.amdhsa_exception_int_div_zero 0
	.end_amdhsa_kernel
	.section	.text._ZN7rocprim17ROCPRIM_400000_NS6detail17trampoline_kernelINS0_14default_configENS1_22reduce_config_selectorIN6thrust23THRUST_200600_302600_NS5tupleIblNS6_9null_typeES8_S8_S8_S8_S8_S8_S8_EEEEZNS1_11reduce_implILb1ES3_NS6_12zip_iteratorINS7_INS6_11hip_rocprim26transform_input_iterator_tIbNSD_35transform_pair_of_input_iterators_tIbNS6_6detail15normal_iteratorINS6_10device_ptrIKxEEEESL_NS6_8equal_toIxEEEENSG_9not_fun_tINSD_8identityEEEEENSD_19counting_iterator_tIlEES8_S8_S8_S8_S8_S8_S8_S8_EEEEPS9_S9_NSD_9__find_if7functorIS9_EEEE10hipError_tPvRmT1_T2_T3_mT4_P12ihipStream_tbEUlT_E1_NS1_11comp_targetILNS1_3genE10ELNS1_11target_archE1200ELNS1_3gpuE4ELNS1_3repE0EEENS1_30default_config_static_selectorELNS0_4arch9wavefront6targetE0EEEvS14_,"axG",@progbits,_ZN7rocprim17ROCPRIM_400000_NS6detail17trampoline_kernelINS0_14default_configENS1_22reduce_config_selectorIN6thrust23THRUST_200600_302600_NS5tupleIblNS6_9null_typeES8_S8_S8_S8_S8_S8_S8_EEEEZNS1_11reduce_implILb1ES3_NS6_12zip_iteratorINS7_INS6_11hip_rocprim26transform_input_iterator_tIbNSD_35transform_pair_of_input_iterators_tIbNS6_6detail15normal_iteratorINS6_10device_ptrIKxEEEESL_NS6_8equal_toIxEEEENSG_9not_fun_tINSD_8identityEEEEENSD_19counting_iterator_tIlEES8_S8_S8_S8_S8_S8_S8_S8_EEEEPS9_S9_NSD_9__find_if7functorIS9_EEEE10hipError_tPvRmT1_T2_T3_mT4_P12ihipStream_tbEUlT_E1_NS1_11comp_targetILNS1_3genE10ELNS1_11target_archE1200ELNS1_3gpuE4ELNS1_3repE0EEENS1_30default_config_static_selectorELNS0_4arch9wavefront6targetE0EEEvS14_,comdat
.Lfunc_end240:
	.size	_ZN7rocprim17ROCPRIM_400000_NS6detail17trampoline_kernelINS0_14default_configENS1_22reduce_config_selectorIN6thrust23THRUST_200600_302600_NS5tupleIblNS6_9null_typeES8_S8_S8_S8_S8_S8_S8_EEEEZNS1_11reduce_implILb1ES3_NS6_12zip_iteratorINS7_INS6_11hip_rocprim26transform_input_iterator_tIbNSD_35transform_pair_of_input_iterators_tIbNS6_6detail15normal_iteratorINS6_10device_ptrIKxEEEESL_NS6_8equal_toIxEEEENSG_9not_fun_tINSD_8identityEEEEENSD_19counting_iterator_tIlEES8_S8_S8_S8_S8_S8_S8_S8_EEEEPS9_S9_NSD_9__find_if7functorIS9_EEEE10hipError_tPvRmT1_T2_T3_mT4_P12ihipStream_tbEUlT_E1_NS1_11comp_targetILNS1_3genE10ELNS1_11target_archE1200ELNS1_3gpuE4ELNS1_3repE0EEENS1_30default_config_static_selectorELNS0_4arch9wavefront6targetE0EEEvS14_, .Lfunc_end240-_ZN7rocprim17ROCPRIM_400000_NS6detail17trampoline_kernelINS0_14default_configENS1_22reduce_config_selectorIN6thrust23THRUST_200600_302600_NS5tupleIblNS6_9null_typeES8_S8_S8_S8_S8_S8_S8_EEEEZNS1_11reduce_implILb1ES3_NS6_12zip_iteratorINS7_INS6_11hip_rocprim26transform_input_iterator_tIbNSD_35transform_pair_of_input_iterators_tIbNS6_6detail15normal_iteratorINS6_10device_ptrIKxEEEESL_NS6_8equal_toIxEEEENSG_9not_fun_tINSD_8identityEEEEENSD_19counting_iterator_tIlEES8_S8_S8_S8_S8_S8_S8_S8_EEEEPS9_S9_NSD_9__find_if7functorIS9_EEEE10hipError_tPvRmT1_T2_T3_mT4_P12ihipStream_tbEUlT_E1_NS1_11comp_targetILNS1_3genE10ELNS1_11target_archE1200ELNS1_3gpuE4ELNS1_3repE0EEENS1_30default_config_static_selectorELNS0_4arch9wavefront6targetE0EEEvS14_
                                        ; -- End function
	.set _ZN7rocprim17ROCPRIM_400000_NS6detail17trampoline_kernelINS0_14default_configENS1_22reduce_config_selectorIN6thrust23THRUST_200600_302600_NS5tupleIblNS6_9null_typeES8_S8_S8_S8_S8_S8_S8_EEEEZNS1_11reduce_implILb1ES3_NS6_12zip_iteratorINS7_INS6_11hip_rocprim26transform_input_iterator_tIbNSD_35transform_pair_of_input_iterators_tIbNS6_6detail15normal_iteratorINS6_10device_ptrIKxEEEESL_NS6_8equal_toIxEEEENSG_9not_fun_tINSD_8identityEEEEENSD_19counting_iterator_tIlEES8_S8_S8_S8_S8_S8_S8_S8_EEEEPS9_S9_NSD_9__find_if7functorIS9_EEEE10hipError_tPvRmT1_T2_T3_mT4_P12ihipStream_tbEUlT_E1_NS1_11comp_targetILNS1_3genE10ELNS1_11target_archE1200ELNS1_3gpuE4ELNS1_3repE0EEENS1_30default_config_static_selectorELNS0_4arch9wavefront6targetE0EEEvS14_.num_vgpr, 0
	.set _ZN7rocprim17ROCPRIM_400000_NS6detail17trampoline_kernelINS0_14default_configENS1_22reduce_config_selectorIN6thrust23THRUST_200600_302600_NS5tupleIblNS6_9null_typeES8_S8_S8_S8_S8_S8_S8_EEEEZNS1_11reduce_implILb1ES3_NS6_12zip_iteratorINS7_INS6_11hip_rocprim26transform_input_iterator_tIbNSD_35transform_pair_of_input_iterators_tIbNS6_6detail15normal_iteratorINS6_10device_ptrIKxEEEESL_NS6_8equal_toIxEEEENSG_9not_fun_tINSD_8identityEEEEENSD_19counting_iterator_tIlEES8_S8_S8_S8_S8_S8_S8_S8_EEEEPS9_S9_NSD_9__find_if7functorIS9_EEEE10hipError_tPvRmT1_T2_T3_mT4_P12ihipStream_tbEUlT_E1_NS1_11comp_targetILNS1_3genE10ELNS1_11target_archE1200ELNS1_3gpuE4ELNS1_3repE0EEENS1_30default_config_static_selectorELNS0_4arch9wavefront6targetE0EEEvS14_.num_agpr, 0
	.set _ZN7rocprim17ROCPRIM_400000_NS6detail17trampoline_kernelINS0_14default_configENS1_22reduce_config_selectorIN6thrust23THRUST_200600_302600_NS5tupleIblNS6_9null_typeES8_S8_S8_S8_S8_S8_S8_EEEEZNS1_11reduce_implILb1ES3_NS6_12zip_iteratorINS7_INS6_11hip_rocprim26transform_input_iterator_tIbNSD_35transform_pair_of_input_iterators_tIbNS6_6detail15normal_iteratorINS6_10device_ptrIKxEEEESL_NS6_8equal_toIxEEEENSG_9not_fun_tINSD_8identityEEEEENSD_19counting_iterator_tIlEES8_S8_S8_S8_S8_S8_S8_S8_EEEEPS9_S9_NSD_9__find_if7functorIS9_EEEE10hipError_tPvRmT1_T2_T3_mT4_P12ihipStream_tbEUlT_E1_NS1_11comp_targetILNS1_3genE10ELNS1_11target_archE1200ELNS1_3gpuE4ELNS1_3repE0EEENS1_30default_config_static_selectorELNS0_4arch9wavefront6targetE0EEEvS14_.numbered_sgpr, 0
	.set _ZN7rocprim17ROCPRIM_400000_NS6detail17trampoline_kernelINS0_14default_configENS1_22reduce_config_selectorIN6thrust23THRUST_200600_302600_NS5tupleIblNS6_9null_typeES8_S8_S8_S8_S8_S8_S8_EEEEZNS1_11reduce_implILb1ES3_NS6_12zip_iteratorINS7_INS6_11hip_rocprim26transform_input_iterator_tIbNSD_35transform_pair_of_input_iterators_tIbNS6_6detail15normal_iteratorINS6_10device_ptrIKxEEEESL_NS6_8equal_toIxEEEENSG_9not_fun_tINSD_8identityEEEEENSD_19counting_iterator_tIlEES8_S8_S8_S8_S8_S8_S8_S8_EEEEPS9_S9_NSD_9__find_if7functorIS9_EEEE10hipError_tPvRmT1_T2_T3_mT4_P12ihipStream_tbEUlT_E1_NS1_11comp_targetILNS1_3genE10ELNS1_11target_archE1200ELNS1_3gpuE4ELNS1_3repE0EEENS1_30default_config_static_selectorELNS0_4arch9wavefront6targetE0EEEvS14_.num_named_barrier, 0
	.set _ZN7rocprim17ROCPRIM_400000_NS6detail17trampoline_kernelINS0_14default_configENS1_22reduce_config_selectorIN6thrust23THRUST_200600_302600_NS5tupleIblNS6_9null_typeES8_S8_S8_S8_S8_S8_S8_EEEEZNS1_11reduce_implILb1ES3_NS6_12zip_iteratorINS7_INS6_11hip_rocprim26transform_input_iterator_tIbNSD_35transform_pair_of_input_iterators_tIbNS6_6detail15normal_iteratorINS6_10device_ptrIKxEEEESL_NS6_8equal_toIxEEEENSG_9not_fun_tINSD_8identityEEEEENSD_19counting_iterator_tIlEES8_S8_S8_S8_S8_S8_S8_S8_EEEEPS9_S9_NSD_9__find_if7functorIS9_EEEE10hipError_tPvRmT1_T2_T3_mT4_P12ihipStream_tbEUlT_E1_NS1_11comp_targetILNS1_3genE10ELNS1_11target_archE1200ELNS1_3gpuE4ELNS1_3repE0EEENS1_30default_config_static_selectorELNS0_4arch9wavefront6targetE0EEEvS14_.private_seg_size, 0
	.set _ZN7rocprim17ROCPRIM_400000_NS6detail17trampoline_kernelINS0_14default_configENS1_22reduce_config_selectorIN6thrust23THRUST_200600_302600_NS5tupleIblNS6_9null_typeES8_S8_S8_S8_S8_S8_S8_EEEEZNS1_11reduce_implILb1ES3_NS6_12zip_iteratorINS7_INS6_11hip_rocprim26transform_input_iterator_tIbNSD_35transform_pair_of_input_iterators_tIbNS6_6detail15normal_iteratorINS6_10device_ptrIKxEEEESL_NS6_8equal_toIxEEEENSG_9not_fun_tINSD_8identityEEEEENSD_19counting_iterator_tIlEES8_S8_S8_S8_S8_S8_S8_S8_EEEEPS9_S9_NSD_9__find_if7functorIS9_EEEE10hipError_tPvRmT1_T2_T3_mT4_P12ihipStream_tbEUlT_E1_NS1_11comp_targetILNS1_3genE10ELNS1_11target_archE1200ELNS1_3gpuE4ELNS1_3repE0EEENS1_30default_config_static_selectorELNS0_4arch9wavefront6targetE0EEEvS14_.uses_vcc, 0
	.set _ZN7rocprim17ROCPRIM_400000_NS6detail17trampoline_kernelINS0_14default_configENS1_22reduce_config_selectorIN6thrust23THRUST_200600_302600_NS5tupleIblNS6_9null_typeES8_S8_S8_S8_S8_S8_S8_EEEEZNS1_11reduce_implILb1ES3_NS6_12zip_iteratorINS7_INS6_11hip_rocprim26transform_input_iterator_tIbNSD_35transform_pair_of_input_iterators_tIbNS6_6detail15normal_iteratorINS6_10device_ptrIKxEEEESL_NS6_8equal_toIxEEEENSG_9not_fun_tINSD_8identityEEEEENSD_19counting_iterator_tIlEES8_S8_S8_S8_S8_S8_S8_S8_EEEEPS9_S9_NSD_9__find_if7functorIS9_EEEE10hipError_tPvRmT1_T2_T3_mT4_P12ihipStream_tbEUlT_E1_NS1_11comp_targetILNS1_3genE10ELNS1_11target_archE1200ELNS1_3gpuE4ELNS1_3repE0EEENS1_30default_config_static_selectorELNS0_4arch9wavefront6targetE0EEEvS14_.uses_flat_scratch, 0
	.set _ZN7rocprim17ROCPRIM_400000_NS6detail17trampoline_kernelINS0_14default_configENS1_22reduce_config_selectorIN6thrust23THRUST_200600_302600_NS5tupleIblNS6_9null_typeES8_S8_S8_S8_S8_S8_S8_EEEEZNS1_11reduce_implILb1ES3_NS6_12zip_iteratorINS7_INS6_11hip_rocprim26transform_input_iterator_tIbNSD_35transform_pair_of_input_iterators_tIbNS6_6detail15normal_iteratorINS6_10device_ptrIKxEEEESL_NS6_8equal_toIxEEEENSG_9not_fun_tINSD_8identityEEEEENSD_19counting_iterator_tIlEES8_S8_S8_S8_S8_S8_S8_S8_EEEEPS9_S9_NSD_9__find_if7functorIS9_EEEE10hipError_tPvRmT1_T2_T3_mT4_P12ihipStream_tbEUlT_E1_NS1_11comp_targetILNS1_3genE10ELNS1_11target_archE1200ELNS1_3gpuE4ELNS1_3repE0EEENS1_30default_config_static_selectorELNS0_4arch9wavefront6targetE0EEEvS14_.has_dyn_sized_stack, 0
	.set _ZN7rocprim17ROCPRIM_400000_NS6detail17trampoline_kernelINS0_14default_configENS1_22reduce_config_selectorIN6thrust23THRUST_200600_302600_NS5tupleIblNS6_9null_typeES8_S8_S8_S8_S8_S8_S8_EEEEZNS1_11reduce_implILb1ES3_NS6_12zip_iteratorINS7_INS6_11hip_rocprim26transform_input_iterator_tIbNSD_35transform_pair_of_input_iterators_tIbNS6_6detail15normal_iteratorINS6_10device_ptrIKxEEEESL_NS6_8equal_toIxEEEENSG_9not_fun_tINSD_8identityEEEEENSD_19counting_iterator_tIlEES8_S8_S8_S8_S8_S8_S8_S8_EEEEPS9_S9_NSD_9__find_if7functorIS9_EEEE10hipError_tPvRmT1_T2_T3_mT4_P12ihipStream_tbEUlT_E1_NS1_11comp_targetILNS1_3genE10ELNS1_11target_archE1200ELNS1_3gpuE4ELNS1_3repE0EEENS1_30default_config_static_selectorELNS0_4arch9wavefront6targetE0EEEvS14_.has_recursion, 0
	.set _ZN7rocprim17ROCPRIM_400000_NS6detail17trampoline_kernelINS0_14default_configENS1_22reduce_config_selectorIN6thrust23THRUST_200600_302600_NS5tupleIblNS6_9null_typeES8_S8_S8_S8_S8_S8_S8_EEEEZNS1_11reduce_implILb1ES3_NS6_12zip_iteratorINS7_INS6_11hip_rocprim26transform_input_iterator_tIbNSD_35transform_pair_of_input_iterators_tIbNS6_6detail15normal_iteratorINS6_10device_ptrIKxEEEESL_NS6_8equal_toIxEEEENSG_9not_fun_tINSD_8identityEEEEENSD_19counting_iterator_tIlEES8_S8_S8_S8_S8_S8_S8_S8_EEEEPS9_S9_NSD_9__find_if7functorIS9_EEEE10hipError_tPvRmT1_T2_T3_mT4_P12ihipStream_tbEUlT_E1_NS1_11comp_targetILNS1_3genE10ELNS1_11target_archE1200ELNS1_3gpuE4ELNS1_3repE0EEENS1_30default_config_static_selectorELNS0_4arch9wavefront6targetE0EEEvS14_.has_indirect_call, 0
	.section	.AMDGPU.csdata,"",@progbits
; Kernel info:
; codeLenInByte = 0
; TotalNumSgprs: 0
; NumVgprs: 0
; ScratchSize: 0
; MemoryBound: 0
; FloatMode: 240
; IeeeMode: 1
; LDSByteSize: 0 bytes/workgroup (compile time only)
; SGPRBlocks: 0
; VGPRBlocks: 0
; NumSGPRsForWavesPerEU: 1
; NumVGPRsForWavesPerEU: 1
; Occupancy: 16
; WaveLimiterHint : 0
; COMPUTE_PGM_RSRC2:SCRATCH_EN: 0
; COMPUTE_PGM_RSRC2:USER_SGPR: 6
; COMPUTE_PGM_RSRC2:TRAP_HANDLER: 0
; COMPUTE_PGM_RSRC2:TGID_X_EN: 1
; COMPUTE_PGM_RSRC2:TGID_Y_EN: 0
; COMPUTE_PGM_RSRC2:TGID_Z_EN: 0
; COMPUTE_PGM_RSRC2:TIDIG_COMP_CNT: 0
	.section	.text._ZN7rocprim17ROCPRIM_400000_NS6detail17trampoline_kernelINS0_14default_configENS1_22reduce_config_selectorIN6thrust23THRUST_200600_302600_NS5tupleIblNS6_9null_typeES8_S8_S8_S8_S8_S8_S8_EEEEZNS1_11reduce_implILb1ES3_NS6_12zip_iteratorINS7_INS6_11hip_rocprim26transform_input_iterator_tIbNSD_35transform_pair_of_input_iterators_tIbNS6_6detail15normal_iteratorINS6_10device_ptrIKxEEEESL_NS6_8equal_toIxEEEENSG_9not_fun_tINSD_8identityEEEEENSD_19counting_iterator_tIlEES8_S8_S8_S8_S8_S8_S8_S8_EEEEPS9_S9_NSD_9__find_if7functorIS9_EEEE10hipError_tPvRmT1_T2_T3_mT4_P12ihipStream_tbEUlT_E1_NS1_11comp_targetILNS1_3genE9ELNS1_11target_archE1100ELNS1_3gpuE3ELNS1_3repE0EEENS1_30default_config_static_selectorELNS0_4arch9wavefront6targetE0EEEvS14_,"axG",@progbits,_ZN7rocprim17ROCPRIM_400000_NS6detail17trampoline_kernelINS0_14default_configENS1_22reduce_config_selectorIN6thrust23THRUST_200600_302600_NS5tupleIblNS6_9null_typeES8_S8_S8_S8_S8_S8_S8_EEEEZNS1_11reduce_implILb1ES3_NS6_12zip_iteratorINS7_INS6_11hip_rocprim26transform_input_iterator_tIbNSD_35transform_pair_of_input_iterators_tIbNS6_6detail15normal_iteratorINS6_10device_ptrIKxEEEESL_NS6_8equal_toIxEEEENSG_9not_fun_tINSD_8identityEEEEENSD_19counting_iterator_tIlEES8_S8_S8_S8_S8_S8_S8_S8_EEEEPS9_S9_NSD_9__find_if7functorIS9_EEEE10hipError_tPvRmT1_T2_T3_mT4_P12ihipStream_tbEUlT_E1_NS1_11comp_targetILNS1_3genE9ELNS1_11target_archE1100ELNS1_3gpuE3ELNS1_3repE0EEENS1_30default_config_static_selectorELNS0_4arch9wavefront6targetE0EEEvS14_,comdat
	.protected	_ZN7rocprim17ROCPRIM_400000_NS6detail17trampoline_kernelINS0_14default_configENS1_22reduce_config_selectorIN6thrust23THRUST_200600_302600_NS5tupleIblNS6_9null_typeES8_S8_S8_S8_S8_S8_S8_EEEEZNS1_11reduce_implILb1ES3_NS6_12zip_iteratorINS7_INS6_11hip_rocprim26transform_input_iterator_tIbNSD_35transform_pair_of_input_iterators_tIbNS6_6detail15normal_iteratorINS6_10device_ptrIKxEEEESL_NS6_8equal_toIxEEEENSG_9not_fun_tINSD_8identityEEEEENSD_19counting_iterator_tIlEES8_S8_S8_S8_S8_S8_S8_S8_EEEEPS9_S9_NSD_9__find_if7functorIS9_EEEE10hipError_tPvRmT1_T2_T3_mT4_P12ihipStream_tbEUlT_E1_NS1_11comp_targetILNS1_3genE9ELNS1_11target_archE1100ELNS1_3gpuE3ELNS1_3repE0EEENS1_30default_config_static_selectorELNS0_4arch9wavefront6targetE0EEEvS14_ ; -- Begin function _ZN7rocprim17ROCPRIM_400000_NS6detail17trampoline_kernelINS0_14default_configENS1_22reduce_config_selectorIN6thrust23THRUST_200600_302600_NS5tupleIblNS6_9null_typeES8_S8_S8_S8_S8_S8_S8_EEEEZNS1_11reduce_implILb1ES3_NS6_12zip_iteratorINS7_INS6_11hip_rocprim26transform_input_iterator_tIbNSD_35transform_pair_of_input_iterators_tIbNS6_6detail15normal_iteratorINS6_10device_ptrIKxEEEESL_NS6_8equal_toIxEEEENSG_9not_fun_tINSD_8identityEEEEENSD_19counting_iterator_tIlEES8_S8_S8_S8_S8_S8_S8_S8_EEEEPS9_S9_NSD_9__find_if7functorIS9_EEEE10hipError_tPvRmT1_T2_T3_mT4_P12ihipStream_tbEUlT_E1_NS1_11comp_targetILNS1_3genE9ELNS1_11target_archE1100ELNS1_3gpuE3ELNS1_3repE0EEENS1_30default_config_static_selectorELNS0_4arch9wavefront6targetE0EEEvS14_
	.globl	_ZN7rocprim17ROCPRIM_400000_NS6detail17trampoline_kernelINS0_14default_configENS1_22reduce_config_selectorIN6thrust23THRUST_200600_302600_NS5tupleIblNS6_9null_typeES8_S8_S8_S8_S8_S8_S8_EEEEZNS1_11reduce_implILb1ES3_NS6_12zip_iteratorINS7_INS6_11hip_rocprim26transform_input_iterator_tIbNSD_35transform_pair_of_input_iterators_tIbNS6_6detail15normal_iteratorINS6_10device_ptrIKxEEEESL_NS6_8equal_toIxEEEENSG_9not_fun_tINSD_8identityEEEEENSD_19counting_iterator_tIlEES8_S8_S8_S8_S8_S8_S8_S8_EEEEPS9_S9_NSD_9__find_if7functorIS9_EEEE10hipError_tPvRmT1_T2_T3_mT4_P12ihipStream_tbEUlT_E1_NS1_11comp_targetILNS1_3genE9ELNS1_11target_archE1100ELNS1_3gpuE3ELNS1_3repE0EEENS1_30default_config_static_selectorELNS0_4arch9wavefront6targetE0EEEvS14_
	.p2align	8
	.type	_ZN7rocprim17ROCPRIM_400000_NS6detail17trampoline_kernelINS0_14default_configENS1_22reduce_config_selectorIN6thrust23THRUST_200600_302600_NS5tupleIblNS6_9null_typeES8_S8_S8_S8_S8_S8_S8_EEEEZNS1_11reduce_implILb1ES3_NS6_12zip_iteratorINS7_INS6_11hip_rocprim26transform_input_iterator_tIbNSD_35transform_pair_of_input_iterators_tIbNS6_6detail15normal_iteratorINS6_10device_ptrIKxEEEESL_NS6_8equal_toIxEEEENSG_9not_fun_tINSD_8identityEEEEENSD_19counting_iterator_tIlEES8_S8_S8_S8_S8_S8_S8_S8_EEEEPS9_S9_NSD_9__find_if7functorIS9_EEEE10hipError_tPvRmT1_T2_T3_mT4_P12ihipStream_tbEUlT_E1_NS1_11comp_targetILNS1_3genE9ELNS1_11target_archE1100ELNS1_3gpuE3ELNS1_3repE0EEENS1_30default_config_static_selectorELNS0_4arch9wavefront6targetE0EEEvS14_,@function
_ZN7rocprim17ROCPRIM_400000_NS6detail17trampoline_kernelINS0_14default_configENS1_22reduce_config_selectorIN6thrust23THRUST_200600_302600_NS5tupleIblNS6_9null_typeES8_S8_S8_S8_S8_S8_S8_EEEEZNS1_11reduce_implILb1ES3_NS6_12zip_iteratorINS7_INS6_11hip_rocprim26transform_input_iterator_tIbNSD_35transform_pair_of_input_iterators_tIbNS6_6detail15normal_iteratorINS6_10device_ptrIKxEEEESL_NS6_8equal_toIxEEEENSG_9not_fun_tINSD_8identityEEEEENSD_19counting_iterator_tIlEES8_S8_S8_S8_S8_S8_S8_S8_EEEEPS9_S9_NSD_9__find_if7functorIS9_EEEE10hipError_tPvRmT1_T2_T3_mT4_P12ihipStream_tbEUlT_E1_NS1_11comp_targetILNS1_3genE9ELNS1_11target_archE1100ELNS1_3gpuE3ELNS1_3repE0EEENS1_30default_config_static_selectorELNS0_4arch9wavefront6targetE0EEEvS14_: ; @_ZN7rocprim17ROCPRIM_400000_NS6detail17trampoline_kernelINS0_14default_configENS1_22reduce_config_selectorIN6thrust23THRUST_200600_302600_NS5tupleIblNS6_9null_typeES8_S8_S8_S8_S8_S8_S8_EEEEZNS1_11reduce_implILb1ES3_NS6_12zip_iteratorINS7_INS6_11hip_rocprim26transform_input_iterator_tIbNSD_35transform_pair_of_input_iterators_tIbNS6_6detail15normal_iteratorINS6_10device_ptrIKxEEEESL_NS6_8equal_toIxEEEENSG_9not_fun_tINSD_8identityEEEEENSD_19counting_iterator_tIlEES8_S8_S8_S8_S8_S8_S8_S8_EEEEPS9_S9_NSD_9__find_if7functorIS9_EEEE10hipError_tPvRmT1_T2_T3_mT4_P12ihipStream_tbEUlT_E1_NS1_11comp_targetILNS1_3genE9ELNS1_11target_archE1100ELNS1_3gpuE3ELNS1_3repE0EEENS1_30default_config_static_selectorELNS0_4arch9wavefront6targetE0EEEvS14_
; %bb.0:
	.section	.rodata,"a",@progbits
	.p2align	6, 0x0
	.amdhsa_kernel _ZN7rocprim17ROCPRIM_400000_NS6detail17trampoline_kernelINS0_14default_configENS1_22reduce_config_selectorIN6thrust23THRUST_200600_302600_NS5tupleIblNS6_9null_typeES8_S8_S8_S8_S8_S8_S8_EEEEZNS1_11reduce_implILb1ES3_NS6_12zip_iteratorINS7_INS6_11hip_rocprim26transform_input_iterator_tIbNSD_35transform_pair_of_input_iterators_tIbNS6_6detail15normal_iteratorINS6_10device_ptrIKxEEEESL_NS6_8equal_toIxEEEENSG_9not_fun_tINSD_8identityEEEEENSD_19counting_iterator_tIlEES8_S8_S8_S8_S8_S8_S8_S8_EEEEPS9_S9_NSD_9__find_if7functorIS9_EEEE10hipError_tPvRmT1_T2_T3_mT4_P12ihipStream_tbEUlT_E1_NS1_11comp_targetILNS1_3genE9ELNS1_11target_archE1100ELNS1_3gpuE3ELNS1_3repE0EEENS1_30default_config_static_selectorELNS0_4arch9wavefront6targetE0EEEvS14_
		.amdhsa_group_segment_fixed_size 0
		.amdhsa_private_segment_fixed_size 0
		.amdhsa_kernarg_size 88
		.amdhsa_user_sgpr_count 6
		.amdhsa_user_sgpr_private_segment_buffer 1
		.amdhsa_user_sgpr_dispatch_ptr 0
		.amdhsa_user_sgpr_queue_ptr 0
		.amdhsa_user_sgpr_kernarg_segment_ptr 1
		.amdhsa_user_sgpr_dispatch_id 0
		.amdhsa_user_sgpr_flat_scratch_init 0
		.amdhsa_user_sgpr_private_segment_size 0
		.amdhsa_wavefront_size32 1
		.amdhsa_uses_dynamic_stack 0
		.amdhsa_system_sgpr_private_segment_wavefront_offset 0
		.amdhsa_system_sgpr_workgroup_id_x 1
		.amdhsa_system_sgpr_workgroup_id_y 0
		.amdhsa_system_sgpr_workgroup_id_z 0
		.amdhsa_system_sgpr_workgroup_info 0
		.amdhsa_system_vgpr_workitem_id 0
		.amdhsa_next_free_vgpr 1
		.amdhsa_next_free_sgpr 1
		.amdhsa_reserve_vcc 0
		.amdhsa_reserve_flat_scratch 0
		.amdhsa_float_round_mode_32 0
		.amdhsa_float_round_mode_16_64 0
		.amdhsa_float_denorm_mode_32 3
		.amdhsa_float_denorm_mode_16_64 3
		.amdhsa_dx10_clamp 1
		.amdhsa_ieee_mode 1
		.amdhsa_fp16_overflow 0
		.amdhsa_workgroup_processor_mode 1
		.amdhsa_memory_ordered 1
		.amdhsa_forward_progress 1
		.amdhsa_shared_vgpr_count 0
		.amdhsa_exception_fp_ieee_invalid_op 0
		.amdhsa_exception_fp_denorm_src 0
		.amdhsa_exception_fp_ieee_div_zero 0
		.amdhsa_exception_fp_ieee_overflow 0
		.amdhsa_exception_fp_ieee_underflow 0
		.amdhsa_exception_fp_ieee_inexact 0
		.amdhsa_exception_int_div_zero 0
	.end_amdhsa_kernel
	.section	.text._ZN7rocprim17ROCPRIM_400000_NS6detail17trampoline_kernelINS0_14default_configENS1_22reduce_config_selectorIN6thrust23THRUST_200600_302600_NS5tupleIblNS6_9null_typeES8_S8_S8_S8_S8_S8_S8_EEEEZNS1_11reduce_implILb1ES3_NS6_12zip_iteratorINS7_INS6_11hip_rocprim26transform_input_iterator_tIbNSD_35transform_pair_of_input_iterators_tIbNS6_6detail15normal_iteratorINS6_10device_ptrIKxEEEESL_NS6_8equal_toIxEEEENSG_9not_fun_tINSD_8identityEEEEENSD_19counting_iterator_tIlEES8_S8_S8_S8_S8_S8_S8_S8_EEEEPS9_S9_NSD_9__find_if7functorIS9_EEEE10hipError_tPvRmT1_T2_T3_mT4_P12ihipStream_tbEUlT_E1_NS1_11comp_targetILNS1_3genE9ELNS1_11target_archE1100ELNS1_3gpuE3ELNS1_3repE0EEENS1_30default_config_static_selectorELNS0_4arch9wavefront6targetE0EEEvS14_,"axG",@progbits,_ZN7rocprim17ROCPRIM_400000_NS6detail17trampoline_kernelINS0_14default_configENS1_22reduce_config_selectorIN6thrust23THRUST_200600_302600_NS5tupleIblNS6_9null_typeES8_S8_S8_S8_S8_S8_S8_EEEEZNS1_11reduce_implILb1ES3_NS6_12zip_iteratorINS7_INS6_11hip_rocprim26transform_input_iterator_tIbNSD_35transform_pair_of_input_iterators_tIbNS6_6detail15normal_iteratorINS6_10device_ptrIKxEEEESL_NS6_8equal_toIxEEEENSG_9not_fun_tINSD_8identityEEEEENSD_19counting_iterator_tIlEES8_S8_S8_S8_S8_S8_S8_S8_EEEEPS9_S9_NSD_9__find_if7functorIS9_EEEE10hipError_tPvRmT1_T2_T3_mT4_P12ihipStream_tbEUlT_E1_NS1_11comp_targetILNS1_3genE9ELNS1_11target_archE1100ELNS1_3gpuE3ELNS1_3repE0EEENS1_30default_config_static_selectorELNS0_4arch9wavefront6targetE0EEEvS14_,comdat
.Lfunc_end241:
	.size	_ZN7rocprim17ROCPRIM_400000_NS6detail17trampoline_kernelINS0_14default_configENS1_22reduce_config_selectorIN6thrust23THRUST_200600_302600_NS5tupleIblNS6_9null_typeES8_S8_S8_S8_S8_S8_S8_EEEEZNS1_11reduce_implILb1ES3_NS6_12zip_iteratorINS7_INS6_11hip_rocprim26transform_input_iterator_tIbNSD_35transform_pair_of_input_iterators_tIbNS6_6detail15normal_iteratorINS6_10device_ptrIKxEEEESL_NS6_8equal_toIxEEEENSG_9not_fun_tINSD_8identityEEEEENSD_19counting_iterator_tIlEES8_S8_S8_S8_S8_S8_S8_S8_EEEEPS9_S9_NSD_9__find_if7functorIS9_EEEE10hipError_tPvRmT1_T2_T3_mT4_P12ihipStream_tbEUlT_E1_NS1_11comp_targetILNS1_3genE9ELNS1_11target_archE1100ELNS1_3gpuE3ELNS1_3repE0EEENS1_30default_config_static_selectorELNS0_4arch9wavefront6targetE0EEEvS14_, .Lfunc_end241-_ZN7rocprim17ROCPRIM_400000_NS6detail17trampoline_kernelINS0_14default_configENS1_22reduce_config_selectorIN6thrust23THRUST_200600_302600_NS5tupleIblNS6_9null_typeES8_S8_S8_S8_S8_S8_S8_EEEEZNS1_11reduce_implILb1ES3_NS6_12zip_iteratorINS7_INS6_11hip_rocprim26transform_input_iterator_tIbNSD_35transform_pair_of_input_iterators_tIbNS6_6detail15normal_iteratorINS6_10device_ptrIKxEEEESL_NS6_8equal_toIxEEEENSG_9not_fun_tINSD_8identityEEEEENSD_19counting_iterator_tIlEES8_S8_S8_S8_S8_S8_S8_S8_EEEEPS9_S9_NSD_9__find_if7functorIS9_EEEE10hipError_tPvRmT1_T2_T3_mT4_P12ihipStream_tbEUlT_E1_NS1_11comp_targetILNS1_3genE9ELNS1_11target_archE1100ELNS1_3gpuE3ELNS1_3repE0EEENS1_30default_config_static_selectorELNS0_4arch9wavefront6targetE0EEEvS14_
                                        ; -- End function
	.set _ZN7rocprim17ROCPRIM_400000_NS6detail17trampoline_kernelINS0_14default_configENS1_22reduce_config_selectorIN6thrust23THRUST_200600_302600_NS5tupleIblNS6_9null_typeES8_S8_S8_S8_S8_S8_S8_EEEEZNS1_11reduce_implILb1ES3_NS6_12zip_iteratorINS7_INS6_11hip_rocprim26transform_input_iterator_tIbNSD_35transform_pair_of_input_iterators_tIbNS6_6detail15normal_iteratorINS6_10device_ptrIKxEEEESL_NS6_8equal_toIxEEEENSG_9not_fun_tINSD_8identityEEEEENSD_19counting_iterator_tIlEES8_S8_S8_S8_S8_S8_S8_S8_EEEEPS9_S9_NSD_9__find_if7functorIS9_EEEE10hipError_tPvRmT1_T2_T3_mT4_P12ihipStream_tbEUlT_E1_NS1_11comp_targetILNS1_3genE9ELNS1_11target_archE1100ELNS1_3gpuE3ELNS1_3repE0EEENS1_30default_config_static_selectorELNS0_4arch9wavefront6targetE0EEEvS14_.num_vgpr, 0
	.set _ZN7rocprim17ROCPRIM_400000_NS6detail17trampoline_kernelINS0_14default_configENS1_22reduce_config_selectorIN6thrust23THRUST_200600_302600_NS5tupleIblNS6_9null_typeES8_S8_S8_S8_S8_S8_S8_EEEEZNS1_11reduce_implILb1ES3_NS6_12zip_iteratorINS7_INS6_11hip_rocprim26transform_input_iterator_tIbNSD_35transform_pair_of_input_iterators_tIbNS6_6detail15normal_iteratorINS6_10device_ptrIKxEEEESL_NS6_8equal_toIxEEEENSG_9not_fun_tINSD_8identityEEEEENSD_19counting_iterator_tIlEES8_S8_S8_S8_S8_S8_S8_S8_EEEEPS9_S9_NSD_9__find_if7functorIS9_EEEE10hipError_tPvRmT1_T2_T3_mT4_P12ihipStream_tbEUlT_E1_NS1_11comp_targetILNS1_3genE9ELNS1_11target_archE1100ELNS1_3gpuE3ELNS1_3repE0EEENS1_30default_config_static_selectorELNS0_4arch9wavefront6targetE0EEEvS14_.num_agpr, 0
	.set _ZN7rocprim17ROCPRIM_400000_NS6detail17trampoline_kernelINS0_14default_configENS1_22reduce_config_selectorIN6thrust23THRUST_200600_302600_NS5tupleIblNS6_9null_typeES8_S8_S8_S8_S8_S8_S8_EEEEZNS1_11reduce_implILb1ES3_NS6_12zip_iteratorINS7_INS6_11hip_rocprim26transform_input_iterator_tIbNSD_35transform_pair_of_input_iterators_tIbNS6_6detail15normal_iteratorINS6_10device_ptrIKxEEEESL_NS6_8equal_toIxEEEENSG_9not_fun_tINSD_8identityEEEEENSD_19counting_iterator_tIlEES8_S8_S8_S8_S8_S8_S8_S8_EEEEPS9_S9_NSD_9__find_if7functorIS9_EEEE10hipError_tPvRmT1_T2_T3_mT4_P12ihipStream_tbEUlT_E1_NS1_11comp_targetILNS1_3genE9ELNS1_11target_archE1100ELNS1_3gpuE3ELNS1_3repE0EEENS1_30default_config_static_selectorELNS0_4arch9wavefront6targetE0EEEvS14_.numbered_sgpr, 0
	.set _ZN7rocprim17ROCPRIM_400000_NS6detail17trampoline_kernelINS0_14default_configENS1_22reduce_config_selectorIN6thrust23THRUST_200600_302600_NS5tupleIblNS6_9null_typeES8_S8_S8_S8_S8_S8_S8_EEEEZNS1_11reduce_implILb1ES3_NS6_12zip_iteratorINS7_INS6_11hip_rocprim26transform_input_iterator_tIbNSD_35transform_pair_of_input_iterators_tIbNS6_6detail15normal_iteratorINS6_10device_ptrIKxEEEESL_NS6_8equal_toIxEEEENSG_9not_fun_tINSD_8identityEEEEENSD_19counting_iterator_tIlEES8_S8_S8_S8_S8_S8_S8_S8_EEEEPS9_S9_NSD_9__find_if7functorIS9_EEEE10hipError_tPvRmT1_T2_T3_mT4_P12ihipStream_tbEUlT_E1_NS1_11comp_targetILNS1_3genE9ELNS1_11target_archE1100ELNS1_3gpuE3ELNS1_3repE0EEENS1_30default_config_static_selectorELNS0_4arch9wavefront6targetE0EEEvS14_.num_named_barrier, 0
	.set _ZN7rocprim17ROCPRIM_400000_NS6detail17trampoline_kernelINS0_14default_configENS1_22reduce_config_selectorIN6thrust23THRUST_200600_302600_NS5tupleIblNS6_9null_typeES8_S8_S8_S8_S8_S8_S8_EEEEZNS1_11reduce_implILb1ES3_NS6_12zip_iteratorINS7_INS6_11hip_rocprim26transform_input_iterator_tIbNSD_35transform_pair_of_input_iterators_tIbNS6_6detail15normal_iteratorINS6_10device_ptrIKxEEEESL_NS6_8equal_toIxEEEENSG_9not_fun_tINSD_8identityEEEEENSD_19counting_iterator_tIlEES8_S8_S8_S8_S8_S8_S8_S8_EEEEPS9_S9_NSD_9__find_if7functorIS9_EEEE10hipError_tPvRmT1_T2_T3_mT4_P12ihipStream_tbEUlT_E1_NS1_11comp_targetILNS1_3genE9ELNS1_11target_archE1100ELNS1_3gpuE3ELNS1_3repE0EEENS1_30default_config_static_selectorELNS0_4arch9wavefront6targetE0EEEvS14_.private_seg_size, 0
	.set _ZN7rocprim17ROCPRIM_400000_NS6detail17trampoline_kernelINS0_14default_configENS1_22reduce_config_selectorIN6thrust23THRUST_200600_302600_NS5tupleIblNS6_9null_typeES8_S8_S8_S8_S8_S8_S8_EEEEZNS1_11reduce_implILb1ES3_NS6_12zip_iteratorINS7_INS6_11hip_rocprim26transform_input_iterator_tIbNSD_35transform_pair_of_input_iterators_tIbNS6_6detail15normal_iteratorINS6_10device_ptrIKxEEEESL_NS6_8equal_toIxEEEENSG_9not_fun_tINSD_8identityEEEEENSD_19counting_iterator_tIlEES8_S8_S8_S8_S8_S8_S8_S8_EEEEPS9_S9_NSD_9__find_if7functorIS9_EEEE10hipError_tPvRmT1_T2_T3_mT4_P12ihipStream_tbEUlT_E1_NS1_11comp_targetILNS1_3genE9ELNS1_11target_archE1100ELNS1_3gpuE3ELNS1_3repE0EEENS1_30default_config_static_selectorELNS0_4arch9wavefront6targetE0EEEvS14_.uses_vcc, 0
	.set _ZN7rocprim17ROCPRIM_400000_NS6detail17trampoline_kernelINS0_14default_configENS1_22reduce_config_selectorIN6thrust23THRUST_200600_302600_NS5tupleIblNS6_9null_typeES8_S8_S8_S8_S8_S8_S8_EEEEZNS1_11reduce_implILb1ES3_NS6_12zip_iteratorINS7_INS6_11hip_rocprim26transform_input_iterator_tIbNSD_35transform_pair_of_input_iterators_tIbNS6_6detail15normal_iteratorINS6_10device_ptrIKxEEEESL_NS6_8equal_toIxEEEENSG_9not_fun_tINSD_8identityEEEEENSD_19counting_iterator_tIlEES8_S8_S8_S8_S8_S8_S8_S8_EEEEPS9_S9_NSD_9__find_if7functorIS9_EEEE10hipError_tPvRmT1_T2_T3_mT4_P12ihipStream_tbEUlT_E1_NS1_11comp_targetILNS1_3genE9ELNS1_11target_archE1100ELNS1_3gpuE3ELNS1_3repE0EEENS1_30default_config_static_selectorELNS0_4arch9wavefront6targetE0EEEvS14_.uses_flat_scratch, 0
	.set _ZN7rocprim17ROCPRIM_400000_NS6detail17trampoline_kernelINS0_14default_configENS1_22reduce_config_selectorIN6thrust23THRUST_200600_302600_NS5tupleIblNS6_9null_typeES8_S8_S8_S8_S8_S8_S8_EEEEZNS1_11reduce_implILb1ES3_NS6_12zip_iteratorINS7_INS6_11hip_rocprim26transform_input_iterator_tIbNSD_35transform_pair_of_input_iterators_tIbNS6_6detail15normal_iteratorINS6_10device_ptrIKxEEEESL_NS6_8equal_toIxEEEENSG_9not_fun_tINSD_8identityEEEEENSD_19counting_iterator_tIlEES8_S8_S8_S8_S8_S8_S8_S8_EEEEPS9_S9_NSD_9__find_if7functorIS9_EEEE10hipError_tPvRmT1_T2_T3_mT4_P12ihipStream_tbEUlT_E1_NS1_11comp_targetILNS1_3genE9ELNS1_11target_archE1100ELNS1_3gpuE3ELNS1_3repE0EEENS1_30default_config_static_selectorELNS0_4arch9wavefront6targetE0EEEvS14_.has_dyn_sized_stack, 0
	.set _ZN7rocprim17ROCPRIM_400000_NS6detail17trampoline_kernelINS0_14default_configENS1_22reduce_config_selectorIN6thrust23THRUST_200600_302600_NS5tupleIblNS6_9null_typeES8_S8_S8_S8_S8_S8_S8_EEEEZNS1_11reduce_implILb1ES3_NS6_12zip_iteratorINS7_INS6_11hip_rocprim26transform_input_iterator_tIbNSD_35transform_pair_of_input_iterators_tIbNS6_6detail15normal_iteratorINS6_10device_ptrIKxEEEESL_NS6_8equal_toIxEEEENSG_9not_fun_tINSD_8identityEEEEENSD_19counting_iterator_tIlEES8_S8_S8_S8_S8_S8_S8_S8_EEEEPS9_S9_NSD_9__find_if7functorIS9_EEEE10hipError_tPvRmT1_T2_T3_mT4_P12ihipStream_tbEUlT_E1_NS1_11comp_targetILNS1_3genE9ELNS1_11target_archE1100ELNS1_3gpuE3ELNS1_3repE0EEENS1_30default_config_static_selectorELNS0_4arch9wavefront6targetE0EEEvS14_.has_recursion, 0
	.set _ZN7rocprim17ROCPRIM_400000_NS6detail17trampoline_kernelINS0_14default_configENS1_22reduce_config_selectorIN6thrust23THRUST_200600_302600_NS5tupleIblNS6_9null_typeES8_S8_S8_S8_S8_S8_S8_EEEEZNS1_11reduce_implILb1ES3_NS6_12zip_iteratorINS7_INS6_11hip_rocprim26transform_input_iterator_tIbNSD_35transform_pair_of_input_iterators_tIbNS6_6detail15normal_iteratorINS6_10device_ptrIKxEEEESL_NS6_8equal_toIxEEEENSG_9not_fun_tINSD_8identityEEEEENSD_19counting_iterator_tIlEES8_S8_S8_S8_S8_S8_S8_S8_EEEEPS9_S9_NSD_9__find_if7functorIS9_EEEE10hipError_tPvRmT1_T2_T3_mT4_P12ihipStream_tbEUlT_E1_NS1_11comp_targetILNS1_3genE9ELNS1_11target_archE1100ELNS1_3gpuE3ELNS1_3repE0EEENS1_30default_config_static_selectorELNS0_4arch9wavefront6targetE0EEEvS14_.has_indirect_call, 0
	.section	.AMDGPU.csdata,"",@progbits
; Kernel info:
; codeLenInByte = 0
; TotalNumSgprs: 0
; NumVgprs: 0
; ScratchSize: 0
; MemoryBound: 0
; FloatMode: 240
; IeeeMode: 1
; LDSByteSize: 0 bytes/workgroup (compile time only)
; SGPRBlocks: 0
; VGPRBlocks: 0
; NumSGPRsForWavesPerEU: 1
; NumVGPRsForWavesPerEU: 1
; Occupancy: 16
; WaveLimiterHint : 0
; COMPUTE_PGM_RSRC2:SCRATCH_EN: 0
; COMPUTE_PGM_RSRC2:USER_SGPR: 6
; COMPUTE_PGM_RSRC2:TRAP_HANDLER: 0
; COMPUTE_PGM_RSRC2:TGID_X_EN: 1
; COMPUTE_PGM_RSRC2:TGID_Y_EN: 0
; COMPUTE_PGM_RSRC2:TGID_Z_EN: 0
; COMPUTE_PGM_RSRC2:TIDIG_COMP_CNT: 0
	.section	.text._ZN7rocprim17ROCPRIM_400000_NS6detail17trampoline_kernelINS0_14default_configENS1_22reduce_config_selectorIN6thrust23THRUST_200600_302600_NS5tupleIblNS6_9null_typeES8_S8_S8_S8_S8_S8_S8_EEEEZNS1_11reduce_implILb1ES3_NS6_12zip_iteratorINS7_INS6_11hip_rocprim26transform_input_iterator_tIbNSD_35transform_pair_of_input_iterators_tIbNS6_6detail15normal_iteratorINS6_10device_ptrIKxEEEESL_NS6_8equal_toIxEEEENSG_9not_fun_tINSD_8identityEEEEENSD_19counting_iterator_tIlEES8_S8_S8_S8_S8_S8_S8_S8_EEEEPS9_S9_NSD_9__find_if7functorIS9_EEEE10hipError_tPvRmT1_T2_T3_mT4_P12ihipStream_tbEUlT_E1_NS1_11comp_targetILNS1_3genE8ELNS1_11target_archE1030ELNS1_3gpuE2ELNS1_3repE0EEENS1_30default_config_static_selectorELNS0_4arch9wavefront6targetE0EEEvS14_,"axG",@progbits,_ZN7rocprim17ROCPRIM_400000_NS6detail17trampoline_kernelINS0_14default_configENS1_22reduce_config_selectorIN6thrust23THRUST_200600_302600_NS5tupleIblNS6_9null_typeES8_S8_S8_S8_S8_S8_S8_EEEEZNS1_11reduce_implILb1ES3_NS6_12zip_iteratorINS7_INS6_11hip_rocprim26transform_input_iterator_tIbNSD_35transform_pair_of_input_iterators_tIbNS6_6detail15normal_iteratorINS6_10device_ptrIKxEEEESL_NS6_8equal_toIxEEEENSG_9not_fun_tINSD_8identityEEEEENSD_19counting_iterator_tIlEES8_S8_S8_S8_S8_S8_S8_S8_EEEEPS9_S9_NSD_9__find_if7functorIS9_EEEE10hipError_tPvRmT1_T2_T3_mT4_P12ihipStream_tbEUlT_E1_NS1_11comp_targetILNS1_3genE8ELNS1_11target_archE1030ELNS1_3gpuE2ELNS1_3repE0EEENS1_30default_config_static_selectorELNS0_4arch9wavefront6targetE0EEEvS14_,comdat
	.protected	_ZN7rocprim17ROCPRIM_400000_NS6detail17trampoline_kernelINS0_14default_configENS1_22reduce_config_selectorIN6thrust23THRUST_200600_302600_NS5tupleIblNS6_9null_typeES8_S8_S8_S8_S8_S8_S8_EEEEZNS1_11reduce_implILb1ES3_NS6_12zip_iteratorINS7_INS6_11hip_rocprim26transform_input_iterator_tIbNSD_35transform_pair_of_input_iterators_tIbNS6_6detail15normal_iteratorINS6_10device_ptrIKxEEEESL_NS6_8equal_toIxEEEENSG_9not_fun_tINSD_8identityEEEEENSD_19counting_iterator_tIlEES8_S8_S8_S8_S8_S8_S8_S8_EEEEPS9_S9_NSD_9__find_if7functorIS9_EEEE10hipError_tPvRmT1_T2_T3_mT4_P12ihipStream_tbEUlT_E1_NS1_11comp_targetILNS1_3genE8ELNS1_11target_archE1030ELNS1_3gpuE2ELNS1_3repE0EEENS1_30default_config_static_selectorELNS0_4arch9wavefront6targetE0EEEvS14_ ; -- Begin function _ZN7rocprim17ROCPRIM_400000_NS6detail17trampoline_kernelINS0_14default_configENS1_22reduce_config_selectorIN6thrust23THRUST_200600_302600_NS5tupleIblNS6_9null_typeES8_S8_S8_S8_S8_S8_S8_EEEEZNS1_11reduce_implILb1ES3_NS6_12zip_iteratorINS7_INS6_11hip_rocprim26transform_input_iterator_tIbNSD_35transform_pair_of_input_iterators_tIbNS6_6detail15normal_iteratorINS6_10device_ptrIKxEEEESL_NS6_8equal_toIxEEEENSG_9not_fun_tINSD_8identityEEEEENSD_19counting_iterator_tIlEES8_S8_S8_S8_S8_S8_S8_S8_EEEEPS9_S9_NSD_9__find_if7functorIS9_EEEE10hipError_tPvRmT1_T2_T3_mT4_P12ihipStream_tbEUlT_E1_NS1_11comp_targetILNS1_3genE8ELNS1_11target_archE1030ELNS1_3gpuE2ELNS1_3repE0EEENS1_30default_config_static_selectorELNS0_4arch9wavefront6targetE0EEEvS14_
	.globl	_ZN7rocprim17ROCPRIM_400000_NS6detail17trampoline_kernelINS0_14default_configENS1_22reduce_config_selectorIN6thrust23THRUST_200600_302600_NS5tupleIblNS6_9null_typeES8_S8_S8_S8_S8_S8_S8_EEEEZNS1_11reduce_implILb1ES3_NS6_12zip_iteratorINS7_INS6_11hip_rocprim26transform_input_iterator_tIbNSD_35transform_pair_of_input_iterators_tIbNS6_6detail15normal_iteratorINS6_10device_ptrIKxEEEESL_NS6_8equal_toIxEEEENSG_9not_fun_tINSD_8identityEEEEENSD_19counting_iterator_tIlEES8_S8_S8_S8_S8_S8_S8_S8_EEEEPS9_S9_NSD_9__find_if7functorIS9_EEEE10hipError_tPvRmT1_T2_T3_mT4_P12ihipStream_tbEUlT_E1_NS1_11comp_targetILNS1_3genE8ELNS1_11target_archE1030ELNS1_3gpuE2ELNS1_3repE0EEENS1_30default_config_static_selectorELNS0_4arch9wavefront6targetE0EEEvS14_
	.p2align	8
	.type	_ZN7rocprim17ROCPRIM_400000_NS6detail17trampoline_kernelINS0_14default_configENS1_22reduce_config_selectorIN6thrust23THRUST_200600_302600_NS5tupleIblNS6_9null_typeES8_S8_S8_S8_S8_S8_S8_EEEEZNS1_11reduce_implILb1ES3_NS6_12zip_iteratorINS7_INS6_11hip_rocprim26transform_input_iterator_tIbNSD_35transform_pair_of_input_iterators_tIbNS6_6detail15normal_iteratorINS6_10device_ptrIKxEEEESL_NS6_8equal_toIxEEEENSG_9not_fun_tINSD_8identityEEEEENSD_19counting_iterator_tIlEES8_S8_S8_S8_S8_S8_S8_S8_EEEEPS9_S9_NSD_9__find_if7functorIS9_EEEE10hipError_tPvRmT1_T2_T3_mT4_P12ihipStream_tbEUlT_E1_NS1_11comp_targetILNS1_3genE8ELNS1_11target_archE1030ELNS1_3gpuE2ELNS1_3repE0EEENS1_30default_config_static_selectorELNS0_4arch9wavefront6targetE0EEEvS14_,@function
_ZN7rocprim17ROCPRIM_400000_NS6detail17trampoline_kernelINS0_14default_configENS1_22reduce_config_selectorIN6thrust23THRUST_200600_302600_NS5tupleIblNS6_9null_typeES8_S8_S8_S8_S8_S8_S8_EEEEZNS1_11reduce_implILb1ES3_NS6_12zip_iteratorINS7_INS6_11hip_rocprim26transform_input_iterator_tIbNSD_35transform_pair_of_input_iterators_tIbNS6_6detail15normal_iteratorINS6_10device_ptrIKxEEEESL_NS6_8equal_toIxEEEENSG_9not_fun_tINSD_8identityEEEEENSD_19counting_iterator_tIlEES8_S8_S8_S8_S8_S8_S8_S8_EEEEPS9_S9_NSD_9__find_if7functorIS9_EEEE10hipError_tPvRmT1_T2_T3_mT4_P12ihipStream_tbEUlT_E1_NS1_11comp_targetILNS1_3genE8ELNS1_11target_archE1030ELNS1_3gpuE2ELNS1_3repE0EEENS1_30default_config_static_selectorELNS0_4arch9wavefront6targetE0EEEvS14_: ; @_ZN7rocprim17ROCPRIM_400000_NS6detail17trampoline_kernelINS0_14default_configENS1_22reduce_config_selectorIN6thrust23THRUST_200600_302600_NS5tupleIblNS6_9null_typeES8_S8_S8_S8_S8_S8_S8_EEEEZNS1_11reduce_implILb1ES3_NS6_12zip_iteratorINS7_INS6_11hip_rocprim26transform_input_iterator_tIbNSD_35transform_pair_of_input_iterators_tIbNS6_6detail15normal_iteratorINS6_10device_ptrIKxEEEESL_NS6_8equal_toIxEEEENSG_9not_fun_tINSD_8identityEEEEENSD_19counting_iterator_tIlEES8_S8_S8_S8_S8_S8_S8_S8_EEEEPS9_S9_NSD_9__find_if7functorIS9_EEEE10hipError_tPvRmT1_T2_T3_mT4_P12ihipStream_tbEUlT_E1_NS1_11comp_targetILNS1_3genE8ELNS1_11target_archE1030ELNS1_3gpuE2ELNS1_3repE0EEENS1_30default_config_static_selectorELNS0_4arch9wavefront6targetE0EEEvS14_
; %bb.0:
	s_clause 0x4
	s_load_dword s25, s[4:5], 0x4
	s_load_dwordx4 s[16:19], s[4:5], 0x8
	s_load_dwordx4 s[12:15], s[4:5], 0x28
	s_load_dword s24, s[4:5], 0x40
	s_load_dwordx2 s[20:21], s[4:5], 0x48
	s_waitcnt lgkmcnt(0)
	s_cmp_lt_i32 s25, 4
	s_cbranch_scc1 .LBB242_21
; %bb.1:
	s_cmp_gt_i32 s25, 7
	s_cbranch_scc0 .LBB242_22
; %bb.2:
	s_cmp_eq_u32 s25, 8
	s_mov_b32 s26, 0
	s_cbranch_scc0 .LBB242_23
; %bb.3:
	s_mov_b32 s7, 0
	s_lshl_b32 s8, s6, 11
	s_mov_b32 s9, s7
	s_lshr_b64 s[2:3], s[14:15], 11
	s_lshl_b64 s[0:1], s[8:9], 3
	s_add_u32 s10, s16, s0
	s_addc_u32 s11, s17, s1
	s_add_u32 s22, s18, s0
	s_addc_u32 s23, s19, s1
	;; [unrolled: 2-line block ×3, first 2 shown]
	s_cmp_lg_u64 s[2:3], s[6:7]
	s_cbranch_scc0 .LBB242_44
; %bb.4:
	v_lshlrev_b32_e32 v7, 3, v0
	v_mov_b32_e32 v33, 0x100
	v_mov_b32_e32 v34, 0x300
	;; [unrolled: 1-line block ×3, first 2 shown]
	v_add_co_u32 v29, s0, s10, v7
	v_add_co_ci_u32_e64 v30, null, s11, 0, s0
	v_add_co_u32 v31, s0, s22, v7
	v_add_co_ci_u32_e64 v32, null, s23, 0, s0
	v_add_co_u32 v1, vcc_lo, v29, 0x1000
	v_add_co_ci_u32_e64 v2, null, 0, v30, vcc_lo
	v_add_co_u32 v3, vcc_lo, v31, 0x1000
	v_add_co_ci_u32_e64 v4, null, 0, v32, vcc_lo
	v_add_co_u32 v13, vcc_lo, v29, 0x2000
	s_clause 0x1
	global_load_dwordx2 v[5:6], v7, s[10:11]
	global_load_dwordx2 v[7:8], v7, s[22:23]
	s_clause 0x1
	global_load_dwordx2 v[9:10], v[1:2], off offset:-2048
	global_load_dwordx2 v[1:2], v[1:2], off
	s_clause 0x1
	global_load_dwordx2 v[11:12], v[3:4], off offset:-2048
	global_load_dwordx2 v[3:4], v[3:4], off
	v_add_co_ci_u32_e64 v14, null, 0, v30, vcc_lo
	v_add_co_u32 v15, vcc_lo, v31, 0x2000
	v_add_co_ci_u32_e64 v16, null, 0, v32, vcc_lo
	v_add_co_u32 v19, vcc_lo, v29, 0x3000
	;; [unrolled: 2-line block ×3, first 2 shown]
	s_clause 0x1
	global_load_dwordx2 v[17:18], v[13:14], off offset:-2048
	global_load_dwordx2 v[13:14], v[13:14], off
	v_add_co_ci_u32_e64 v22, null, 0, v32, vcc_lo
	s_clause 0x2
	global_load_dwordx2 v[23:24], v[15:16], off
	global_load_dwordx2 v[15:16], v[15:16], off offset:-2048
	global_load_dwordx2 v[25:26], v[21:22], off offset:-2048
	s_clause 0x1
	global_load_dwordx2 v[27:28], v[19:20], off offset:-2048
	global_load_dwordx2 v[19:20], v[19:20], off
	global_load_dwordx2 v[21:22], v[21:22], off
	v_add_co_u32 v29, vcc_lo, 0x3800, v29
	v_add_co_ci_u32_e64 v30, null, 0, v30, vcc_lo
	v_add_co_u32 v31, vcc_lo, 0x3800, v31
	v_add_co_ci_u32_e64 v32, null, 0, v32, vcc_lo
	global_load_dwordx2 v[29:30], v[29:30], off
	global_load_dwordx2 v[31:32], v[31:32], off
	s_waitcnt vmcnt(14)
	v_cmp_ne_u64_e64 s0, v[5:6], v[7:8]
	s_waitcnt vmcnt(11)
	v_cmp_ne_u64_e32 vcc_lo, v[9:10], v[11:12]
	s_waitcnt vmcnt(10)
	v_cmp_ne_u64_e64 s1, v[1:2], v[3:4]
	v_cndmask_b32_e32 v9, 0x200, v33, vcc_lo
	v_cndmask_b32_e64 v2, v9, 0, s0
	s_or_b32 s0, s0, vcc_lo
	s_waitcnt vmcnt(6)
	v_cmp_ne_u64_e64 s3, v[17:18], v[15:16]
	v_cmp_ne_u64_e64 s2, v[13:14], v[23:24]
	s_waitcnt vmcnt(4)
	v_cmp_ne_u64_e32 vcc_lo, v[27:28], v[25:26]
	s_or_b32 s0, s0, s1
	v_cndmask_b32_e64 v1, 0x400, v34, s3
	s_or_b32 s1, s0, s3
	v_cndmask_b32_e32 v3, 0x600, v35, vcc_lo
	s_or_b32 s1, s1, s2
	v_cndmask_b32_e64 v1, v1, v2, s0
	s_waitcnt vmcnt(2)
	v_cmp_ne_u64_e64 s0, v[19:20], v[21:22]
	v_cndmask_b32_e64 v1, v3, v1, s1
	s_or_b32 s1, s1, vcc_lo
	s_or_b32 vcc_lo, s1, s0
	v_add_co_u32 v2, s0, s28, v0
	v_cndmask_b32_e32 v1, 0x700, v1, vcc_lo
	v_add_co_ci_u32_e64 v3, null, s29, 0, s0
	s_waitcnt vmcnt(0)
	v_cmp_ne_u64_e64 s0, v[29:30], v[31:32]
	v_add_co_u32 v1, s1, v2, v1
	v_add_co_ci_u32_e64 v2, null, 0, v3, s1
	s_or_b32 s0, vcc_lo, s0
	v_mov_b32_dpp v3, v1 quad_perm:[1,0,3,2] row_mask:0xf bank_mask:0xf
	v_cndmask_b32_e64 v5, 0, 1, s0
	v_mov_b32_dpp v4, v2 quad_perm:[1,0,3,2] row_mask:0xf bank_mask:0xf
	v_mov_b32_dpp v6, v5 quad_perm:[1,0,3,2] row_mask:0xf bank_mask:0xf
	v_cmp_lt_i64_e32 vcc_lo, v[1:2], v[3:4]
	v_and_b32_e32 v6, 1, v6
	s_and_b32 vcc_lo, s0, vcc_lo
	v_cndmask_b32_e32 v3, v3, v1, vcc_lo
	v_cndmask_b32_e32 v4, v4, v2, vcc_lo
	v_cmp_eq_u32_e32 vcc_lo, 1, v6
	v_cndmask_b32_e32 v2, v2, v4, vcc_lo
	v_cndmask_b32_e32 v1, v1, v3, vcc_lo
	v_cndmask_b32_e64 v5, v5, 1, vcc_lo
	v_mov_b32_dpp v4, v2 quad_perm:[2,3,0,1] row_mask:0xf bank_mask:0xf
	v_mov_b32_dpp v3, v1 quad_perm:[2,3,0,1] row_mask:0xf bank_mask:0xf
	v_and_b32_e32 v7, 1, v5
	v_mov_b32_dpp v6, v5 quad_perm:[2,3,0,1] row_mask:0xf bank_mask:0xf
	v_cmp_lt_i64_e32 vcc_lo, v[1:2], v[3:4]
	v_cmp_eq_u32_e64 s0, 1, v7
	v_and_b32_e32 v6, 1, v6
	s_and_b32 vcc_lo, s0, vcc_lo
	v_cmp_eq_u32_e64 s1, 1, v6
	v_cndmask_b32_e32 v3, v3, v1, vcc_lo
	v_cndmask_b32_e32 v4, v4, v2, vcc_lo
	v_cndmask_b32_e64 v5, v5, 1, s1
	v_cndmask_b32_e64 v1, v1, v3, s1
	;; [unrolled: 1-line block ×3, first 2 shown]
	v_and_b32_e32 v7, 1, v5
	v_mov_b32_dpp v3, v1 row_ror:4 row_mask:0xf bank_mask:0xf
	v_mov_b32_dpp v4, v2 row_ror:4 row_mask:0xf bank_mask:0xf
	;; [unrolled: 1-line block ×3, first 2 shown]
	v_cmp_eq_u32_e64 s0, 1, v7
	v_cmp_lt_i64_e32 vcc_lo, v[1:2], v[3:4]
	v_and_b32_e32 v6, 1, v6
	s_and_b32 vcc_lo, s0, vcc_lo
	v_cmp_eq_u32_e64 s1, 1, v6
	v_cndmask_b32_e32 v3, v3, v1, vcc_lo
	v_cndmask_b32_e32 v4, v4, v2, vcc_lo
	v_cndmask_b32_e64 v5, v5, 1, s1
	v_cndmask_b32_e64 v1, v1, v3, s1
	;; [unrolled: 1-line block ×3, first 2 shown]
	v_and_b32_e32 v7, 1, v5
	v_mov_b32_dpp v3, v1 row_ror:8 row_mask:0xf bank_mask:0xf
	v_mov_b32_dpp v4, v2 row_ror:8 row_mask:0xf bank_mask:0xf
	;; [unrolled: 1-line block ×3, first 2 shown]
	v_cmp_eq_u32_e64 s0, 1, v7
	v_cmp_lt_i64_e32 vcc_lo, v[1:2], v[3:4]
	v_and_b32_e32 v6, 1, v6
	s_and_b32 vcc_lo, s0, vcc_lo
	v_cmp_eq_u32_e64 s1, 1, v6
	v_cndmask_b32_e32 v3, v3, v1, vcc_lo
	v_cndmask_b32_e32 v4, v4, v2, vcc_lo
	v_cndmask_b32_e64 v5, v5, 1, s1
	v_cndmask_b32_e64 v1, v1, v3, s1
	;; [unrolled: 1-line block ×3, first 2 shown]
	ds_swizzle_b32 v6, v5 offset:swizzle(BROADCAST,32,15)
	ds_swizzle_b32 v3, v1 offset:swizzle(BROADCAST,32,15)
	;; [unrolled: 1-line block ×3, first 2 shown]
	v_and_b32_e32 v7, 1, v5
	v_cmp_eq_u32_e64 s0, 1, v7
	v_mbcnt_lo_u32_b32 v7, -1, 0
	s_waitcnt lgkmcnt(2)
	v_and_b32_e32 v6, 1, v6
	s_waitcnt lgkmcnt(0)
	v_cmp_lt_i64_e32 vcc_lo, v[1:2], v[3:4]
	v_cmp_eq_u32_e64 s1, 1, v6
	v_mov_b32_e32 v6, 0
	s_and_b32 vcc_lo, s0, vcc_lo
	s_mov_b32 s0, exec_lo
	v_cndmask_b32_e32 v3, v3, v1, vcc_lo
	v_cndmask_b32_e32 v4, v4, v2, vcc_lo
	v_cndmask_b32_e64 v5, v5, 1, s1
	v_cndmask_b32_e64 v1, v1, v3, s1
	;; [unrolled: 1-line block ×3, first 2 shown]
	ds_bpermute_b32 v17, v6, v5 offset:124
	ds_bpermute_b32 v1, v6, v1 offset:124
	;; [unrolled: 1-line block ×3, first 2 shown]
	v_cmpx_eq_u32_e32 0, v7
	s_cbranch_execz .LBB242_6
; %bb.5:
	v_lshrrev_b32_e32 v3, 1, v0
	v_and_b32_e32 v3, 0x70, v3
	s_waitcnt lgkmcnt(2)
	ds_write_b8 v3, v17 offset:384
	s_waitcnt lgkmcnt(1)
	ds_write_b64 v3, v[1:2] offset:392
.LBB242_6:
	s_or_b32 exec_lo, exec_lo, s0
	s_mov_b32 s0, exec_lo
	s_waitcnt lgkmcnt(0)
	s_barrier
	buffer_gl0_inv
	v_cmpx_gt_u32_e32 32, v0
	s_cbranch_execz .LBB242_20
; %bb.7:
	v_and_b32_e32 v8, 7, v7
	v_lshlrev_b32_e32 v1, 4, v8
	v_cmp_ne_u32_e32 vcc_lo, 7, v8
	ds_read_u8 v10, v1 offset:384
	ds_read_b64 v[3:4], v1 offset:392
	v_add_co_ci_u32_e64 v2, null, 0, v7, vcc_lo
	v_lshlrev_b32_e32 v2, 2, v2
	s_waitcnt lgkmcnt(1)
	v_and_b32_e32 v1, 0xff, v10
	s_waitcnt lgkmcnt(0)
	ds_bpermute_b32 v5, v2, v3
	ds_bpermute_b32 v6, v2, v4
	;; [unrolled: 1-line block ×3, first 2 shown]
	s_waitcnt lgkmcnt(0)
	v_and_b32_e32 v1, v10, v11
	v_and_b32_e32 v1, 1, v1
	v_cmp_eq_u32_e32 vcc_lo, 1, v1
                                        ; implicit-def: $vgpr1_vgpr2
	s_and_saveexec_b32 s1, vcc_lo
	s_xor_b32 s1, exec_lo, s1
; %bb.8:
	v_cmp_lt_i64_e32 vcc_lo, v[5:6], v[3:4]
                                        ; implicit-def: $vgpr10
                                        ; implicit-def: $vgpr11
	v_cndmask_b32_e32 v2, v4, v6, vcc_lo
	v_cndmask_b32_e32 v1, v3, v5, vcc_lo
                                        ; implicit-def: $vgpr5_vgpr6
                                        ; implicit-def: $vgpr3_vgpr4
; %bb.9:
	s_or_saveexec_b32 s1, s1
	v_mov_b32_e32 v9, 1
	s_xor_b32 exec_lo, exec_lo, s1
; %bb.10:
	v_and_b32_e32 v1, 1, v10
	v_and_b32_e32 v9, 0xff, v11
	v_cmp_eq_u32_e32 vcc_lo, 1, v1
	v_cndmask_b32_e32 v2, v6, v4, vcc_lo
	v_cndmask_b32_e32 v1, v5, v3, vcc_lo
	v_cndmask_b32_e64 v9, v9, 1, vcc_lo
; %bb.11:
	s_or_b32 exec_lo, exec_lo, s1
	v_cmp_gt_u32_e32 vcc_lo, 6, v8
	v_cndmask_b32_e64 v3, 0, 2, vcc_lo
	v_add_lshl_u32 v3, v3, v7, 2
	ds_bpermute_b32 v8, v3, v9
	ds_bpermute_b32 v5, v3, v1
	;; [unrolled: 1-line block ×3, first 2 shown]
	s_waitcnt lgkmcnt(2)
	v_and_b32_e32 v3, v9, v8
	v_and_b32_e32 v3, 1, v3
	v_cmp_eq_u32_e32 vcc_lo, 1, v3
                                        ; implicit-def: $vgpr3_vgpr4
	s_and_saveexec_b32 s1, vcc_lo
	s_xor_b32 s1, exec_lo, s1
	s_cbranch_execz .LBB242_13
; %bb.12:
	s_waitcnt lgkmcnt(0)
	v_cmp_lt_i64_e32 vcc_lo, v[5:6], v[1:2]
                                        ; implicit-def: $vgpr9
                                        ; implicit-def: $vgpr8
	v_cndmask_b32_e32 v4, v2, v6, vcc_lo
	v_cndmask_b32_e32 v3, v1, v5, vcc_lo
                                        ; implicit-def: $vgpr5_vgpr6
                                        ; implicit-def: $vgpr1_vgpr2
.LBB242_13:
	s_or_saveexec_b32 s1, s1
	v_lshlrev_b32_e32 v10, 2, v7
	v_mov_b32_e32 v7, 1
	s_xor_b32 exec_lo, exec_lo, s1
	s_cbranch_execz .LBB242_15
; %bb.14:
	v_and_b32_e32 v3, 1, v9
	v_and_b32_e32 v7, 0xff, v8
	v_cmp_eq_u32_e32 vcc_lo, 1, v3
	s_waitcnt lgkmcnt(0)
	v_cndmask_b32_e32 v4, v6, v2, vcc_lo
	v_cndmask_b32_e32 v3, v5, v1, vcc_lo
	v_cndmask_b32_e64 v7, v7, 1, vcc_lo
.LBB242_15:
	s_or_b32 exec_lo, exec_lo, s1
	v_or_b32_e32 v1, 16, v10
	ds_bpermute_b32 v8, v1, v7
	s_waitcnt lgkmcnt(2)
	ds_bpermute_b32 v5, v1, v3
	s_waitcnt lgkmcnt(2)
	;; [unrolled: 2-line block ×3, first 2 shown]
	v_and_b32_e32 v1, v7, v8
	v_and_b32_e32 v1, 1, v1
	v_cmp_eq_u32_e32 vcc_lo, 1, v1
                                        ; implicit-def: $vgpr1_vgpr2
	s_and_saveexec_b32 s1, vcc_lo
	s_xor_b32 s1, exec_lo, s1
	s_cbranch_execz .LBB242_17
; %bb.16:
	s_waitcnt lgkmcnt(0)
	v_cmp_lt_i64_e32 vcc_lo, v[5:6], v[3:4]
                                        ; implicit-def: $vgpr7
                                        ; implicit-def: $vgpr8
	v_cndmask_b32_e32 v2, v4, v6, vcc_lo
	v_cndmask_b32_e32 v1, v3, v5, vcc_lo
                                        ; implicit-def: $vgpr5_vgpr6
                                        ; implicit-def: $vgpr3_vgpr4
.LBB242_17:
	s_or_saveexec_b32 s1, s1
	v_mov_b32_e32 v17, 1
	s_xor_b32 exec_lo, exec_lo, s1
	s_cbranch_execz .LBB242_19
; %bb.18:
	v_and_b32_e32 v1, 1, v7
	v_cmp_eq_u32_e32 vcc_lo, 1, v1
	s_waitcnt lgkmcnt(0)
	v_cndmask_b32_e32 v2, v6, v4, vcc_lo
	v_cndmask_b32_e32 v1, v5, v3, vcc_lo
	v_cndmask_b32_e64 v17, v8, 1, vcc_lo
.LBB242_19:
	s_or_b32 exec_lo, exec_lo, s1
.LBB242_20:
	s_or_b32 exec_lo, exec_lo, s0
	s_branch .LBB242_167
.LBB242_21:
	s_mov_b32 s22, 0
                                        ; implicit-def: $vgpr3_vgpr4
                                        ; implicit-def: $vgpr5
                                        ; implicit-def: $vgpr1_vgpr2
	s_cbranch_execnz .LBB242_247
	s_branch .LBB242_356
.LBB242_22:
	s_mov_b32 s26, -1
.LBB242_23:
	s_mov_b32 s22, 0
                                        ; implicit-def: $vgpr3_vgpr4
                                        ; implicit-def: $vgpr5
                                        ; implicit-def: $vgpr1_vgpr2
	s_and_b32 vcc_lo, exec_lo, s26
	s_cbranch_vccz .LBB242_172
.LBB242_24:
	s_cmp_eq_u32 s25, 4
	s_cbranch_scc0 .LBB242_43
; %bb.25:
	s_mov_b32 s7, 0
	s_lshl_b32 s10, s6, 10
	s_mov_b32 s11, s7
	s_lshr_b64 s[26:27], s[14:15], 10
	s_lshl_b64 s[0:1], s[10:11], 3
	s_add_u32 s2, s16, s0
	s_addc_u32 s3, s17, s1
	s_add_u32 s8, s18, s0
	s_addc_u32 s9, s19, s1
	;; [unrolled: 2-line block ×3, first 2 shown]
	s_cmp_lg_u64 s[26:27], s[6:7]
	s_cbranch_scc0 .LBB242_67
; %bb.26:
	v_lshlrev_b32_e32 v11, 3, v0
	v_mov_b32_e32 v17, 0x100
	v_add_co_u32 v13, s0, s2, v11
	v_add_co_ci_u32_e64 v14, null, s3, 0, s0
	v_add_co_u32 v15, s0, s8, v11
	v_add_co_ci_u32_e64 v16, null, s9, 0, s0
	v_add_co_u32 v1, vcc_lo, v13, 0x1000
	v_add_co_ci_u32_e64 v2, null, 0, v14, vcc_lo
	s_waitcnt lgkmcnt(1)
	v_add_co_u32 v3, vcc_lo, v15, 0x1000
	s_waitcnt lgkmcnt(0)
	v_add_co_ci_u32_e64 v4, null, 0, v16, vcc_lo
	global_load_dwordx2 v[5:6], v[1:2], off offset:-2048
	global_load_dwordx2 v[7:8], v[3:4], off offset:-2048
	s_clause 0x1
	global_load_dwordx2 v[9:10], v11, s[2:3]
	global_load_dwordx2 v[11:12], v11, s[8:9]
	global_load_dwordx2 v[1:2], v[1:2], off
	global_load_dwordx2 v[3:4], v[3:4], off
	v_add_co_u32 v13, vcc_lo, 0x1800, v13
	v_add_co_ci_u32_e64 v14, null, 0, v14, vcc_lo
	v_add_co_u32 v15, vcc_lo, 0x1800, v15
	v_add_co_ci_u32_e64 v16, null, 0, v16, vcc_lo
	global_load_dwordx2 v[13:14], v[13:14], off
	global_load_dwordx2 v[15:16], v[15:16], off
	s_waitcnt vmcnt(6)
	v_cmp_ne_u64_e32 vcc_lo, v[5:6], v[7:8]
	s_waitcnt vmcnt(4)
	v_cmp_ne_u64_e64 s0, v[9:10], v[11:12]
	s_waitcnt vmcnt(2)
	v_cmp_ne_u64_e64 s1, v[1:2], v[3:4]
	v_cndmask_b32_e32 v5, 0x200, v17, vcc_lo
	v_cndmask_b32_e64 v1, v5, 0, s0
	s_or_b32 s0, s0, vcc_lo
	s_or_b32 vcc_lo, s0, s1
	v_add_co_u32 v2, s0, s11, v0
	v_cndmask_b32_e32 v1, 0x300, v1, vcc_lo
	v_add_co_ci_u32_e64 v3, null, s23, 0, s0
	s_waitcnt vmcnt(0)
	v_cmp_ne_u64_e64 s0, v[13:14], v[15:16]
	v_add_co_u32 v1, s1, v2, v1
	v_add_co_ci_u32_e64 v2, null, 0, v3, s1
	s_or_b32 s0, vcc_lo, s0
	v_mov_b32_dpp v3, v1 quad_perm:[1,0,3,2] row_mask:0xf bank_mask:0xf
	v_cndmask_b32_e64 v5, 0, 1, s0
	v_mov_b32_dpp v4, v2 quad_perm:[1,0,3,2] row_mask:0xf bank_mask:0xf
	v_mov_b32_dpp v6, v5 quad_perm:[1,0,3,2] row_mask:0xf bank_mask:0xf
	v_cmp_lt_i64_e32 vcc_lo, v[1:2], v[3:4]
	v_and_b32_e32 v6, 1, v6
	s_and_b32 vcc_lo, s0, vcc_lo
	v_cndmask_b32_e32 v3, v3, v1, vcc_lo
	v_cndmask_b32_e32 v4, v4, v2, vcc_lo
	v_cmp_eq_u32_e32 vcc_lo, 1, v6
	v_cndmask_b32_e32 v2, v2, v4, vcc_lo
	v_cndmask_b32_e32 v1, v1, v3, vcc_lo
	v_cndmask_b32_e64 v5, v5, 1, vcc_lo
	v_mov_b32_dpp v4, v2 quad_perm:[2,3,0,1] row_mask:0xf bank_mask:0xf
	v_mov_b32_dpp v3, v1 quad_perm:[2,3,0,1] row_mask:0xf bank_mask:0xf
	v_and_b32_e32 v7, 1, v5
	v_mov_b32_dpp v6, v5 quad_perm:[2,3,0,1] row_mask:0xf bank_mask:0xf
	v_cmp_lt_i64_e32 vcc_lo, v[1:2], v[3:4]
	v_cmp_eq_u32_e64 s0, 1, v7
	v_and_b32_e32 v6, 1, v6
	s_and_b32 vcc_lo, s0, vcc_lo
	v_cmp_eq_u32_e64 s1, 1, v6
	v_cndmask_b32_e32 v3, v3, v1, vcc_lo
	v_cndmask_b32_e32 v4, v4, v2, vcc_lo
	v_cndmask_b32_e64 v5, v5, 1, s1
	v_cndmask_b32_e64 v1, v1, v3, s1
	;; [unrolled: 1-line block ×3, first 2 shown]
	v_and_b32_e32 v7, 1, v5
	v_mov_b32_dpp v3, v1 row_ror:4 row_mask:0xf bank_mask:0xf
	v_mov_b32_dpp v4, v2 row_ror:4 row_mask:0xf bank_mask:0xf
	;; [unrolled: 1-line block ×3, first 2 shown]
	v_cmp_eq_u32_e64 s0, 1, v7
	v_cmp_lt_i64_e32 vcc_lo, v[1:2], v[3:4]
	v_and_b32_e32 v6, 1, v6
	s_and_b32 vcc_lo, s0, vcc_lo
	v_cmp_eq_u32_e64 s1, 1, v6
	v_cndmask_b32_e32 v3, v3, v1, vcc_lo
	v_cndmask_b32_e32 v4, v4, v2, vcc_lo
	v_cndmask_b32_e64 v5, v5, 1, s1
	v_cndmask_b32_e64 v1, v1, v3, s1
	;; [unrolled: 1-line block ×3, first 2 shown]
	v_and_b32_e32 v7, 1, v5
	v_mov_b32_dpp v3, v1 row_ror:8 row_mask:0xf bank_mask:0xf
	v_mov_b32_dpp v4, v2 row_ror:8 row_mask:0xf bank_mask:0xf
	;; [unrolled: 1-line block ×3, first 2 shown]
	v_cmp_eq_u32_e64 s0, 1, v7
	v_cmp_lt_i64_e32 vcc_lo, v[1:2], v[3:4]
	v_and_b32_e32 v6, 1, v6
	s_and_b32 vcc_lo, s0, vcc_lo
	v_cmp_eq_u32_e64 s1, 1, v6
	v_cndmask_b32_e32 v3, v3, v1, vcc_lo
	v_cndmask_b32_e32 v4, v4, v2, vcc_lo
	v_cndmask_b32_e64 v5, v5, 1, s1
	v_cndmask_b32_e64 v1, v1, v3, s1
	;; [unrolled: 1-line block ×3, first 2 shown]
	ds_swizzle_b32 v6, v5 offset:swizzle(BROADCAST,32,15)
	ds_swizzle_b32 v3, v1 offset:swizzle(BROADCAST,32,15)
	;; [unrolled: 1-line block ×3, first 2 shown]
	v_and_b32_e32 v7, 1, v5
	v_cmp_eq_u32_e64 s0, 1, v7
	v_mbcnt_lo_u32_b32 v7, -1, 0
	s_waitcnt lgkmcnt(2)
	v_and_b32_e32 v6, 1, v6
	s_waitcnt lgkmcnt(0)
	v_cmp_lt_i64_e32 vcc_lo, v[1:2], v[3:4]
	v_cmp_eq_u32_e64 s1, 1, v6
	v_mov_b32_e32 v6, 0
	s_and_b32 vcc_lo, s0, vcc_lo
	s_mov_b32 s0, exec_lo
	v_cndmask_b32_e32 v3, v3, v1, vcc_lo
	v_cndmask_b32_e32 v4, v4, v2, vcc_lo
	v_cndmask_b32_e64 v5, v5, 1, s1
	v_cndmask_b32_e64 v1, v1, v3, s1
	;; [unrolled: 1-line block ×3, first 2 shown]
	ds_bpermute_b32 v9, v6, v5 offset:124
	ds_bpermute_b32 v1, v6, v1 offset:124
	ds_bpermute_b32 v2, v6, v2 offset:124
	v_cmpx_eq_u32_e32 0, v7
	s_cbranch_execz .LBB242_28
; %bb.27:
	v_lshrrev_b32_e32 v3, 1, v0
	v_and_b32_e32 v3, 0x70, v3
	s_waitcnt lgkmcnt(2)
	ds_write_b8 v3, v9 offset:256
	s_waitcnt lgkmcnt(1)
	ds_write_b64 v3, v[1:2] offset:264
.LBB242_28:
	s_or_b32 exec_lo, exec_lo, s0
	s_mov_b32 s0, exec_lo
	s_waitcnt lgkmcnt(0)
	s_barrier
	buffer_gl0_inv
	v_cmpx_gt_u32_e32 32, v0
	s_cbranch_execz .LBB242_42
; %bb.29:
	v_and_b32_e32 v8, 7, v7
	v_lshlrev_b32_e32 v1, 4, v8
	v_cmp_ne_u32_e32 vcc_lo, 7, v8
	ds_read_u8 v10, v1 offset:256
	ds_read_b64 v[3:4], v1 offset:264
	v_add_co_ci_u32_e64 v2, null, 0, v7, vcc_lo
	v_lshlrev_b32_e32 v2, 2, v2
	s_waitcnt lgkmcnt(1)
	v_and_b32_e32 v1, 0xff, v10
	s_waitcnt lgkmcnt(0)
	ds_bpermute_b32 v5, v2, v3
	ds_bpermute_b32 v6, v2, v4
	;; [unrolled: 1-line block ×3, first 2 shown]
	s_waitcnt lgkmcnt(0)
	v_and_b32_e32 v1, v10, v11
	v_and_b32_e32 v1, 1, v1
	v_cmp_eq_u32_e32 vcc_lo, 1, v1
                                        ; implicit-def: $vgpr1_vgpr2
	s_and_saveexec_b32 s1, vcc_lo
	s_xor_b32 s1, exec_lo, s1
; %bb.30:
	v_cmp_lt_i64_e32 vcc_lo, v[5:6], v[3:4]
                                        ; implicit-def: $vgpr10
                                        ; implicit-def: $vgpr11
	v_cndmask_b32_e32 v2, v4, v6, vcc_lo
	v_cndmask_b32_e32 v1, v3, v5, vcc_lo
                                        ; implicit-def: $vgpr5_vgpr6
                                        ; implicit-def: $vgpr3_vgpr4
; %bb.31:
	s_or_saveexec_b32 s1, s1
	v_mov_b32_e32 v9, 1
	s_xor_b32 exec_lo, exec_lo, s1
; %bb.32:
	v_and_b32_e32 v1, 1, v10
	v_and_b32_e32 v9, 0xff, v11
	v_cmp_eq_u32_e32 vcc_lo, 1, v1
	v_cndmask_b32_e32 v2, v6, v4, vcc_lo
	v_cndmask_b32_e32 v1, v5, v3, vcc_lo
	v_cndmask_b32_e64 v9, v9, 1, vcc_lo
; %bb.33:
	s_or_b32 exec_lo, exec_lo, s1
	v_cmp_gt_u32_e32 vcc_lo, 6, v8
	v_cndmask_b32_e64 v3, 0, 2, vcc_lo
	v_add_lshl_u32 v3, v3, v7, 2
	ds_bpermute_b32 v8, v3, v9
	ds_bpermute_b32 v5, v3, v1
	;; [unrolled: 1-line block ×3, first 2 shown]
	s_waitcnt lgkmcnt(2)
	v_and_b32_e32 v3, v9, v8
	v_and_b32_e32 v3, 1, v3
	v_cmp_eq_u32_e32 vcc_lo, 1, v3
                                        ; implicit-def: $vgpr3_vgpr4
	s_and_saveexec_b32 s1, vcc_lo
	s_xor_b32 s1, exec_lo, s1
	s_cbranch_execz .LBB242_35
; %bb.34:
	s_waitcnt lgkmcnt(0)
	v_cmp_lt_i64_e32 vcc_lo, v[5:6], v[1:2]
                                        ; implicit-def: $vgpr9
                                        ; implicit-def: $vgpr8
	v_cndmask_b32_e32 v4, v2, v6, vcc_lo
	v_cndmask_b32_e32 v3, v1, v5, vcc_lo
                                        ; implicit-def: $vgpr5_vgpr6
                                        ; implicit-def: $vgpr1_vgpr2
.LBB242_35:
	s_or_saveexec_b32 s1, s1
	v_lshlrev_b32_e32 v10, 2, v7
	v_mov_b32_e32 v7, 1
	s_xor_b32 exec_lo, exec_lo, s1
	s_cbranch_execz .LBB242_37
; %bb.36:
	v_and_b32_e32 v3, 1, v9
	v_and_b32_e32 v7, 0xff, v8
	v_cmp_eq_u32_e32 vcc_lo, 1, v3
	s_waitcnt lgkmcnt(0)
	v_cndmask_b32_e32 v4, v6, v2, vcc_lo
	v_cndmask_b32_e32 v3, v5, v1, vcc_lo
	v_cndmask_b32_e64 v7, v7, 1, vcc_lo
.LBB242_37:
	s_or_b32 exec_lo, exec_lo, s1
	v_or_b32_e32 v1, 16, v10
	ds_bpermute_b32 v8, v1, v7
	s_waitcnt lgkmcnt(2)
	ds_bpermute_b32 v5, v1, v3
	s_waitcnt lgkmcnt(2)
	;; [unrolled: 2-line block ×3, first 2 shown]
	v_and_b32_e32 v1, v7, v8
	v_and_b32_e32 v1, 1, v1
	v_cmp_eq_u32_e32 vcc_lo, 1, v1
                                        ; implicit-def: $vgpr1_vgpr2
	s_and_saveexec_b32 s1, vcc_lo
	s_xor_b32 s1, exec_lo, s1
	s_cbranch_execz .LBB242_39
; %bb.38:
	s_waitcnt lgkmcnt(0)
	v_cmp_lt_i64_e32 vcc_lo, v[5:6], v[3:4]
                                        ; implicit-def: $vgpr7
                                        ; implicit-def: $vgpr8
	v_cndmask_b32_e32 v2, v4, v6, vcc_lo
	v_cndmask_b32_e32 v1, v3, v5, vcc_lo
                                        ; implicit-def: $vgpr5_vgpr6
                                        ; implicit-def: $vgpr3_vgpr4
.LBB242_39:
	s_or_saveexec_b32 s1, s1
	v_mov_b32_e32 v9, 1
	s_xor_b32 exec_lo, exec_lo, s1
	s_cbranch_execz .LBB242_41
; %bb.40:
	v_and_b32_e32 v1, 1, v7
	v_cmp_eq_u32_e32 vcc_lo, 1, v1
	s_waitcnt lgkmcnt(0)
	v_cndmask_b32_e32 v2, v6, v4, vcc_lo
	v_cndmask_b32_e32 v1, v5, v3, vcc_lo
	v_cndmask_b32_e64 v9, v8, 1, vcc_lo
.LBB242_41:
	s_or_b32 exec_lo, exec_lo, s1
.LBB242_42:
	s_or_b32 exec_lo, exec_lo, s0
	s_branch .LBB242_242
.LBB242_43:
                                        ; implicit-def: $vgpr3_vgpr4
                                        ; implicit-def: $vgpr5
                                        ; implicit-def: $vgpr1_vgpr2
	s_branch .LBB242_356
.LBB242_44:
                                        ; implicit-def: $vgpr1_vgpr2
                                        ; implicit-def: $vgpr17
	s_cbranch_execz .LBB242_167
; %bb.45:
	v_mov_b32_e32 v15, 0
	v_mov_b32_e32 v1, 0
	;; [unrolled: 1-line block ×6, first 2 shown]
	s_sub_i32 s27, s14, s8
	s_mov_b32 s0, exec_lo
	v_cmpx_gt_u32_e64 s27, v0
	s_cbranch_execz .LBB242_47
; %bb.46:
	v_lshlrev_b32_e32 v1, 3, v0
	global_load_dwordx2 v[3:4], v1, s[10:11]
	s_waitcnt lgkmcnt(0)
	global_load_dwordx2 v[5:6], v1, s[22:23]
	v_add_co_u32 v1, s1, s28, v0
	v_add_co_ci_u32_e64 v2, null, s29, 0, s1
	s_waitcnt vmcnt(0)
	v_cmp_ne_u64_e32 vcc_lo, v[3:4], v[5:6]
	v_cndmask_b32_e64 v17, 0, 1, vcc_lo
.LBB242_47:
	s_or_b32 exec_lo, exec_lo, s0
	v_or_b32_e32 v3, 0x100, v0
	v_cmp_gt_u32_e64 s9, s27, v3
	s_and_saveexec_b32 s0, s9
	s_cbranch_execz .LBB242_49
; %bb.48:
	s_waitcnt lgkmcnt(0)
	v_lshlrev_b32_e32 v6, 3, v3
	v_add_co_u32 v15, s1, s28, v3
	v_add_co_ci_u32_e64 v16, null, s29, 0, s1
	s_clause 0x1
	global_load_dwordx2 v[4:5], v6, s[10:11]
	global_load_dwordx2 v[6:7], v6, s[22:23]
	s_waitcnt vmcnt(0)
	v_cmp_ne_u64_e32 vcc_lo, v[4:5], v[6:7]
	v_cndmask_b32_e64 v24, 0, 1, vcc_lo
.LBB242_49:
	s_or_b32 exec_lo, exec_lo, s0
	v_or_b32_e32 v3, 0x200, v0
	v_mov_b32_e32 v11, 0
	v_mov_b32_e32 v13, 0
	;; [unrolled: 1-line block ×5, first 2 shown]
	v_cmp_gt_u32_e64 s8, s27, v3
	v_mov_b32_e32 v23, 0
	s_and_saveexec_b32 s0, s8
	s_cbranch_execz .LBB242_51
; %bb.50:
	s_waitcnt lgkmcnt(0)
	v_lshlrev_b32_e32 v6, 3, v3
	v_add_co_u32 v13, s1, s28, v3
	v_add_co_ci_u32_e64 v14, null, s29, 0, s1
	s_clause 0x1
	global_load_dwordx2 v[4:5], v6, s[10:11]
	global_load_dwordx2 v[6:7], v6, s[22:23]
	s_waitcnt vmcnt(0)
	v_cmp_ne_u64_e32 vcc_lo, v[4:5], v[6:7]
	v_cndmask_b32_e64 v23, 0, 1, vcc_lo
.LBB242_51:
	s_or_b32 exec_lo, exec_lo, s0
	v_or_b32_e32 v3, 0x300, v0
	v_cmp_gt_u32_e64 s3, s27, v3
	s_and_saveexec_b32 s0, s3
	s_cbranch_execz .LBB242_53
; %bb.52:
	s_waitcnt lgkmcnt(0)
	v_lshlrev_b32_e32 v6, 3, v3
	v_add_co_u32 v11, s1, s28, v3
	v_add_co_ci_u32_e64 v12, null, s29, 0, s1
	s_clause 0x1
	global_load_dwordx2 v[4:5], v6, s[10:11]
	global_load_dwordx2 v[6:7], v6, s[22:23]
	s_waitcnt vmcnt(0)
	v_cmp_ne_u64_e32 vcc_lo, v[4:5], v[6:7]
	v_cndmask_b32_e64 v22, 0, 1, vcc_lo
.LBB242_53:
	s_or_b32 exec_lo, exec_lo, s0
	v_or_b32_e32 v3, 0x400, v0
	v_mov_b32_e32 v7, 0
	v_mov_b32_e32 v9, 0
	v_mov_b32_e32 v20, 0
	v_mov_b32_e32 v8, 0
	v_mov_b32_e32 v10, 0
	v_cmp_gt_u32_e64 s2, s27, v3
	v_mov_b32_e32 v21, 0
	s_and_saveexec_b32 s0, s2
	s_cbranch_execz .LBB242_55
; %bb.54:
	s_waitcnt lgkmcnt(0)
	v_lshlrev_b32_e32 v6, 3, v3
	v_add_co_u32 v9, s1, s28, v3
	v_add_co_ci_u32_e64 v10, null, s29, 0, s1
	s_clause 0x1
	global_load_dwordx2 v[4:5], v6, s[10:11]
	global_load_dwordx2 v[18:19], v6, s[22:23]
	s_waitcnt vmcnt(0)
	v_cmp_ne_u64_e32 vcc_lo, v[4:5], v[18:19]
	v_cndmask_b32_e64 v21, 0, 1, vcc_lo
.LBB242_55:
	s_or_b32 exec_lo, exec_lo, s0
	v_or_b32_e32 v3, 0x500, v0
	v_cmp_gt_u32_e64 s1, s27, v3
	s_and_saveexec_b32 s0, s1
	s_cbranch_execz .LBB242_57
; %bb.56:
	s_waitcnt lgkmcnt(0)
	v_lshlrev_b32_e32 v6, 3, v3
	v_add_co_u32 v7, s30, s28, v3
	v_add_co_ci_u32_e64 v8, null, s29, 0, s30
	s_clause 0x1
	global_load_dwordx2 v[4:5], v6, s[10:11]
	global_load_dwordx2 v[18:19], v6, s[22:23]
	s_waitcnt vmcnt(0)
	v_cmp_ne_u64_e32 vcc_lo, v[4:5], v[18:19]
	v_cndmask_b32_e64 v20, 0, 1, vcc_lo
.LBB242_57:
	s_or_b32 exec_lo, exec_lo, s0
	v_or_b32_e32 v25, 0x600, v0
	v_mov_b32_e32 v3, 0
	s_waitcnt lgkmcnt(0)
	v_mov_b32_e32 v5, 0
	v_mov_b32_e32 v4, 0
	;; [unrolled: 1-line block ×4, first 2 shown]
	v_cmp_gt_u32_e64 s0, s27, v25
	v_mov_b32_e32 v19, 0
	s_and_saveexec_b32 s30, s0
	s_cbranch_execz .LBB242_59
; %bb.58:
	v_lshlrev_b32_e32 v5, 3, v25
	s_clause 0x1
	global_load_dwordx2 v[26:27], v5, s[10:11]
	global_load_dwordx2 v[28:29], v5, s[22:23]
	v_add_co_u32 v5, s31, s28, v25
	v_add_co_ci_u32_e64 v6, null, s29, 0, s31
	s_waitcnt vmcnt(0)
	v_cmp_ne_u64_e32 vcc_lo, v[26:27], v[28:29]
	v_cndmask_b32_e64 v19, 0, 1, vcc_lo
.LBB242_59:
	s_or_b32 exec_lo, exec_lo, s30
	v_or_b32_e32 v25, 0x700, v0
	v_cmp_gt_u32_e32 vcc_lo, s27, v25
	s_and_saveexec_b32 s30, vcc_lo
	s_cbranch_execnz .LBB242_78
; %bb.60:
	s_or_b32 exec_lo, exec_lo, s30
	s_and_saveexec_b32 s11, s9
	s_cbranch_execnz .LBB242_79
.LBB242_61:
	s_or_b32 exec_lo, exec_lo, s11
	s_and_saveexec_b32 s10, s8
	s_cbranch_execnz .LBB242_84
.LBB242_62:
	s_or_b32 exec_lo, exec_lo, s10
	s_and_saveexec_b32 s9, s3
	s_cbranch_execnz .LBB242_89
.LBB242_63:
	s_or_b32 exec_lo, exec_lo, s9
	s_and_saveexec_b32 s8, s2
	s_cbranch_execnz .LBB242_94
.LBB242_64:
	s_or_b32 exec_lo, exec_lo, s8
	s_and_saveexec_b32 s3, s1
	s_cbranch_execnz .LBB242_99
.LBB242_65:
	s_or_b32 exec_lo, exec_lo, s3
	s_and_saveexec_b32 s2, s0
	s_cbranch_execnz .LBB242_104
.LBB242_66:
	s_or_b32 exec_lo, exec_lo, s2
	s_and_saveexec_b32 s1, vcc_lo
	s_cbranch_execnz .LBB242_109
	s_branch .LBB242_114
.LBB242_67:
                                        ; implicit-def: $vgpr1_vgpr2
                                        ; implicit-def: $vgpr9
	s_cbranch_execz .LBB242_242
; %bb.68:
	v_mov_b32_e32 v7, 0
	v_mov_b32_e32 v1, 0
	;; [unrolled: 1-line block ×6, first 2 shown]
	s_sub_i32 s10, s14, s10
	s_mov_b32 s0, exec_lo
	v_cmpx_gt_u32_e64 s10, v0
	s_cbranch_execz .LBB242_70
; %bb.69:
	v_lshlrev_b32_e32 v1, 3, v0
	s_waitcnt lgkmcnt(0)
	s_clause 0x1
	global_load_dwordx2 v[3:4], v1, s[2:3]
	global_load_dwordx2 v[5:6], v1, s[8:9]
	v_add_co_u32 v1, s1, s11, v0
	v_add_co_ci_u32_e64 v2, null, s23, 0, s1
	s_waitcnt vmcnt(0)
	v_cmp_ne_u64_e32 vcc_lo, v[3:4], v[5:6]
	v_cndmask_b32_e64 v9, 0, 1, vcc_lo
.LBB242_70:
	s_or_b32 exec_lo, exec_lo, s0
	s_waitcnt lgkmcnt(1)
	v_or_b32_e32 v3, 0x100, v0
	v_cmp_gt_u32_e64 s1, s10, v3
	s_and_saveexec_b32 s0, s1
	s_cbranch_execz .LBB242_72
; %bb.71:
	s_waitcnt lgkmcnt(0)
	v_lshlrev_b32_e32 v6, 3, v3
	v_add_co_u32 v7, s26, s11, v3
	v_add_co_ci_u32_e64 v8, null, s23, 0, s26
	s_clause 0x1
	global_load_dwordx2 v[4:5], v6, s[2:3]
	global_load_dwordx2 v[10:11], v6, s[8:9]
	s_waitcnt vmcnt(0)
	v_cmp_ne_u64_e32 vcc_lo, v[4:5], v[10:11]
	v_cndmask_b32_e64 v12, 0, 1, vcc_lo
.LBB242_72:
	s_or_b32 exec_lo, exec_lo, s0
	v_or_b32_e32 v13, 0x200, v0
	s_waitcnt lgkmcnt(0)
	v_mov_b32_e32 v3, 0
	v_mov_b32_e32 v5, 0
	;; [unrolled: 1-line block ×5, first 2 shown]
	v_cmp_gt_u32_e64 s0, s10, v13
	v_mov_b32_e32 v11, 0
	s_and_saveexec_b32 s26, s0
	s_cbranch_execz .LBB242_74
; %bb.73:
	v_lshlrev_b32_e32 v5, 3, v13
	s_clause 0x1
	global_load_dwordx2 v[14:15], v5, s[2:3]
	global_load_dwordx2 v[16:17], v5, s[8:9]
	v_add_co_u32 v5, s27, s11, v13
	v_add_co_ci_u32_e64 v6, null, s23, 0, s27
	s_waitcnt vmcnt(0)
	v_cmp_ne_u64_e32 vcc_lo, v[14:15], v[16:17]
	v_cndmask_b32_e64 v11, 0, 1, vcc_lo
.LBB242_74:
	s_or_b32 exec_lo, exec_lo, s26
	v_or_b32_e32 v13, 0x300, v0
	v_cmp_gt_u32_e32 vcc_lo, s10, v13
	s_and_saveexec_b32 s26, vcc_lo
	s_cbranch_execnz .LBB242_173
; %bb.75:
	s_or_b32 exec_lo, exec_lo, s26
	s_and_saveexec_b32 s3, s1
	s_cbranch_execnz .LBB242_174
.LBB242_76:
	s_or_b32 exec_lo, exec_lo, s3
	s_and_saveexec_b32 s2, s0
	s_cbranch_execnz .LBB242_179
.LBB242_77:
	s_or_b32 exec_lo, exec_lo, s2
	s_and_saveexec_b32 s1, vcc_lo
	s_cbranch_execnz .LBB242_184
	s_branch .LBB242_189
.LBB242_78:
	v_lshlrev_b32_e32 v3, 3, v25
	s_clause 0x1
	global_load_dwordx2 v[26:27], v3, s[10:11]
	global_load_dwordx2 v[28:29], v3, s[22:23]
	v_add_co_u32 v3, s10, s28, v25
	v_add_co_ci_u32_e64 v4, null, s29, 0, s10
	s_waitcnt vmcnt(0)
	v_cmp_ne_u64_e64 s10, v[26:27], v[28:29]
	v_cndmask_b32_e64 v18, 0, 1, s10
	s_or_b32 exec_lo, exec_lo, s30
	s_and_saveexec_b32 s11, s9
	s_cbranch_execz .LBB242_61
.LBB242_79:
	v_and_b32_e32 v17, 1, v17
	v_and_b32_e32 v25, 1, v24
	v_cmp_eq_u32_e64 s9, 1, v17
	v_cmp_eq_u32_e64 s10, 1, v25
                                        ; implicit-def: $vgpr17
	s_and_b32 s10, s9, s10
	s_xor_b32 s10, s10, -1
	s_and_saveexec_b32 s22, s10
	s_xor_b32 s10, exec_lo, s22
; %bb.80:
	v_and_b32_e32 v17, 0xffff, v24
	v_cndmask_b32_e64 v2, v16, v2, s9
	v_cndmask_b32_e64 v1, v15, v1, s9
                                        ; implicit-def: $vgpr15_vgpr16
	v_cndmask_b32_e64 v17, v17, 1, s9
; %bb.81:
	s_andn2_saveexec_b32 s10, s10
; %bb.82:
	v_cmp_lt_i64_e64 s9, v[15:16], v[1:2]
	v_mov_b32_e32 v17, 1
	v_cndmask_b32_e64 v2, v2, v16, s9
	v_cndmask_b32_e64 v1, v1, v15, s9
; %bb.83:
	s_or_b32 exec_lo, exec_lo, s10
	s_or_b32 exec_lo, exec_lo, s11
	s_and_saveexec_b32 s10, s8
	s_cbranch_execz .LBB242_62
.LBB242_84:
	v_and_b32_e32 v15, 1, v17
	v_and_b32_e32 v16, 1, v23
                                        ; implicit-def: $vgpr17
	v_cmp_eq_u32_e64 s8, 1, v15
	v_cmp_eq_u32_e64 s9, 1, v16
	s_and_b32 s9, s8, s9
	s_xor_b32 s9, s9, -1
	s_and_saveexec_b32 s11, s9
	s_xor_b32 s9, exec_lo, s11
; %bb.85:
	v_and_b32_e32 v15, 0xffff, v23
	v_cndmask_b32_e64 v2, v14, v2, s8
	v_cndmask_b32_e64 v1, v13, v1, s8
                                        ; implicit-def: $vgpr13_vgpr14
	v_cndmask_b32_e64 v17, v15, 1, s8
; %bb.86:
	s_andn2_saveexec_b32 s9, s9
; %bb.87:
	v_cmp_lt_i64_e64 s8, v[13:14], v[1:2]
	v_mov_b32_e32 v17, 1
	v_cndmask_b32_e64 v2, v2, v14, s8
	v_cndmask_b32_e64 v1, v1, v13, s8
; %bb.88:
	s_or_b32 exec_lo, exec_lo, s9
	s_or_b32 exec_lo, exec_lo, s10
	s_and_saveexec_b32 s9, s3
	s_cbranch_execz .LBB242_63
.LBB242_89:
	v_and_b32_e32 v13, 1, v17
	v_and_b32_e32 v14, 1, v22
                                        ; implicit-def: $vgpr17
	v_cmp_eq_u32_e64 s3, 1, v13
	v_cmp_eq_u32_e64 s8, 1, v14
	s_and_b32 s8, s3, s8
	s_xor_b32 s8, s8, -1
	s_and_saveexec_b32 s10, s8
	s_xor_b32 s8, exec_lo, s10
; %bb.90:
	v_and_b32_e32 v13, 0xffff, v22
	v_cndmask_b32_e64 v2, v12, v2, s3
	v_cndmask_b32_e64 v1, v11, v1, s3
                                        ; implicit-def: $vgpr11_vgpr12
	v_cndmask_b32_e64 v17, v13, 1, s3
; %bb.91:
	s_andn2_saveexec_b32 s8, s8
; %bb.92:
	v_cmp_lt_i64_e64 s3, v[11:12], v[1:2]
	v_mov_b32_e32 v17, 1
	v_cndmask_b32_e64 v2, v2, v12, s3
	v_cndmask_b32_e64 v1, v1, v11, s3
; %bb.93:
	s_or_b32 exec_lo, exec_lo, s8
	s_or_b32 exec_lo, exec_lo, s9
	s_and_saveexec_b32 s8, s2
	s_cbranch_execz .LBB242_64
.LBB242_94:
	v_and_b32_e32 v11, 1, v17
	v_and_b32_e32 v12, 1, v21
                                        ; implicit-def: $vgpr17
	v_cmp_eq_u32_e64 s2, 1, v11
	v_cmp_eq_u32_e64 s3, 1, v12
	s_and_b32 s3, s2, s3
	s_xor_b32 s3, s3, -1
	s_and_saveexec_b32 s9, s3
	s_xor_b32 s3, exec_lo, s9
; %bb.95:
	v_and_b32_e32 v11, 0xffff, v21
	v_cndmask_b32_e64 v2, v10, v2, s2
	v_cndmask_b32_e64 v1, v9, v1, s2
                                        ; implicit-def: $vgpr9_vgpr10
	v_cndmask_b32_e64 v17, v11, 1, s2
; %bb.96:
	s_andn2_saveexec_b32 s3, s3
; %bb.97:
	v_cmp_lt_i64_e64 s2, v[9:10], v[1:2]
	v_mov_b32_e32 v17, 1
	v_cndmask_b32_e64 v2, v2, v10, s2
	v_cndmask_b32_e64 v1, v1, v9, s2
; %bb.98:
	s_or_b32 exec_lo, exec_lo, s3
	s_or_b32 exec_lo, exec_lo, s8
	s_and_saveexec_b32 s3, s1
	s_cbranch_execz .LBB242_65
.LBB242_99:
	v_and_b32_e32 v9, 1, v17
	v_and_b32_e32 v10, 1, v20
                                        ; implicit-def: $vgpr17
	v_cmp_eq_u32_e64 s1, 1, v9
	v_cmp_eq_u32_e64 s2, 1, v10
	s_and_b32 s2, s1, s2
	s_xor_b32 s2, s2, -1
	s_and_saveexec_b32 s8, s2
	s_xor_b32 s2, exec_lo, s8
; %bb.100:
	v_and_b32_e32 v9, 0xffff, v20
	v_cndmask_b32_e64 v2, v8, v2, s1
	v_cndmask_b32_e64 v1, v7, v1, s1
                                        ; implicit-def: $vgpr7_vgpr8
	v_cndmask_b32_e64 v17, v9, 1, s1
; %bb.101:
	s_andn2_saveexec_b32 s2, s2
; %bb.102:
	v_cmp_lt_i64_e64 s1, v[7:8], v[1:2]
	v_mov_b32_e32 v17, 1
	v_cndmask_b32_e64 v2, v2, v8, s1
	v_cndmask_b32_e64 v1, v1, v7, s1
; %bb.103:
	s_or_b32 exec_lo, exec_lo, s2
	s_or_b32 exec_lo, exec_lo, s3
	s_and_saveexec_b32 s2, s0
	s_cbranch_execz .LBB242_66
.LBB242_104:
	v_and_b32_e32 v7, 1, v17
	v_and_b32_e32 v8, 1, v19
                                        ; implicit-def: $vgpr17
	v_cmp_eq_u32_e64 s0, 1, v7
	v_cmp_eq_u32_e64 s1, 1, v8
	s_and_b32 s1, s0, s1
	s_xor_b32 s1, s1, -1
	s_and_saveexec_b32 s3, s1
	s_xor_b32 s1, exec_lo, s3
; %bb.105:
	v_and_b32_e32 v7, 0xffff, v19
	v_cndmask_b32_e64 v2, v6, v2, s0
	v_cndmask_b32_e64 v1, v5, v1, s0
                                        ; implicit-def: $vgpr5_vgpr6
	v_cndmask_b32_e64 v17, v7, 1, s0
; %bb.106:
	s_andn2_saveexec_b32 s1, s1
; %bb.107:
	v_cmp_lt_i64_e64 s0, v[5:6], v[1:2]
	v_mov_b32_e32 v17, 1
	v_cndmask_b32_e64 v2, v2, v6, s0
	v_cndmask_b32_e64 v1, v1, v5, s0
; %bb.108:
	s_or_b32 exec_lo, exec_lo, s1
	s_or_b32 exec_lo, exec_lo, s2
	s_and_saveexec_b32 s1, vcc_lo
	s_cbranch_execz .LBB242_114
.LBB242_109:
	v_and_b32_e32 v5, 1, v17
	v_and_b32_e32 v6, 1, v18
                                        ; implicit-def: $vgpr17
	v_cmp_eq_u32_e32 vcc_lo, 1, v5
	v_cmp_eq_u32_e64 s0, 1, v6
	s_and_b32 s0, vcc_lo, s0
	s_xor_b32 s0, s0, -1
	s_and_saveexec_b32 s2, s0
	s_xor_b32 s0, exec_lo, s2
; %bb.110:
	v_and_b32_e32 v5, 0xffff, v18
	v_cndmask_b32_e32 v2, v4, v2, vcc_lo
	v_cndmask_b32_e32 v1, v3, v1, vcc_lo
                                        ; implicit-def: $vgpr3_vgpr4
	v_cndmask_b32_e64 v17, v5, 1, vcc_lo
; %bb.111:
	s_andn2_saveexec_b32 s0, s0
; %bb.112:
	v_cmp_lt_i64_e32 vcc_lo, v[3:4], v[1:2]
	v_mov_b32_e32 v17, 1
	v_cndmask_b32_e32 v2, v2, v4, vcc_lo
	v_cndmask_b32_e32 v1, v1, v3, vcc_lo
; %bb.113:
	s_or_b32 exec_lo, exec_lo, s0
.LBB242_114:
	s_or_b32 exec_lo, exec_lo, s1
	v_mbcnt_lo_u32_b32 v5, -1, 0
	v_and_b32_e32 v6, 0xe0, v0
	s_min_u32 s0, s27, 0x100
	s_mov_b32 s1, exec_lo
	v_cmp_ne_u32_e32 vcc_lo, 31, v5
	v_sub_nc_u32_e64 v6, s0, v6 clamp
	v_add_nc_u32_e32 v8, 1, v5
	v_add_co_ci_u32_e64 v3, null, 0, v5, vcc_lo
	v_lshlrev_b32_e32 v4, 2, v3
	ds_bpermute_b32 v7, v4, v17
	ds_bpermute_b32 v3, v4, v1
	;; [unrolled: 1-line block ×3, first 2 shown]
	v_cmpx_lt_u32_e64 v8, v6
	s_xor_b32 s1, exec_lo, s1
	s_cbranch_execz .LBB242_120
; %bb.115:
	s_waitcnt lgkmcnt(2)
	v_and_b32_e32 v8, v7, v17
	s_mov_b32 s2, exec_lo
	v_cmpx_ne_u32_e32 0, v8
	s_xor_b32 s2, exec_lo, s2
	s_cbranch_execz .LBB242_117
; %bb.116:
	s_waitcnt lgkmcnt(0)
	v_cmp_lt_i64_e32 vcc_lo, v[3:4], v[1:2]
                                        ; implicit-def: $vgpr17
                                        ; implicit-def: $vgpr7
	v_cndmask_b32_e32 v2, v2, v4, vcc_lo
	v_cndmask_b32_e32 v1, v1, v3, vcc_lo
                                        ; implicit-def: $vgpr3_vgpr4
.LBB242_117:
	s_or_saveexec_b32 s2, s2
	v_mov_b32_e32 v8, 1
	s_xor_b32 exec_lo, exec_lo, s2
	s_cbranch_execz .LBB242_119
; %bb.118:
	v_and_b32_e32 v8, 1, v17
	v_and_b32_e32 v7, 0xff, v7
	v_cmp_eq_u32_e32 vcc_lo, 1, v8
	s_waitcnt lgkmcnt(0)
	v_cndmask_b32_e32 v2, v4, v2, vcc_lo
	v_cndmask_b32_e32 v1, v3, v1, vcc_lo
	v_cndmask_b32_e64 v8, v7, 1, vcc_lo
.LBB242_119:
	s_or_b32 exec_lo, exec_lo, s2
	v_mov_b32_e32 v17, v8
.LBB242_120:
	s_or_b32 exec_lo, exec_lo, s1
	v_cmp_gt_u32_e32 vcc_lo, 30, v5
	v_add_nc_u32_e32 v8, 2, v5
	s_mov_b32 s1, exec_lo
	s_waitcnt lgkmcnt(1)
	v_cndmask_b32_e64 v3, 0, 2, vcc_lo
	s_waitcnt lgkmcnt(0)
	v_add_lshl_u32 v4, v3, v5, 2
	ds_bpermute_b32 v7, v4, v17
	ds_bpermute_b32 v3, v4, v1
	ds_bpermute_b32 v4, v4, v2
	v_cmpx_lt_u32_e64 v8, v6
	s_cbranch_execz .LBB242_126
; %bb.121:
	s_waitcnt lgkmcnt(2)
	v_and_b32_e32 v8, v17, v7
	s_mov_b32 s2, exec_lo
	v_and_b32_e32 v8, 1, v8
	v_cmpx_eq_u32_e32 1, v8
	s_xor_b32 s2, exec_lo, s2
	s_cbranch_execz .LBB242_123
; %bb.122:
	s_waitcnt lgkmcnt(0)
	v_cmp_lt_i64_e32 vcc_lo, v[3:4], v[1:2]
                                        ; implicit-def: $vgpr17
                                        ; implicit-def: $vgpr7
	v_cndmask_b32_e32 v2, v2, v4, vcc_lo
	v_cndmask_b32_e32 v1, v1, v3, vcc_lo
                                        ; implicit-def: $vgpr3_vgpr4
.LBB242_123:
	s_or_saveexec_b32 s2, s2
	v_mov_b32_e32 v8, 1
	s_xor_b32 exec_lo, exec_lo, s2
	s_cbranch_execz .LBB242_125
; %bb.124:
	v_and_b32_e32 v8, 1, v17
	v_and_b32_e32 v7, 0xff, v7
	v_cmp_eq_u32_e32 vcc_lo, 1, v8
	s_waitcnt lgkmcnt(0)
	v_cndmask_b32_e32 v2, v4, v2, vcc_lo
	v_cndmask_b32_e32 v1, v3, v1, vcc_lo
	v_cndmask_b32_e64 v8, v7, 1, vcc_lo
.LBB242_125:
	s_or_b32 exec_lo, exec_lo, s2
	v_mov_b32_e32 v17, v8
.LBB242_126:
	s_or_b32 exec_lo, exec_lo, s1
	v_cmp_gt_u32_e32 vcc_lo, 28, v5
	v_add_nc_u32_e32 v8, 4, v5
	s_mov_b32 s1, exec_lo
	s_waitcnt lgkmcnt(1)
	v_cndmask_b32_e64 v3, 0, 4, vcc_lo
	s_waitcnt lgkmcnt(0)
	v_add_lshl_u32 v4, v3, v5, 2
	ds_bpermute_b32 v7, v4, v17
	ds_bpermute_b32 v3, v4, v1
	ds_bpermute_b32 v4, v4, v2
	v_cmpx_lt_u32_e64 v8, v6
	s_cbranch_execz .LBB242_132
; %bb.127:
	s_waitcnt lgkmcnt(2)
	v_and_b32_e32 v8, v17, v7
	s_mov_b32 s2, exec_lo
	v_and_b32_e32 v8, 1, v8
	v_cmpx_eq_u32_e32 1, v8
	s_xor_b32 s2, exec_lo, s2
	s_cbranch_execz .LBB242_129
; %bb.128:
	s_waitcnt lgkmcnt(0)
	v_cmp_lt_i64_e32 vcc_lo, v[3:4], v[1:2]
                                        ; implicit-def: $vgpr17
                                        ; implicit-def: $vgpr7
	v_cndmask_b32_e32 v2, v2, v4, vcc_lo
	v_cndmask_b32_e32 v1, v1, v3, vcc_lo
                                        ; implicit-def: $vgpr3_vgpr4
.LBB242_129:
	s_or_saveexec_b32 s2, s2
	v_mov_b32_e32 v8, 1
	s_xor_b32 exec_lo, exec_lo, s2
	s_cbranch_execz .LBB242_131
; %bb.130:
	v_and_b32_e32 v8, 1, v17
	v_and_b32_e32 v7, 0xff, v7
	v_cmp_eq_u32_e32 vcc_lo, 1, v8
	s_waitcnt lgkmcnt(0)
	v_cndmask_b32_e32 v2, v4, v2, vcc_lo
	v_cndmask_b32_e32 v1, v3, v1, vcc_lo
	v_cndmask_b32_e64 v8, v7, 1, vcc_lo
.LBB242_131:
	s_or_b32 exec_lo, exec_lo, s2
	v_mov_b32_e32 v17, v8
.LBB242_132:
	;; [unrolled: 46-line block ×3, first 2 shown]
	s_or_b32 exec_lo, exec_lo, s1
	s_waitcnt lgkmcnt(2)
	v_lshlrev_b32_e32 v7, 2, v5
	v_add_nc_u32_e32 v9, 16, v5
	s_waitcnt lgkmcnt(0)
	v_or_b32_e32 v4, 64, v7
	v_cmp_lt_u32_e32 vcc_lo, v9, v6
	v_mov_b32_e32 v6, v17
	ds_bpermute_b32 v8, v4, v17
	ds_bpermute_b32 v3, v4, v1
	;; [unrolled: 1-line block ×3, first 2 shown]
	s_and_saveexec_b32 s1, vcc_lo
	s_cbranch_execz .LBB242_144
; %bb.139:
	s_waitcnt lgkmcnt(2)
	v_and_b32_e32 v6, v17, v8
	s_mov_b32 s2, exec_lo
	v_and_b32_e32 v6, 1, v6
	v_cmpx_eq_u32_e32 1, v6
	s_xor_b32 s2, exec_lo, s2
	s_cbranch_execz .LBB242_141
; %bb.140:
	s_waitcnt lgkmcnt(0)
	v_cmp_lt_i64_e32 vcc_lo, v[3:4], v[1:2]
                                        ; implicit-def: $vgpr17
                                        ; implicit-def: $vgpr8
	v_cndmask_b32_e32 v2, v2, v4, vcc_lo
	v_cndmask_b32_e32 v1, v1, v3, vcc_lo
                                        ; implicit-def: $vgpr3_vgpr4
.LBB242_141:
	s_or_saveexec_b32 s2, s2
	v_mov_b32_e32 v6, 1
	s_xor_b32 exec_lo, exec_lo, s2
	s_cbranch_execz .LBB242_143
; %bb.142:
	v_and_b32_e32 v6, 1, v17
	v_cmp_eq_u32_e32 vcc_lo, 1, v6
	v_cndmask_b32_e64 v6, v8, 1, vcc_lo
	s_waitcnt lgkmcnt(0)
	v_cndmask_b32_e32 v2, v4, v2, vcc_lo
	v_cndmask_b32_e32 v1, v3, v1, vcc_lo
.LBB242_143:
	s_or_b32 exec_lo, exec_lo, s2
	v_and_b32_e32 v17, 0xff, v6
.LBB242_144:
	s_or_b32 exec_lo, exec_lo, s1
	s_mov_b32 s1, exec_lo
	v_cmpx_eq_u32_e32 0, v5
	s_cbranch_execz .LBB242_146
; %bb.145:
	s_waitcnt lgkmcnt(1)
	v_lshrrev_b32_e32 v3, 1, v0
	v_and_b32_e32 v3, 0x70, v3
	ds_write_b8 v3, v6 offset:512
	ds_write_b64 v3, v[1:2] offset:520
.LBB242_146:
	s_or_b32 exec_lo, exec_lo, s1
	s_mov_b32 s1, exec_lo
	s_waitcnt lgkmcnt(0)
	s_barrier
	buffer_gl0_inv
	v_cmpx_gt_u32_e32 8, v0
	s_cbranch_execz .LBB242_166
; %bb.147:
	v_lshlrev_b32_e32 v1, 4, v5
	v_and_b32_e32 v6, 7, v5
	s_add_i32 s0, s0, 31
	s_mov_b32 s2, exec_lo
	s_lshr_b32 s0, s0, 5
	ds_read_u8 v8, v1 offset:512
	ds_read_b64 v[1:2], v1 offset:520
	v_cmp_ne_u32_e32 vcc_lo, 7, v6
	v_add_nc_u32_e32 v10, 1, v6
	v_add_co_ci_u32_e64 v3, null, 0, v5, vcc_lo
	v_lshlrev_b32_e32 v4, 2, v3
	s_waitcnt lgkmcnt(1)
	v_and_b32_e32 v17, 0xff, v8
	s_waitcnt lgkmcnt(0)
	ds_bpermute_b32 v3, v4, v1
	ds_bpermute_b32 v9, v4, v17
	ds_bpermute_b32 v4, v4, v2
	v_cmpx_gt_u32_e64 s0, v10
	s_cbranch_execz .LBB242_153
; %bb.148:
	s_waitcnt lgkmcnt(1)
	v_and_b32_e32 v10, v17, v9
	s_mov_b32 s3, exec_lo
	v_and_b32_e32 v10, 1, v10
	v_cmpx_eq_u32_e32 1, v10
	s_xor_b32 s3, exec_lo, s3
	s_cbranch_execz .LBB242_150
; %bb.149:
	s_waitcnt lgkmcnt(0)
	v_cmp_lt_i64_e32 vcc_lo, v[3:4], v[1:2]
                                        ; implicit-def: $vgpr8
                                        ; implicit-def: $vgpr9
	v_cndmask_b32_e32 v2, v2, v4, vcc_lo
	v_cndmask_b32_e32 v1, v1, v3, vcc_lo
                                        ; implicit-def: $vgpr3_vgpr4
.LBB242_150:
	s_or_saveexec_b32 s3, s3
	v_mov_b32_e32 v17, 1
	s_xor_b32 exec_lo, exec_lo, s3
	s_cbranch_execz .LBB242_152
; %bb.151:
	v_and_b32_e32 v8, 1, v8
	v_cmp_eq_u32_e32 vcc_lo, 1, v8
	v_and_b32_e32 v8, 0xff, v9
	s_waitcnt lgkmcnt(0)
	v_cndmask_b32_e32 v2, v4, v2, vcc_lo
	v_cndmask_b32_e32 v1, v3, v1, vcc_lo
	v_cndmask_b32_e64 v17, v8, 1, vcc_lo
.LBB242_152:
	s_or_b32 exec_lo, exec_lo, s3
.LBB242_153:
	s_or_b32 exec_lo, exec_lo, s2
	v_cmp_gt_u32_e32 vcc_lo, 6, v6
	v_add_nc_u32_e32 v8, 2, v6
	s_mov_b32 s2, exec_lo
	s_waitcnt lgkmcnt(2)
	v_cndmask_b32_e64 v3, 0, 2, vcc_lo
	s_waitcnt lgkmcnt(0)
	v_add_lshl_u32 v4, v3, v5, 2
	ds_bpermute_b32 v5, v4, v17
	ds_bpermute_b32 v3, v4, v1
	;; [unrolled: 1-line block ×3, first 2 shown]
	v_cmpx_gt_u32_e64 s0, v8
	s_cbranch_execz .LBB242_159
; %bb.154:
	s_waitcnt lgkmcnt(2)
	v_and_b32_e32 v8, v17, v5
	s_mov_b32 s3, exec_lo
	v_and_b32_e32 v8, 1, v8
	v_cmpx_eq_u32_e32 1, v8
	s_xor_b32 s3, exec_lo, s3
	s_cbranch_execz .LBB242_156
; %bb.155:
	s_waitcnt lgkmcnt(0)
	v_cmp_lt_i64_e32 vcc_lo, v[3:4], v[1:2]
                                        ; implicit-def: $vgpr17
                                        ; implicit-def: $vgpr5
	v_cndmask_b32_e32 v2, v2, v4, vcc_lo
	v_cndmask_b32_e32 v1, v1, v3, vcc_lo
                                        ; implicit-def: $vgpr3_vgpr4
.LBB242_156:
	s_or_saveexec_b32 s3, s3
	v_mov_b32_e32 v8, 1
	s_xor_b32 exec_lo, exec_lo, s3
	s_cbranch_execz .LBB242_158
; %bb.157:
	v_and_b32_e32 v8, 1, v17
	v_and_b32_e32 v5, 0xff, v5
	v_cmp_eq_u32_e32 vcc_lo, 1, v8
	s_waitcnt lgkmcnt(0)
	v_cndmask_b32_e32 v2, v4, v2, vcc_lo
	v_cndmask_b32_e32 v1, v3, v1, vcc_lo
	v_cndmask_b32_e64 v8, v5, 1, vcc_lo
.LBB242_158:
	s_or_b32 exec_lo, exec_lo, s3
	v_mov_b32_e32 v17, v8
.LBB242_159:
	s_or_b32 exec_lo, exec_lo, s2
	s_waitcnt lgkmcnt(0)
	v_or_b32_e32 v4, 16, v7
	v_add_nc_u32_e32 v6, 4, v6
	ds_bpermute_b32 v5, v4, v17
	ds_bpermute_b32 v3, v4, v1
	;; [unrolled: 1-line block ×3, first 2 shown]
	v_cmp_gt_u32_e32 vcc_lo, s0, v6
	s_and_saveexec_b32 s0, vcc_lo
	s_cbranch_execz .LBB242_165
; %bb.160:
	s_waitcnt lgkmcnt(2)
	v_and_b32_e32 v6, v17, v5
	s_mov_b32 s2, exec_lo
	v_and_b32_e32 v6, 1, v6
	v_cmpx_eq_u32_e32 1, v6
	s_xor_b32 s2, exec_lo, s2
	s_cbranch_execz .LBB242_162
; %bb.161:
	s_waitcnt lgkmcnt(0)
	v_cmp_lt_i64_e32 vcc_lo, v[3:4], v[1:2]
                                        ; implicit-def: $vgpr17
                                        ; implicit-def: $vgpr5
	v_cndmask_b32_e32 v2, v2, v4, vcc_lo
	v_cndmask_b32_e32 v1, v1, v3, vcc_lo
                                        ; implicit-def: $vgpr3_vgpr4
.LBB242_162:
	s_or_saveexec_b32 s2, s2
	v_mov_b32_e32 v6, 1
	s_xor_b32 exec_lo, exec_lo, s2
	s_cbranch_execz .LBB242_164
; %bb.163:
	v_and_b32_e32 v6, 1, v17
	v_cmp_eq_u32_e32 vcc_lo, 1, v6
	s_waitcnt lgkmcnt(0)
	v_cndmask_b32_e32 v2, v4, v2, vcc_lo
	v_cndmask_b32_e32 v1, v3, v1, vcc_lo
	v_cndmask_b32_e64 v6, v5, 1, vcc_lo
.LBB242_164:
	s_or_b32 exec_lo, exec_lo, s2
	v_mov_b32_e32 v17, v6
.LBB242_165:
	s_or_b32 exec_lo, exec_lo, s0
.LBB242_166:
	s_or_b32 exec_lo, exec_lo, s1
.LBB242_167:
	s_mov_b32 s22, 0
                                        ; implicit-def: $vgpr3_vgpr4
                                        ; implicit-def: $vgpr5
	s_mov_b32 s0, exec_lo
	v_cmpx_eq_u32_e32 0, v0
	s_xor_b32 s2, exec_lo, s0
	s_cbranch_execz .LBB242_171
; %bb.168:
	s_waitcnt lgkmcnt(0)
	v_mov_b32_e32 v3, s20
	v_mov_b32_e32 v4, s21
	v_mov_b32_e32 v5, s24
	s_cmp_eq_u64 s[14:15], 0
	s_cbranch_scc1 .LBB242_170
; %bb.169:
	v_and_b32_e32 v3, 1, v17
	v_cmp_gt_i64_e32 vcc_lo, s[20:21], v[1:2]
	s_bitcmp1_b32 s24, 0
	s_cselect_b32 s1, -1, 0
	v_cmp_eq_u32_e64 s0, 1, v3
	v_cndmask_b32_e64 v5, v17, 1, s1
	s_and_b32 vcc_lo, s0, vcc_lo
	v_cndmask_b32_e32 v3, s20, v1, vcc_lo
	v_cndmask_b32_e32 v4, s21, v2, vcc_lo
	v_cndmask_b32_e64 v3, v1, v3, s1
	v_cndmask_b32_e64 v4, v2, v4, s1
.LBB242_170:
	s_mov_b32 s22, exec_lo
.LBB242_171:
	s_or_b32 exec_lo, exec_lo, s2
	v_mov_b32_e32 v1, s6
	v_mov_b32_e32 v2, s7
	s_and_b32 vcc_lo, exec_lo, s26
	s_cbranch_vccnz .LBB242_24
.LBB242_172:
	s_branch .LBB242_356
.LBB242_173:
	v_lshlrev_b32_e32 v3, 3, v13
	s_clause 0x1
	global_load_dwordx2 v[14:15], v3, s[2:3]
	global_load_dwordx2 v[16:17], v3, s[8:9]
	v_add_co_u32 v3, s2, s11, v13
	v_add_co_ci_u32_e64 v4, null, s23, 0, s2
	s_waitcnt vmcnt(0)
	v_cmp_ne_u64_e64 s2, v[14:15], v[16:17]
	v_cndmask_b32_e64 v10, 0, 1, s2
	s_or_b32 exec_lo, exec_lo, s26
	s_and_saveexec_b32 s3, s1
	s_cbranch_execz .LBB242_76
.LBB242_174:
	v_and_b32_e32 v9, 1, v9
	v_and_b32_e32 v13, 1, v12
	v_cmp_eq_u32_e64 s1, 1, v9
	v_cmp_eq_u32_e64 s2, 1, v13
                                        ; implicit-def: $vgpr9
	s_and_b32 s2, s1, s2
	s_xor_b32 s2, s2, -1
	s_and_saveexec_b32 s8, s2
	s_xor_b32 s2, exec_lo, s8
; %bb.175:
	v_and_b32_e32 v9, 0xffff, v12
	v_cndmask_b32_e64 v2, v8, v2, s1
	v_cndmask_b32_e64 v1, v7, v1, s1
                                        ; implicit-def: $vgpr7_vgpr8
	v_cndmask_b32_e64 v9, v9, 1, s1
; %bb.176:
	s_andn2_saveexec_b32 s2, s2
; %bb.177:
	v_cmp_lt_i64_e64 s1, v[7:8], v[1:2]
	v_mov_b32_e32 v9, 1
	v_cndmask_b32_e64 v2, v2, v8, s1
	v_cndmask_b32_e64 v1, v1, v7, s1
; %bb.178:
	s_or_b32 exec_lo, exec_lo, s2
	s_or_b32 exec_lo, exec_lo, s3
	s_and_saveexec_b32 s2, s0
	s_cbranch_execz .LBB242_77
.LBB242_179:
	v_and_b32_e32 v7, 1, v9
	v_and_b32_e32 v8, 1, v11
                                        ; implicit-def: $vgpr9
	v_cmp_eq_u32_e64 s0, 1, v7
	v_cmp_eq_u32_e64 s1, 1, v8
	s_and_b32 s1, s0, s1
	s_xor_b32 s1, s1, -1
	s_and_saveexec_b32 s3, s1
	s_xor_b32 s1, exec_lo, s3
; %bb.180:
	v_and_b32_e32 v7, 0xffff, v11
	v_cndmask_b32_e64 v2, v6, v2, s0
	v_cndmask_b32_e64 v1, v5, v1, s0
                                        ; implicit-def: $vgpr5_vgpr6
	v_cndmask_b32_e64 v9, v7, 1, s0
; %bb.181:
	s_andn2_saveexec_b32 s1, s1
; %bb.182:
	v_cmp_lt_i64_e64 s0, v[5:6], v[1:2]
	v_mov_b32_e32 v9, 1
	v_cndmask_b32_e64 v2, v2, v6, s0
	v_cndmask_b32_e64 v1, v1, v5, s0
; %bb.183:
	s_or_b32 exec_lo, exec_lo, s1
	s_or_b32 exec_lo, exec_lo, s2
	s_and_saveexec_b32 s1, vcc_lo
	s_cbranch_execz .LBB242_189
.LBB242_184:
	v_and_b32_e32 v5, 1, v9
	v_and_b32_e32 v6, 1, v10
                                        ; implicit-def: $vgpr9
	v_cmp_eq_u32_e32 vcc_lo, 1, v5
	v_cmp_eq_u32_e64 s0, 1, v6
	s_and_b32 s0, vcc_lo, s0
	s_xor_b32 s0, s0, -1
	s_and_saveexec_b32 s2, s0
	s_xor_b32 s0, exec_lo, s2
; %bb.185:
	v_and_b32_e32 v5, 0xffff, v10
	v_cndmask_b32_e32 v2, v4, v2, vcc_lo
	v_cndmask_b32_e32 v1, v3, v1, vcc_lo
                                        ; implicit-def: $vgpr3_vgpr4
	v_cndmask_b32_e64 v9, v5, 1, vcc_lo
; %bb.186:
	s_andn2_saveexec_b32 s0, s0
; %bb.187:
	v_cmp_lt_i64_e32 vcc_lo, v[3:4], v[1:2]
	v_mov_b32_e32 v9, 1
	v_cndmask_b32_e32 v2, v2, v4, vcc_lo
	v_cndmask_b32_e32 v1, v1, v3, vcc_lo
; %bb.188:
	s_or_b32 exec_lo, exec_lo, s0
.LBB242_189:
	s_or_b32 exec_lo, exec_lo, s1
	v_mbcnt_lo_u32_b32 v5, -1, 0
	v_and_b32_e32 v6, 0xe0, v0
	s_min_u32 s0, s10, 0x100
	s_mov_b32 s1, exec_lo
	v_cmp_ne_u32_e32 vcc_lo, 31, v5
	v_sub_nc_u32_e64 v6, s0, v6 clamp
	v_add_nc_u32_e32 v8, 1, v5
	v_add_co_ci_u32_e64 v3, null, 0, v5, vcc_lo
	v_lshlrev_b32_e32 v4, 2, v3
	ds_bpermute_b32 v7, v4, v9
	ds_bpermute_b32 v3, v4, v1
	ds_bpermute_b32 v4, v4, v2
	v_cmpx_lt_u32_e64 v8, v6
	s_xor_b32 s1, exec_lo, s1
	s_cbranch_execz .LBB242_195
; %bb.190:
	s_waitcnt lgkmcnt(2)
	v_and_b32_e32 v8, v7, v9
	s_mov_b32 s2, exec_lo
	v_cmpx_ne_u32_e32 0, v8
	s_xor_b32 s2, exec_lo, s2
	s_cbranch_execz .LBB242_192
; %bb.191:
	s_waitcnt lgkmcnt(0)
	v_cmp_lt_i64_e32 vcc_lo, v[3:4], v[1:2]
                                        ; implicit-def: $vgpr9
                                        ; implicit-def: $vgpr7
	v_cndmask_b32_e32 v2, v2, v4, vcc_lo
	v_cndmask_b32_e32 v1, v1, v3, vcc_lo
                                        ; implicit-def: $vgpr3_vgpr4
.LBB242_192:
	s_or_saveexec_b32 s2, s2
	v_mov_b32_e32 v8, 1
	s_xor_b32 exec_lo, exec_lo, s2
	s_cbranch_execz .LBB242_194
; %bb.193:
	v_and_b32_e32 v8, 1, v9
	v_and_b32_e32 v7, 0xff, v7
	v_cmp_eq_u32_e32 vcc_lo, 1, v8
	s_waitcnt lgkmcnt(0)
	v_cndmask_b32_e32 v2, v4, v2, vcc_lo
	v_cndmask_b32_e32 v1, v3, v1, vcc_lo
	v_cndmask_b32_e64 v8, v7, 1, vcc_lo
.LBB242_194:
	s_or_b32 exec_lo, exec_lo, s2
	v_mov_b32_e32 v9, v8
.LBB242_195:
	s_or_b32 exec_lo, exec_lo, s1
	v_cmp_gt_u32_e32 vcc_lo, 30, v5
	v_add_nc_u32_e32 v8, 2, v5
	s_mov_b32 s1, exec_lo
	s_waitcnt lgkmcnt(1)
	v_cndmask_b32_e64 v3, 0, 2, vcc_lo
	s_waitcnt lgkmcnt(0)
	v_add_lshl_u32 v4, v3, v5, 2
	ds_bpermute_b32 v7, v4, v9
	ds_bpermute_b32 v3, v4, v1
	ds_bpermute_b32 v4, v4, v2
	v_cmpx_lt_u32_e64 v8, v6
	s_cbranch_execz .LBB242_201
; %bb.196:
	s_waitcnt lgkmcnt(2)
	v_and_b32_e32 v8, v9, v7
	s_mov_b32 s2, exec_lo
	v_and_b32_e32 v8, 1, v8
	v_cmpx_eq_u32_e32 1, v8
	s_xor_b32 s2, exec_lo, s2
	s_cbranch_execz .LBB242_198
; %bb.197:
	s_waitcnt lgkmcnt(0)
	v_cmp_lt_i64_e32 vcc_lo, v[3:4], v[1:2]
                                        ; implicit-def: $vgpr9
                                        ; implicit-def: $vgpr7
	v_cndmask_b32_e32 v2, v2, v4, vcc_lo
	v_cndmask_b32_e32 v1, v1, v3, vcc_lo
                                        ; implicit-def: $vgpr3_vgpr4
.LBB242_198:
	s_or_saveexec_b32 s2, s2
	v_mov_b32_e32 v8, 1
	s_xor_b32 exec_lo, exec_lo, s2
	s_cbranch_execz .LBB242_200
; %bb.199:
	v_and_b32_e32 v8, 1, v9
	v_and_b32_e32 v7, 0xff, v7
	v_cmp_eq_u32_e32 vcc_lo, 1, v8
	s_waitcnt lgkmcnt(0)
	v_cndmask_b32_e32 v2, v4, v2, vcc_lo
	v_cndmask_b32_e32 v1, v3, v1, vcc_lo
	v_cndmask_b32_e64 v8, v7, 1, vcc_lo
.LBB242_200:
	s_or_b32 exec_lo, exec_lo, s2
	v_mov_b32_e32 v9, v8
.LBB242_201:
	s_or_b32 exec_lo, exec_lo, s1
	v_cmp_gt_u32_e32 vcc_lo, 28, v5
	v_add_nc_u32_e32 v8, 4, v5
	s_mov_b32 s1, exec_lo
	s_waitcnt lgkmcnt(1)
	v_cndmask_b32_e64 v3, 0, 4, vcc_lo
	s_waitcnt lgkmcnt(0)
	v_add_lshl_u32 v4, v3, v5, 2
	ds_bpermute_b32 v7, v4, v9
	ds_bpermute_b32 v3, v4, v1
	ds_bpermute_b32 v4, v4, v2
	v_cmpx_lt_u32_e64 v8, v6
	s_cbranch_execz .LBB242_207
; %bb.202:
	s_waitcnt lgkmcnt(2)
	v_and_b32_e32 v8, v9, v7
	s_mov_b32 s2, exec_lo
	v_and_b32_e32 v8, 1, v8
	v_cmpx_eq_u32_e32 1, v8
	s_xor_b32 s2, exec_lo, s2
	s_cbranch_execz .LBB242_204
; %bb.203:
	s_waitcnt lgkmcnt(0)
	v_cmp_lt_i64_e32 vcc_lo, v[3:4], v[1:2]
                                        ; implicit-def: $vgpr9
                                        ; implicit-def: $vgpr7
	v_cndmask_b32_e32 v2, v2, v4, vcc_lo
	v_cndmask_b32_e32 v1, v1, v3, vcc_lo
                                        ; implicit-def: $vgpr3_vgpr4
.LBB242_204:
	s_or_saveexec_b32 s2, s2
	v_mov_b32_e32 v8, 1
	s_xor_b32 exec_lo, exec_lo, s2
	s_cbranch_execz .LBB242_206
; %bb.205:
	v_and_b32_e32 v8, 1, v9
	v_and_b32_e32 v7, 0xff, v7
	v_cmp_eq_u32_e32 vcc_lo, 1, v8
	s_waitcnt lgkmcnt(0)
	v_cndmask_b32_e32 v2, v4, v2, vcc_lo
	v_cndmask_b32_e32 v1, v3, v1, vcc_lo
	v_cndmask_b32_e64 v8, v7, 1, vcc_lo
.LBB242_206:
	s_or_b32 exec_lo, exec_lo, s2
	v_mov_b32_e32 v9, v8
.LBB242_207:
	;; [unrolled: 46-line block ×3, first 2 shown]
	s_or_b32 exec_lo, exec_lo, s1
	s_waitcnt lgkmcnt(2)
	v_lshlrev_b32_e32 v7, 2, v5
	v_add_nc_u32_e32 v10, 16, v5
	s_waitcnt lgkmcnt(0)
	v_or_b32_e32 v4, 64, v7
	v_cmp_lt_u32_e32 vcc_lo, v10, v6
	v_mov_b32_e32 v6, v9
	ds_bpermute_b32 v8, v4, v9
	ds_bpermute_b32 v3, v4, v1
	;; [unrolled: 1-line block ×3, first 2 shown]
	s_and_saveexec_b32 s1, vcc_lo
	s_cbranch_execz .LBB242_219
; %bb.214:
	s_waitcnt lgkmcnt(2)
	v_and_b32_e32 v6, v9, v8
	s_mov_b32 s2, exec_lo
	v_and_b32_e32 v6, 1, v6
	v_cmpx_eq_u32_e32 1, v6
	s_xor_b32 s2, exec_lo, s2
	s_cbranch_execz .LBB242_216
; %bb.215:
	s_waitcnt lgkmcnt(0)
	v_cmp_lt_i64_e32 vcc_lo, v[3:4], v[1:2]
                                        ; implicit-def: $vgpr9
                                        ; implicit-def: $vgpr8
	v_cndmask_b32_e32 v2, v2, v4, vcc_lo
	v_cndmask_b32_e32 v1, v1, v3, vcc_lo
                                        ; implicit-def: $vgpr3_vgpr4
.LBB242_216:
	s_or_saveexec_b32 s2, s2
	v_mov_b32_e32 v6, 1
	s_xor_b32 exec_lo, exec_lo, s2
	s_cbranch_execz .LBB242_218
; %bb.217:
	v_and_b32_e32 v6, 1, v9
	v_cmp_eq_u32_e32 vcc_lo, 1, v6
	v_cndmask_b32_e64 v6, v8, 1, vcc_lo
	s_waitcnt lgkmcnt(0)
	v_cndmask_b32_e32 v2, v4, v2, vcc_lo
	v_cndmask_b32_e32 v1, v3, v1, vcc_lo
.LBB242_218:
	s_or_b32 exec_lo, exec_lo, s2
	v_and_b32_e32 v9, 0xff, v6
.LBB242_219:
	s_or_b32 exec_lo, exec_lo, s1
	s_mov_b32 s1, exec_lo
	v_cmpx_eq_u32_e32 0, v5
	s_cbranch_execz .LBB242_221
; %bb.220:
	s_waitcnt lgkmcnt(1)
	v_lshrrev_b32_e32 v3, 1, v0
	v_and_b32_e32 v3, 0x70, v3
	ds_write_b8 v3, v6 offset:512
	ds_write_b64 v3, v[1:2] offset:520
.LBB242_221:
	s_or_b32 exec_lo, exec_lo, s1
	s_mov_b32 s1, exec_lo
	s_waitcnt lgkmcnt(0)
	s_barrier
	buffer_gl0_inv
	v_cmpx_gt_u32_e32 8, v0
	s_cbranch_execz .LBB242_241
; %bb.222:
	v_lshlrev_b32_e32 v1, 4, v5
	v_and_b32_e32 v6, 7, v5
	s_add_i32 s0, s0, 31
	s_mov_b32 s2, exec_lo
	s_lshr_b32 s0, s0, 5
	ds_read_u8 v8, v1 offset:512
	ds_read_b64 v[1:2], v1 offset:520
	v_cmp_ne_u32_e32 vcc_lo, 7, v6
	v_add_nc_u32_e32 v11, 1, v6
	v_add_co_ci_u32_e64 v3, null, 0, v5, vcc_lo
	v_lshlrev_b32_e32 v4, 2, v3
	s_waitcnt lgkmcnt(1)
	v_and_b32_e32 v9, 0xff, v8
	s_waitcnt lgkmcnt(0)
	ds_bpermute_b32 v3, v4, v1
	ds_bpermute_b32 v10, v4, v9
	ds_bpermute_b32 v4, v4, v2
	v_cmpx_gt_u32_e64 s0, v11
	s_cbranch_execz .LBB242_228
; %bb.223:
	s_waitcnt lgkmcnt(1)
	v_and_b32_e32 v9, v9, v10
	s_mov_b32 s3, exec_lo
	v_and_b32_e32 v9, 1, v9
	v_cmpx_eq_u32_e32 1, v9
	s_xor_b32 s3, exec_lo, s3
	s_cbranch_execz .LBB242_225
; %bb.224:
	s_waitcnt lgkmcnt(0)
	v_cmp_lt_i64_e32 vcc_lo, v[3:4], v[1:2]
                                        ; implicit-def: $vgpr8
                                        ; implicit-def: $vgpr10
	v_cndmask_b32_e32 v2, v2, v4, vcc_lo
	v_cndmask_b32_e32 v1, v1, v3, vcc_lo
                                        ; implicit-def: $vgpr3_vgpr4
.LBB242_225:
	s_or_saveexec_b32 s3, s3
	v_mov_b32_e32 v9, 1
	s_xor_b32 exec_lo, exec_lo, s3
	s_cbranch_execz .LBB242_227
; %bb.226:
	v_and_b32_e32 v8, 1, v8
	v_cmp_eq_u32_e32 vcc_lo, 1, v8
	v_and_b32_e32 v8, 0xff, v10
	s_waitcnt lgkmcnt(0)
	v_cndmask_b32_e32 v2, v4, v2, vcc_lo
	v_cndmask_b32_e32 v1, v3, v1, vcc_lo
	v_cndmask_b32_e64 v9, v8, 1, vcc_lo
.LBB242_227:
	s_or_b32 exec_lo, exec_lo, s3
.LBB242_228:
	s_or_b32 exec_lo, exec_lo, s2
	v_cmp_gt_u32_e32 vcc_lo, 6, v6
	v_add_nc_u32_e32 v8, 2, v6
	s_mov_b32 s2, exec_lo
	s_waitcnt lgkmcnt(2)
	v_cndmask_b32_e64 v3, 0, 2, vcc_lo
	s_waitcnt lgkmcnt(0)
	v_add_lshl_u32 v4, v3, v5, 2
	ds_bpermute_b32 v5, v4, v9
	ds_bpermute_b32 v3, v4, v1
	;; [unrolled: 1-line block ×3, first 2 shown]
	v_cmpx_gt_u32_e64 s0, v8
	s_cbranch_execz .LBB242_234
; %bb.229:
	s_waitcnt lgkmcnt(2)
	v_and_b32_e32 v8, v9, v5
	s_mov_b32 s3, exec_lo
	v_and_b32_e32 v8, 1, v8
	v_cmpx_eq_u32_e32 1, v8
	s_xor_b32 s3, exec_lo, s3
	s_cbranch_execz .LBB242_231
; %bb.230:
	s_waitcnt lgkmcnt(0)
	v_cmp_lt_i64_e32 vcc_lo, v[3:4], v[1:2]
                                        ; implicit-def: $vgpr9
                                        ; implicit-def: $vgpr5
	v_cndmask_b32_e32 v2, v2, v4, vcc_lo
	v_cndmask_b32_e32 v1, v1, v3, vcc_lo
                                        ; implicit-def: $vgpr3_vgpr4
.LBB242_231:
	s_or_saveexec_b32 s3, s3
	v_mov_b32_e32 v8, 1
	s_xor_b32 exec_lo, exec_lo, s3
	s_cbranch_execz .LBB242_233
; %bb.232:
	v_and_b32_e32 v8, 1, v9
	v_and_b32_e32 v5, 0xff, v5
	v_cmp_eq_u32_e32 vcc_lo, 1, v8
	s_waitcnt lgkmcnt(0)
	v_cndmask_b32_e32 v2, v4, v2, vcc_lo
	v_cndmask_b32_e32 v1, v3, v1, vcc_lo
	v_cndmask_b32_e64 v8, v5, 1, vcc_lo
.LBB242_233:
	s_or_b32 exec_lo, exec_lo, s3
	v_mov_b32_e32 v9, v8
.LBB242_234:
	s_or_b32 exec_lo, exec_lo, s2
	s_waitcnt lgkmcnt(0)
	v_or_b32_e32 v4, 16, v7
	v_add_nc_u32_e32 v6, 4, v6
	ds_bpermute_b32 v5, v4, v9
	ds_bpermute_b32 v3, v4, v1
	;; [unrolled: 1-line block ×3, first 2 shown]
	v_cmp_gt_u32_e32 vcc_lo, s0, v6
	s_and_saveexec_b32 s0, vcc_lo
	s_cbranch_execz .LBB242_240
; %bb.235:
	s_waitcnt lgkmcnt(2)
	v_and_b32_e32 v6, v9, v5
	s_mov_b32 s2, exec_lo
	v_and_b32_e32 v6, 1, v6
	v_cmpx_eq_u32_e32 1, v6
	s_xor_b32 s2, exec_lo, s2
	s_cbranch_execz .LBB242_237
; %bb.236:
	s_waitcnt lgkmcnt(0)
	v_cmp_lt_i64_e32 vcc_lo, v[3:4], v[1:2]
                                        ; implicit-def: $vgpr9
                                        ; implicit-def: $vgpr5
	v_cndmask_b32_e32 v2, v2, v4, vcc_lo
	v_cndmask_b32_e32 v1, v1, v3, vcc_lo
                                        ; implicit-def: $vgpr3_vgpr4
.LBB242_237:
	s_or_saveexec_b32 s2, s2
	v_mov_b32_e32 v6, 1
	s_xor_b32 exec_lo, exec_lo, s2
	s_cbranch_execz .LBB242_239
; %bb.238:
	v_and_b32_e32 v6, 1, v9
	v_cmp_eq_u32_e32 vcc_lo, 1, v6
	s_waitcnt lgkmcnt(0)
	v_cndmask_b32_e32 v2, v4, v2, vcc_lo
	v_cndmask_b32_e32 v1, v3, v1, vcc_lo
	v_cndmask_b32_e64 v6, v5, 1, vcc_lo
.LBB242_239:
	s_or_b32 exec_lo, exec_lo, s2
	v_mov_b32_e32 v9, v6
.LBB242_240:
	s_or_b32 exec_lo, exec_lo, s0
.LBB242_241:
	s_or_b32 exec_lo, exec_lo, s1
.LBB242_242:
                                        ; implicit-def: $vgpr3_vgpr4
                                        ; implicit-def: $vgpr5
	s_mov_b32 s0, exec_lo
	v_cmpx_eq_u32_e32 0, v0
	s_xor_b32 s2, exec_lo, s0
	s_cbranch_execz .LBB242_246
; %bb.243:
	s_waitcnt lgkmcnt(0)
	v_mov_b32_e32 v3, s20
	v_mov_b32_e32 v4, s21
	;; [unrolled: 1-line block ×3, first 2 shown]
	s_cmp_eq_u64 s[14:15], 0
	s_cbranch_scc1 .LBB242_245
; %bb.244:
	v_and_b32_e32 v3, 1, v9
	v_cmp_gt_i64_e32 vcc_lo, s[20:21], v[1:2]
	s_bitcmp1_b32 s24, 0
	s_cselect_b32 s1, -1, 0
	v_cmp_eq_u32_e64 s0, 1, v3
	v_cndmask_b32_e64 v5, v9, 1, s1
	s_and_b32 vcc_lo, s0, vcc_lo
	v_cndmask_b32_e32 v3, s20, v1, vcc_lo
	v_cndmask_b32_e32 v4, s21, v2, vcc_lo
	v_cndmask_b32_e64 v3, v1, v3, s1
	v_cndmask_b32_e64 v4, v2, v4, s1
.LBB242_245:
	s_or_b32 s22, s22, exec_lo
.LBB242_246:
	s_or_b32 exec_lo, exec_lo, s2
	v_mov_b32_e32 v1, s6
	v_mov_b32_e32 v2, s7
	s_branch .LBB242_356
.LBB242_247:
	s_cmp_gt_i32 s25, 1
	s_cbranch_scc0 .LBB242_267
; %bb.248:
	s_cmp_eq_u32 s25, 2
	s_cbranch_scc0 .LBB242_268
; %bb.249:
	s_mov_b32 s7, 0
	s_lshl_b32 s10, s6, 9
	s_mov_b32 s11, s7
	s_lshr_b64 s[26:27], s[14:15], 9
	s_lshl_b64 s[0:1], s[10:11], 3
	s_add_u32 s2, s16, s0
	s_addc_u32 s3, s17, s1
	s_add_u32 s8, s18, s0
	s_addc_u32 s9, s19, s1
	;; [unrolled: 2-line block ×3, first 2 shown]
	s_cmp_lg_u64 s[26:27], s[6:7]
	s_cbranch_scc0 .LBB242_269
; %bb.250:
	v_lshlrev_b32_e32 v7, 3, v0
	v_add_co_u32 v1, s0, s2, v7
	v_add_co_ci_u32_e64 v2, null, s3, 0, s0
	s_waitcnt lgkmcnt(1)
	v_add_co_u32 v3, s0, s8, v7
	s_waitcnt lgkmcnt(0)
	v_add_co_ci_u32_e64 v4, null, s9, 0, s0
	v_add_co_u32 v1, vcc_lo, 0x800, v1
	v_add_co_ci_u32_e64 v2, null, 0, v2, vcc_lo
	v_add_co_u32 v3, vcc_lo, 0x800, v3
	v_add_co_ci_u32_e64 v4, null, 0, v4, vcc_lo
	s_clause 0x1
	global_load_dwordx2 v[5:6], v7, s[2:3]
	global_load_dwordx2 v[7:8], v7, s[8:9]
	global_load_dwordx2 v[1:2], v[1:2], off
	global_load_dwordx2 v[3:4], v[3:4], off
	v_add_co_u32 v9, s0, s11, v0
	v_add_co_ci_u32_e64 v10, null, s23, 0, s0
	v_add_co_u32 v11, vcc_lo, 0x100, v9
	v_add_co_ci_u32_e64 v12, null, 0, v10, vcc_lo
	s_waitcnt vmcnt(2)
	v_cmp_ne_u64_e32 vcc_lo, v[5:6], v[7:8]
	v_mbcnt_lo_u32_b32 v8, -1, 0
	s_waitcnt vmcnt(0)
	v_cmp_ne_u64_e64 s0, v[1:2], v[3:4]
	v_cndmask_b32_e32 v5, v12, v10, vcc_lo
	v_cndmask_b32_e32 v4, v11, v9, vcc_lo
	s_or_b32 s0, vcc_lo, s0
	v_cndmask_b32_e64 v3, 0, 1, s0
	v_mov_b32_dpp v2, v5 quad_perm:[1,0,3,2] row_mask:0xf bank_mask:0xf
	v_mov_b32_dpp v1, v4 quad_perm:[1,0,3,2] row_mask:0xf bank_mask:0xf
	;; [unrolled: 1-line block ×3, first 2 shown]
	v_cmp_lt_i64_e32 vcc_lo, v[4:5], v[1:2]
	v_and_b32_e32 v6, 1, v6
	s_and_b32 vcc_lo, s0, vcc_lo
	v_cndmask_b32_e32 v1, v1, v4, vcc_lo
	v_cndmask_b32_e32 v2, v2, v5, vcc_lo
	v_cmp_eq_u32_e32 vcc_lo, 1, v6
	v_cndmask_b32_e32 v2, v5, v2, vcc_lo
	v_cndmask_b32_e32 v1, v4, v1, vcc_lo
	v_cndmask_b32_e64 v5, v3, 1, vcc_lo
	v_mov_b32_dpp v4, v2 quad_perm:[2,3,0,1] row_mask:0xf bank_mask:0xf
	v_mov_b32_dpp v3, v1 quad_perm:[2,3,0,1] row_mask:0xf bank_mask:0xf
	v_and_b32_e32 v7, 1, v5
	v_mov_b32_dpp v6, v5 quad_perm:[2,3,0,1] row_mask:0xf bank_mask:0xf
	v_cmp_lt_i64_e32 vcc_lo, v[1:2], v[3:4]
	v_cmp_eq_u32_e64 s0, 1, v7
	v_and_b32_e32 v6, 1, v6
	s_and_b32 vcc_lo, s0, vcc_lo
	v_cmp_eq_u32_e64 s1, 1, v6
	v_cndmask_b32_e32 v3, v3, v1, vcc_lo
	v_cndmask_b32_e32 v4, v4, v2, vcc_lo
	v_cndmask_b32_e64 v5, v5, 1, s1
	v_cndmask_b32_e64 v1, v1, v3, s1
	;; [unrolled: 1-line block ×3, first 2 shown]
	v_and_b32_e32 v7, 1, v5
	v_mov_b32_dpp v3, v1 row_ror:4 row_mask:0xf bank_mask:0xf
	v_mov_b32_dpp v4, v2 row_ror:4 row_mask:0xf bank_mask:0xf
	;; [unrolled: 1-line block ×3, first 2 shown]
	v_cmp_eq_u32_e64 s0, 1, v7
	v_cmp_lt_i64_e32 vcc_lo, v[1:2], v[3:4]
	v_and_b32_e32 v6, 1, v6
	s_and_b32 vcc_lo, s0, vcc_lo
	v_cmp_eq_u32_e64 s1, 1, v6
	v_cndmask_b32_e32 v3, v3, v1, vcc_lo
	v_cndmask_b32_e32 v4, v4, v2, vcc_lo
	v_cndmask_b32_e64 v5, v5, 1, s1
	v_cndmask_b32_e64 v1, v1, v3, s1
	;; [unrolled: 1-line block ×3, first 2 shown]
	v_and_b32_e32 v7, 1, v5
	v_mov_b32_dpp v3, v1 row_ror:8 row_mask:0xf bank_mask:0xf
	v_mov_b32_dpp v4, v2 row_ror:8 row_mask:0xf bank_mask:0xf
	;; [unrolled: 1-line block ×3, first 2 shown]
	v_cmp_eq_u32_e64 s0, 1, v7
	v_cmp_lt_i64_e32 vcc_lo, v[1:2], v[3:4]
	v_and_b32_e32 v6, 1, v6
	s_and_b32 vcc_lo, s0, vcc_lo
	v_cmp_eq_u32_e64 s1, 1, v6
	v_cndmask_b32_e32 v3, v3, v1, vcc_lo
	v_cndmask_b32_e32 v4, v4, v2, vcc_lo
	v_cndmask_b32_e64 v5, v5, 1, s1
	v_cndmask_b32_e64 v1, v1, v3, s1
	;; [unrolled: 1-line block ×3, first 2 shown]
	ds_swizzle_b32 v6, v5 offset:swizzle(BROADCAST,32,15)
	ds_swizzle_b32 v3, v1 offset:swizzle(BROADCAST,32,15)
	;; [unrolled: 1-line block ×3, first 2 shown]
	v_and_b32_e32 v7, 1, v5
	v_cmp_eq_u32_e64 s0, 1, v7
	s_waitcnt lgkmcnt(2)
	v_and_b32_e32 v6, 1, v6
	s_waitcnt lgkmcnt(0)
	v_cmp_lt_i64_e32 vcc_lo, v[1:2], v[3:4]
	v_cmp_eq_u32_e64 s1, 1, v6
	v_mov_b32_e32 v6, 0
	s_and_b32 vcc_lo, s0, vcc_lo
	s_mov_b32 s0, exec_lo
	v_cndmask_b32_e32 v3, v3, v1, vcc_lo
	v_cndmask_b32_e32 v4, v4, v2, vcc_lo
	v_cndmask_b32_e64 v5, v5, 1, s1
	v_cndmask_b32_e64 v1, v1, v3, s1
	;; [unrolled: 1-line block ×3, first 2 shown]
	ds_bpermute_b32 v7, v6, v5 offset:124
	ds_bpermute_b32 v1, v6, v1 offset:124
	;; [unrolled: 1-line block ×3, first 2 shown]
	v_cmpx_eq_u32_e32 0, v8
	s_cbranch_execz .LBB242_252
; %bb.251:
	v_lshrrev_b32_e32 v3, 1, v0
	v_and_b32_e32 v3, 0x70, v3
	s_waitcnt lgkmcnt(2)
	ds_write_b8 v3, v7 offset:128
	s_waitcnt lgkmcnt(1)
	ds_write_b64 v3, v[1:2] offset:136
.LBB242_252:
	s_or_b32 exec_lo, exec_lo, s0
	s_mov_b32 s0, exec_lo
	s_waitcnt lgkmcnt(0)
	s_barrier
	buffer_gl0_inv
	v_cmpx_gt_u32_e32 32, v0
	s_cbranch_execz .LBB242_266
; %bb.253:
	v_and_b32_e32 v7, 7, v8
	v_lshlrev_b32_e32 v1, 4, v7
	v_cmp_ne_u32_e32 vcc_lo, 7, v7
	ds_read_u8 v10, v1 offset:128
	ds_read_b64 v[3:4], v1 offset:136
	v_add_co_ci_u32_e64 v2, null, 0, v8, vcc_lo
	v_lshlrev_b32_e32 v2, 2, v2
	s_waitcnt lgkmcnt(1)
	v_and_b32_e32 v1, 0xff, v10
	s_waitcnt lgkmcnt(0)
	ds_bpermute_b32 v5, v2, v3
	ds_bpermute_b32 v6, v2, v4
	;; [unrolled: 1-line block ×3, first 2 shown]
	s_waitcnt lgkmcnt(0)
	v_and_b32_e32 v1, v10, v11
	v_and_b32_e32 v1, 1, v1
	v_cmp_eq_u32_e32 vcc_lo, 1, v1
                                        ; implicit-def: $vgpr1_vgpr2
	s_and_saveexec_b32 s1, vcc_lo
	s_xor_b32 s1, exec_lo, s1
; %bb.254:
	v_cmp_lt_i64_e32 vcc_lo, v[5:6], v[3:4]
                                        ; implicit-def: $vgpr10
                                        ; implicit-def: $vgpr11
	v_cndmask_b32_e32 v2, v4, v6, vcc_lo
	v_cndmask_b32_e32 v1, v3, v5, vcc_lo
                                        ; implicit-def: $vgpr5_vgpr6
                                        ; implicit-def: $vgpr3_vgpr4
; %bb.255:
	s_or_saveexec_b32 s1, s1
	v_mov_b32_e32 v9, 1
	s_xor_b32 exec_lo, exec_lo, s1
; %bb.256:
	v_and_b32_e32 v1, 1, v10
	v_and_b32_e32 v9, 0xff, v11
	v_cmp_eq_u32_e32 vcc_lo, 1, v1
	v_cndmask_b32_e32 v2, v6, v4, vcc_lo
	v_cndmask_b32_e32 v1, v5, v3, vcc_lo
	v_cndmask_b32_e64 v9, v9, 1, vcc_lo
; %bb.257:
	s_or_b32 exec_lo, exec_lo, s1
	v_cmp_gt_u32_e32 vcc_lo, 6, v7
	v_cndmask_b32_e64 v3, 0, 2, vcc_lo
	v_add_lshl_u32 v3, v3, v8, 2
	ds_bpermute_b32 v7, v3, v9
	ds_bpermute_b32 v5, v3, v1
	;; [unrolled: 1-line block ×3, first 2 shown]
	s_waitcnt lgkmcnt(2)
	v_and_b32_e32 v3, v9, v7
	v_and_b32_e32 v3, 1, v3
	v_cmp_eq_u32_e32 vcc_lo, 1, v3
                                        ; implicit-def: $vgpr3_vgpr4
	s_and_saveexec_b32 s1, vcc_lo
	s_xor_b32 s1, exec_lo, s1
	s_cbranch_execz .LBB242_259
; %bb.258:
	s_waitcnt lgkmcnt(0)
	v_cmp_lt_i64_e32 vcc_lo, v[5:6], v[1:2]
                                        ; implicit-def: $vgpr9
                                        ; implicit-def: $vgpr7
	v_cndmask_b32_e32 v4, v2, v6, vcc_lo
	v_cndmask_b32_e32 v3, v1, v5, vcc_lo
                                        ; implicit-def: $vgpr5_vgpr6
                                        ; implicit-def: $vgpr1_vgpr2
.LBB242_259:
	s_or_saveexec_b32 s1, s1
	v_lshlrev_b32_e32 v10, 2, v8
	v_mov_b32_e32 v8, 1
	s_xor_b32 exec_lo, exec_lo, s1
	s_cbranch_execz .LBB242_261
; %bb.260:
	v_and_b32_e32 v3, 1, v9
	v_and_b32_e32 v7, 0xff, v7
	v_cmp_eq_u32_e32 vcc_lo, 1, v3
	s_waitcnt lgkmcnt(0)
	v_cndmask_b32_e32 v4, v6, v2, vcc_lo
	v_cndmask_b32_e32 v3, v5, v1, vcc_lo
	v_cndmask_b32_e64 v8, v7, 1, vcc_lo
.LBB242_261:
	s_or_b32 exec_lo, exec_lo, s1
	v_or_b32_e32 v1, 16, v10
	ds_bpermute_b32 v9, v1, v8
	s_waitcnt lgkmcnt(2)
	ds_bpermute_b32 v5, v1, v3
	s_waitcnt lgkmcnt(2)
	;; [unrolled: 2-line block ×3, first 2 shown]
	v_and_b32_e32 v1, v8, v9
	v_and_b32_e32 v1, 1, v1
	v_cmp_eq_u32_e32 vcc_lo, 1, v1
                                        ; implicit-def: $vgpr1_vgpr2
	s_and_saveexec_b32 s1, vcc_lo
	s_xor_b32 s1, exec_lo, s1
	s_cbranch_execz .LBB242_263
; %bb.262:
	s_waitcnt lgkmcnt(0)
	v_cmp_lt_i64_e32 vcc_lo, v[5:6], v[3:4]
                                        ; implicit-def: $vgpr8
                                        ; implicit-def: $vgpr9
	v_cndmask_b32_e32 v2, v4, v6, vcc_lo
	v_cndmask_b32_e32 v1, v3, v5, vcc_lo
                                        ; implicit-def: $vgpr5_vgpr6
                                        ; implicit-def: $vgpr3_vgpr4
.LBB242_263:
	s_or_saveexec_b32 s1, s1
	v_mov_b32_e32 v7, 1
	s_xor_b32 exec_lo, exec_lo, s1
	s_cbranch_execz .LBB242_265
; %bb.264:
	v_and_b32_e32 v1, 1, v8
	v_cmp_eq_u32_e32 vcc_lo, 1, v1
	s_waitcnt lgkmcnt(0)
	v_cndmask_b32_e32 v2, v6, v4, vcc_lo
	v_cndmask_b32_e32 v1, v5, v3, vcc_lo
	v_cndmask_b32_e64 v7, v9, 1, vcc_lo
.LBB242_265:
	s_or_b32 exec_lo, exec_lo, s1
.LBB242_266:
	s_or_b32 exec_lo, exec_lo, s0
	s_branch .LBB242_327
.LBB242_267:
                                        ; implicit-def: $vgpr3_vgpr4
                                        ; implicit-def: $vgpr5
                                        ; implicit-def: $vgpr1_vgpr2
	s_cbranch_execnz .LBB242_332
	s_branch .LBB242_356
.LBB242_268:
                                        ; implicit-def: $vgpr3_vgpr4
                                        ; implicit-def: $vgpr5
                                        ; implicit-def: $vgpr1_vgpr2
	s_branch .LBB242_356
.LBB242_269:
                                        ; implicit-def: $vgpr1_vgpr2
                                        ; implicit-def: $vgpr7
	s_cbranch_execz .LBB242_327
; %bb.270:
	s_waitcnt lgkmcnt(0)
	v_mov_b32_e32 v3, 0
	v_mov_b32_e32 v1, 0
	;; [unrolled: 1-line block ×6, first 2 shown]
	s_sub_i32 s10, s14, s10
	s_mov_b32 s0, exec_lo
	v_cmpx_gt_u32_e64 s10, v0
	s_cbranch_execz .LBB242_272
; %bb.271:
	v_lshlrev_b32_e32 v1, 3, v0
	s_clause 0x1
	global_load_dwordx2 v[6:7], v1, s[2:3]
	global_load_dwordx2 v[8:9], v1, s[8:9]
	v_add_co_u32 v1, s1, s11, v0
	v_add_co_ci_u32_e64 v2, null, s23, 0, s1
	s_waitcnt vmcnt(0)
	v_cmp_ne_u64_e32 vcc_lo, v[6:7], v[8:9]
	v_cndmask_b32_e64 v6, 0, 1, vcc_lo
.LBB242_272:
	s_or_b32 exec_lo, exec_lo, s0
	v_or_b32_e32 v7, 0x100, v0
	v_cmp_gt_u32_e32 vcc_lo, s10, v7
	s_and_saveexec_b32 s1, vcc_lo
	s_cbranch_execz .LBB242_274
; %bb.273:
	v_lshlrev_b32_e32 v3, 3, v7
	s_clause 0x1
	global_load_dwordx2 v[8:9], v3, s[2:3]
	global_load_dwordx2 v[10:11], v3, s[8:9]
	v_add_co_u32 v3, s0, s11, v7
	v_add_co_ci_u32_e64 v4, null, s23, 0, s0
	s_waitcnt vmcnt(0)
	v_cmp_ne_u64_e64 s0, v[8:9], v[10:11]
	v_cndmask_b32_e64 v5, 0, 1, s0
.LBB242_274:
	s_or_b32 exec_lo, exec_lo, s1
	v_and_b32_e32 v7, 1, v5
	v_cmp_lt_i64_e64 s0, v[3:4], v[1:2]
	v_and_b32_e32 v8, 0xffff, v5
	v_mbcnt_lo_u32_b32 v5, -1, 0
	v_cmp_eq_u32_e64 s1, 1, v7
	v_and_b32_e32 v7, 0xffff, v6
	v_and_b32_e32 v6, 1, v6
	s_and_b32 s0, s1, s0
	v_cmp_ne_u32_e64 s1, 31, v5
	v_cndmask_b32_e64 v9, v2, v4, s0
	v_cndmask_b32_e64 v10, v1, v3, s0
	v_cmp_eq_u32_e64 s0, 1, v6
	v_cndmask_b32_e64 v6, v8, 1, s0
	v_add_co_ci_u32_e64 v8, null, 0, v5, s1
	v_cndmask_b32_e64 v3, v3, v10, s0
	v_cndmask_b32_e64 v4, v4, v9, s0
	v_cndmask_b32_e32 v7, v7, v6, vcc_lo
	v_lshlrev_b32_e32 v6, 2, v8
	s_min_u32 s0, s10, 0x100
	v_cndmask_b32_e32 v1, v1, v3, vcc_lo
	v_cndmask_b32_e32 v2, v2, v4, vcc_lo
	v_add_nc_u32_e32 v9, 1, v5
	ds_bpermute_b32 v8, v6, v7
	s_mov_b32 s1, exec_lo
	ds_bpermute_b32 v3, v6, v1
	ds_bpermute_b32 v4, v6, v2
	v_and_b32_e32 v6, 0xe0, v0
	v_sub_nc_u32_e64 v6, s0, v6 clamp
	v_cmpx_lt_u32_e64 v9, v6
	s_cbranch_execz .LBB242_280
; %bb.275:
	s_waitcnt lgkmcnt(2)
	v_and_b32_e32 v9, v7, v8
	s_mov_b32 s2, exec_lo
	v_cmpx_ne_u32_e32 0, v9
	s_xor_b32 s2, exec_lo, s2
	s_cbranch_execz .LBB242_277
; %bb.276:
	s_waitcnt lgkmcnt(0)
	v_cmp_lt_i64_e32 vcc_lo, v[3:4], v[1:2]
                                        ; implicit-def: $vgpr7
                                        ; implicit-def: $vgpr8
	v_cndmask_b32_e32 v2, v2, v4, vcc_lo
	v_cndmask_b32_e32 v1, v1, v3, vcc_lo
                                        ; implicit-def: $vgpr3_vgpr4
.LBB242_277:
	s_or_saveexec_b32 s2, s2
	v_mov_b32_e32 v9, 1
	s_xor_b32 exec_lo, exec_lo, s2
	s_cbranch_execz .LBB242_279
; %bb.278:
	v_and_b32_e32 v7, 1, v7
	v_cmp_eq_u32_e32 vcc_lo, 1, v7
	v_and_b32_e32 v7, 0xff, v8
	s_waitcnt lgkmcnt(0)
	v_cndmask_b32_e32 v2, v4, v2, vcc_lo
	v_cndmask_b32_e32 v1, v3, v1, vcc_lo
	v_cndmask_b32_e64 v9, v7, 1, vcc_lo
.LBB242_279:
	s_or_b32 exec_lo, exec_lo, s2
	v_mov_b32_e32 v7, v9
.LBB242_280:
	s_or_b32 exec_lo, exec_lo, s1
	v_cmp_gt_u32_e32 vcc_lo, 30, v5
	v_add_nc_u32_e32 v9, 2, v5
	s_mov_b32 s1, exec_lo
	s_waitcnt lgkmcnt(1)
	v_cndmask_b32_e64 v3, 0, 2, vcc_lo
	s_waitcnt lgkmcnt(0)
	v_add_lshl_u32 v4, v3, v5, 2
	ds_bpermute_b32 v8, v4, v7
	ds_bpermute_b32 v3, v4, v1
	ds_bpermute_b32 v4, v4, v2
	v_cmpx_lt_u32_e64 v9, v6
	s_cbranch_execz .LBB242_286
; %bb.281:
	s_waitcnt lgkmcnt(2)
	v_and_b32_e32 v9, v7, v8
	s_mov_b32 s2, exec_lo
	v_and_b32_e32 v9, 1, v9
	v_cmpx_eq_u32_e32 1, v9
	s_xor_b32 s2, exec_lo, s2
	s_cbranch_execz .LBB242_283
; %bb.282:
	s_waitcnt lgkmcnt(0)
	v_cmp_lt_i64_e32 vcc_lo, v[3:4], v[1:2]
                                        ; implicit-def: $vgpr7
                                        ; implicit-def: $vgpr8
	v_cndmask_b32_e32 v2, v2, v4, vcc_lo
	v_cndmask_b32_e32 v1, v1, v3, vcc_lo
                                        ; implicit-def: $vgpr3_vgpr4
.LBB242_283:
	s_or_saveexec_b32 s2, s2
	v_mov_b32_e32 v9, 1
	s_xor_b32 exec_lo, exec_lo, s2
	s_cbranch_execz .LBB242_285
; %bb.284:
	v_and_b32_e32 v7, 1, v7
	v_cmp_eq_u32_e32 vcc_lo, 1, v7
	v_and_b32_e32 v7, 0xff, v8
	s_waitcnt lgkmcnt(0)
	v_cndmask_b32_e32 v2, v4, v2, vcc_lo
	v_cndmask_b32_e32 v1, v3, v1, vcc_lo
	v_cndmask_b32_e64 v9, v7, 1, vcc_lo
.LBB242_285:
	s_or_b32 exec_lo, exec_lo, s2
	v_mov_b32_e32 v7, v9
.LBB242_286:
	s_or_b32 exec_lo, exec_lo, s1
	v_cmp_gt_u32_e32 vcc_lo, 28, v5
	v_add_nc_u32_e32 v9, 4, v5
	s_mov_b32 s1, exec_lo
	s_waitcnt lgkmcnt(1)
	v_cndmask_b32_e64 v3, 0, 4, vcc_lo
	s_waitcnt lgkmcnt(0)
	v_add_lshl_u32 v4, v3, v5, 2
	ds_bpermute_b32 v8, v4, v7
	ds_bpermute_b32 v3, v4, v1
	ds_bpermute_b32 v4, v4, v2
	v_cmpx_lt_u32_e64 v9, v6
	s_cbranch_execz .LBB242_292
; %bb.287:
	s_waitcnt lgkmcnt(2)
	v_and_b32_e32 v9, v7, v8
	s_mov_b32 s2, exec_lo
	v_and_b32_e32 v9, 1, v9
	v_cmpx_eq_u32_e32 1, v9
	s_xor_b32 s2, exec_lo, s2
	s_cbranch_execz .LBB242_289
; %bb.288:
	s_waitcnt lgkmcnt(0)
	v_cmp_lt_i64_e32 vcc_lo, v[3:4], v[1:2]
                                        ; implicit-def: $vgpr7
                                        ; implicit-def: $vgpr8
	v_cndmask_b32_e32 v2, v2, v4, vcc_lo
	v_cndmask_b32_e32 v1, v1, v3, vcc_lo
                                        ; implicit-def: $vgpr3_vgpr4
.LBB242_289:
	s_or_saveexec_b32 s2, s2
	v_mov_b32_e32 v9, 1
	s_xor_b32 exec_lo, exec_lo, s2
	s_cbranch_execz .LBB242_291
; %bb.290:
	v_and_b32_e32 v7, 1, v7
	v_cmp_eq_u32_e32 vcc_lo, 1, v7
	v_and_b32_e32 v7, 0xff, v8
	s_waitcnt lgkmcnt(0)
	v_cndmask_b32_e32 v2, v4, v2, vcc_lo
	v_cndmask_b32_e32 v1, v3, v1, vcc_lo
	v_cndmask_b32_e64 v9, v7, 1, vcc_lo
.LBB242_291:
	s_or_b32 exec_lo, exec_lo, s2
	v_mov_b32_e32 v7, v9
.LBB242_292:
	;; [unrolled: 46-line block ×3, first 2 shown]
	s_or_b32 exec_lo, exec_lo, s1
	s_waitcnt lgkmcnt(2)
	v_lshlrev_b32_e32 v8, 2, v5
	v_add_nc_u32_e32 v10, 16, v5
	s_waitcnt lgkmcnt(0)
	v_or_b32_e32 v4, 64, v8
	v_cmp_lt_u32_e32 vcc_lo, v10, v6
	v_mov_b32_e32 v6, v7
	ds_bpermute_b32 v9, v4, v7
	ds_bpermute_b32 v3, v4, v1
	;; [unrolled: 1-line block ×3, first 2 shown]
	s_and_saveexec_b32 s1, vcc_lo
	s_cbranch_execz .LBB242_304
; %bb.299:
	s_waitcnt lgkmcnt(2)
	v_and_b32_e32 v6, v7, v9
	s_mov_b32 s2, exec_lo
	v_and_b32_e32 v6, 1, v6
	v_cmpx_eq_u32_e32 1, v6
	s_xor_b32 s2, exec_lo, s2
	s_cbranch_execz .LBB242_301
; %bb.300:
	s_waitcnt lgkmcnt(0)
	v_cmp_lt_i64_e32 vcc_lo, v[3:4], v[1:2]
                                        ; implicit-def: $vgpr7
                                        ; implicit-def: $vgpr9
	v_cndmask_b32_e32 v2, v2, v4, vcc_lo
	v_cndmask_b32_e32 v1, v1, v3, vcc_lo
                                        ; implicit-def: $vgpr3_vgpr4
.LBB242_301:
	s_or_saveexec_b32 s2, s2
	v_mov_b32_e32 v6, 1
	s_xor_b32 exec_lo, exec_lo, s2
	s_cbranch_execz .LBB242_303
; %bb.302:
	v_and_b32_e32 v6, 1, v7
	v_cmp_eq_u32_e32 vcc_lo, 1, v6
	v_cndmask_b32_e64 v6, v9, 1, vcc_lo
	s_waitcnt lgkmcnt(0)
	v_cndmask_b32_e32 v2, v4, v2, vcc_lo
	v_cndmask_b32_e32 v1, v3, v1, vcc_lo
.LBB242_303:
	s_or_b32 exec_lo, exec_lo, s2
	v_and_b32_e32 v7, 0xff, v6
.LBB242_304:
	s_or_b32 exec_lo, exec_lo, s1
	s_mov_b32 s1, exec_lo
	v_cmpx_eq_u32_e32 0, v5
	s_cbranch_execz .LBB242_306
; %bb.305:
	s_waitcnt lgkmcnt(1)
	v_lshrrev_b32_e32 v3, 1, v0
	v_and_b32_e32 v3, 0x70, v3
	ds_write_b8 v3, v6 offset:512
	ds_write_b64 v3, v[1:2] offset:520
.LBB242_306:
	s_or_b32 exec_lo, exec_lo, s1
	s_mov_b32 s1, exec_lo
	s_waitcnt lgkmcnt(0)
	s_barrier
	buffer_gl0_inv
	v_cmpx_gt_u32_e32 8, v0
	s_cbranch_execz .LBB242_326
; %bb.307:
	v_lshlrev_b32_e32 v1, 4, v5
	v_and_b32_e32 v6, 7, v5
	s_add_i32 s0, s0, 31
	s_mov_b32 s2, exec_lo
	s_lshr_b32 s0, s0, 5
	ds_read_u8 v9, v1 offset:512
	ds_read_b64 v[1:2], v1 offset:520
	v_cmp_ne_u32_e32 vcc_lo, 7, v6
	v_add_nc_u32_e32 v11, 1, v6
	v_add_co_ci_u32_e64 v3, null, 0, v5, vcc_lo
	v_lshlrev_b32_e32 v4, 2, v3
	s_waitcnt lgkmcnt(1)
	v_and_b32_e32 v7, 0xff, v9
	s_waitcnt lgkmcnt(0)
	ds_bpermute_b32 v3, v4, v1
	ds_bpermute_b32 v10, v4, v7
	;; [unrolled: 1-line block ×3, first 2 shown]
	v_cmpx_gt_u32_e64 s0, v11
	s_cbranch_execz .LBB242_313
; %bb.308:
	s_waitcnt lgkmcnt(1)
	v_and_b32_e32 v7, v7, v10
	s_mov_b32 s3, exec_lo
	v_and_b32_e32 v7, 1, v7
	v_cmpx_eq_u32_e32 1, v7
	s_xor_b32 s3, exec_lo, s3
	s_cbranch_execz .LBB242_310
; %bb.309:
	s_waitcnt lgkmcnt(0)
	v_cmp_lt_i64_e32 vcc_lo, v[3:4], v[1:2]
                                        ; implicit-def: $vgpr9
                                        ; implicit-def: $vgpr10
	v_cndmask_b32_e32 v2, v2, v4, vcc_lo
	v_cndmask_b32_e32 v1, v1, v3, vcc_lo
                                        ; implicit-def: $vgpr3_vgpr4
.LBB242_310:
	s_or_saveexec_b32 s3, s3
	v_mov_b32_e32 v7, 1
	s_xor_b32 exec_lo, exec_lo, s3
	s_cbranch_execz .LBB242_312
; %bb.311:
	v_and_b32_e32 v7, 1, v9
	v_cmp_eq_u32_e32 vcc_lo, 1, v7
	v_and_b32_e32 v7, 0xff, v10
	s_waitcnt lgkmcnt(0)
	v_cndmask_b32_e32 v2, v4, v2, vcc_lo
	v_cndmask_b32_e32 v1, v3, v1, vcc_lo
	v_cndmask_b32_e64 v7, v7, 1, vcc_lo
.LBB242_312:
	s_or_b32 exec_lo, exec_lo, s3
.LBB242_313:
	s_or_b32 exec_lo, exec_lo, s2
	v_cmp_gt_u32_e32 vcc_lo, 6, v6
	v_add_nc_u32_e32 v9, 2, v6
	s_mov_b32 s2, exec_lo
	s_waitcnt lgkmcnt(2)
	v_cndmask_b32_e64 v3, 0, 2, vcc_lo
	s_waitcnt lgkmcnt(0)
	v_add_lshl_u32 v4, v3, v5, 2
	ds_bpermute_b32 v5, v4, v7
	ds_bpermute_b32 v3, v4, v1
	;; [unrolled: 1-line block ×3, first 2 shown]
	v_cmpx_gt_u32_e64 s0, v9
	s_cbranch_execz .LBB242_319
; %bb.314:
	s_waitcnt lgkmcnt(2)
	v_and_b32_e32 v9, v7, v5
	s_mov_b32 s3, exec_lo
	v_and_b32_e32 v9, 1, v9
	v_cmpx_eq_u32_e32 1, v9
	s_xor_b32 s3, exec_lo, s3
	s_cbranch_execz .LBB242_316
; %bb.315:
	s_waitcnt lgkmcnt(0)
	v_cmp_lt_i64_e32 vcc_lo, v[3:4], v[1:2]
                                        ; implicit-def: $vgpr7
                                        ; implicit-def: $vgpr5
	v_cndmask_b32_e32 v2, v2, v4, vcc_lo
	v_cndmask_b32_e32 v1, v1, v3, vcc_lo
                                        ; implicit-def: $vgpr3_vgpr4
.LBB242_316:
	s_or_saveexec_b32 s3, s3
	v_mov_b32_e32 v9, 1
	s_xor_b32 exec_lo, exec_lo, s3
	s_cbranch_execz .LBB242_318
; %bb.317:
	v_and_b32_e32 v7, 1, v7
	v_and_b32_e32 v5, 0xff, v5
	v_cmp_eq_u32_e32 vcc_lo, 1, v7
	s_waitcnt lgkmcnt(0)
	v_cndmask_b32_e32 v2, v4, v2, vcc_lo
	v_cndmask_b32_e32 v1, v3, v1, vcc_lo
	v_cndmask_b32_e64 v9, v5, 1, vcc_lo
.LBB242_318:
	s_or_b32 exec_lo, exec_lo, s3
	v_mov_b32_e32 v7, v9
.LBB242_319:
	s_or_b32 exec_lo, exec_lo, s2
	s_waitcnt lgkmcnt(0)
	v_or_b32_e32 v4, 16, v8
	v_add_nc_u32_e32 v6, 4, v6
	ds_bpermute_b32 v5, v4, v7
	ds_bpermute_b32 v3, v4, v1
	;; [unrolled: 1-line block ×3, first 2 shown]
	v_cmp_gt_u32_e32 vcc_lo, s0, v6
	s_and_saveexec_b32 s0, vcc_lo
	s_cbranch_execz .LBB242_325
; %bb.320:
	s_waitcnt lgkmcnt(2)
	v_and_b32_e32 v6, v7, v5
	s_mov_b32 s2, exec_lo
	v_and_b32_e32 v6, 1, v6
	v_cmpx_eq_u32_e32 1, v6
	s_xor_b32 s2, exec_lo, s2
	s_cbranch_execz .LBB242_322
; %bb.321:
	s_waitcnt lgkmcnt(0)
	v_cmp_lt_i64_e32 vcc_lo, v[3:4], v[1:2]
                                        ; implicit-def: $vgpr7
                                        ; implicit-def: $vgpr5
	v_cndmask_b32_e32 v2, v2, v4, vcc_lo
	v_cndmask_b32_e32 v1, v1, v3, vcc_lo
                                        ; implicit-def: $vgpr3_vgpr4
.LBB242_322:
	s_or_saveexec_b32 s2, s2
	v_mov_b32_e32 v6, 1
	s_xor_b32 exec_lo, exec_lo, s2
	s_cbranch_execz .LBB242_324
; %bb.323:
	v_and_b32_e32 v6, 1, v7
	v_cmp_eq_u32_e32 vcc_lo, 1, v6
	s_waitcnt lgkmcnt(0)
	v_cndmask_b32_e32 v2, v4, v2, vcc_lo
	v_cndmask_b32_e32 v1, v3, v1, vcc_lo
	v_cndmask_b32_e64 v6, v5, 1, vcc_lo
.LBB242_324:
	s_or_b32 exec_lo, exec_lo, s2
	v_mov_b32_e32 v7, v6
.LBB242_325:
	s_or_b32 exec_lo, exec_lo, s0
.LBB242_326:
	s_or_b32 exec_lo, exec_lo, s1
.LBB242_327:
                                        ; implicit-def: $vgpr3_vgpr4
                                        ; implicit-def: $vgpr5
	s_mov_b32 s0, exec_lo
	v_cmpx_eq_u32_e32 0, v0
	s_xor_b32 s2, exec_lo, s0
	s_cbranch_execz .LBB242_331
; %bb.328:
	s_waitcnt lgkmcnt(0)
	v_mov_b32_e32 v3, s20
	v_mov_b32_e32 v4, s21
	;; [unrolled: 1-line block ×3, first 2 shown]
	s_cmp_eq_u64 s[14:15], 0
	s_cbranch_scc1 .LBB242_330
; %bb.329:
	v_and_b32_e32 v3, 1, v7
	v_cmp_gt_i64_e32 vcc_lo, s[20:21], v[1:2]
	s_bitcmp1_b32 s24, 0
	s_cselect_b32 s1, -1, 0
	v_cmp_eq_u32_e64 s0, 1, v3
	v_cndmask_b32_e64 v5, v7, 1, s1
	s_and_b32 vcc_lo, s0, vcc_lo
	v_cndmask_b32_e32 v3, s20, v1, vcc_lo
	v_cndmask_b32_e32 v4, s21, v2, vcc_lo
	v_cndmask_b32_e64 v3, v1, v3, s1
	v_cndmask_b32_e64 v4, v2, v4, s1
.LBB242_330:
	s_or_b32 s22, s22, exec_lo
.LBB242_331:
	s_or_b32 exec_lo, exec_lo, s2
	v_mov_b32_e32 v1, s6
	v_mov_b32_e32 v2, s7
	s_branch .LBB242_356
.LBB242_332:
	s_cmp_eq_u32 s25, 1
	s_cbranch_scc0 .LBB242_355
; %bb.333:
	s_mov_b32 s3, 0
	s_lshr_b64 s[0:1], s[14:15], 8
	s_mov_b32 s7, s3
	s_lshl_b32 s2, s6, 8
	s_cmp_lg_u64 s[0:1], s[6:7]
	s_cbranch_scc0 .LBB242_359
; %bb.334:
	s_lshl_b64 s[0:1], s[2:3], 3
	s_waitcnt lgkmcnt(1)
	v_lshlrev_b32_e32 v3, 3, v0
	s_add_u32 s8, s16, s0
	s_addc_u32 s9, s17, s1
	s_add_u32 s0, s18, s0
	s_addc_u32 s1, s19, s1
	global_load_dwordx2 v[1:2], v3, s[8:9]
	s_waitcnt lgkmcnt(0)
	global_load_dwordx2 v[3:4], v3, s[0:1]
	s_add_u32 s0, s12, s2
	s_addc_u32 s1, s13, 0
	v_add_co_u32 v5, s0, s0, v0
	v_add_co_ci_u32_e64 v6, null, s1, 0, s0
	v_mov_b32_dpp v7, v5 quad_perm:[1,0,3,2] row_mask:0xf bank_mask:0xf
	v_mov_b32_dpp v8, v6 quad_perm:[1,0,3,2] row_mask:0xf bank_mask:0xf
	v_cmp_lt_i64_e64 s0, v[5:6], v[7:8]
	s_waitcnt vmcnt(0)
	v_cmp_ne_u64_e32 vcc_lo, v[1:2], v[3:4]
	v_cndmask_b32_e64 v1, 0, 1, vcc_lo
	s_and_b32 s0, vcc_lo, s0
	v_cndmask_b32_e64 v2, v7, v5, s0
	v_cndmask_b32_e64 v3, v8, v6, s0
	v_mov_b32_dpp v1, v1 quad_perm:[1,0,3,2] row_mask:0xf bank_mask:0xf
                                        ; implicit-def: $vgpr7
	v_and_b32_e32 v1, 1, v1
	v_cmp_eq_u32_e64 s0, 1, v1
	s_or_b32 s1, s0, vcc_lo
	v_cndmask_b32_e64 v4, v6, v3, s0
	v_cndmask_b32_e64 v1, 0, 1, s1
	;; [unrolled: 1-line block ×3, first 2 shown]
	v_mov_b32_dpp v6, v4 quad_perm:[2,3,0,1] row_mask:0xf bank_mask:0xf
	v_mov_b32_dpp v1, v1 quad_perm:[2,3,0,1] row_mask:0xf bank_mask:0xf
	;; [unrolled: 1-line block ×3, first 2 shown]
	v_and_b32_e32 v1, 1, v1
	v_cmp_eq_u32_e32 vcc_lo, 1, v1
                                        ; implicit-def: $vgpr1_vgpr2
	s_and_b32 s0, vcc_lo, s1
	s_xor_b32 s0, s0, -1
	s_and_saveexec_b32 s8, s0
	s_xor_b32 s0, exec_lo, s8
; %bb.335:
	s_or_b32 s1, vcc_lo, s1
	v_cndmask_b32_e32 v2, v4, v6, vcc_lo
	v_cndmask_b32_e32 v1, v3, v5, vcc_lo
	v_cndmask_b32_e64 v7, 0, 1, s1
                                        ; implicit-def: $vgpr3_vgpr4
                                        ; implicit-def: $vgpr5_vgpr6
; %bb.336:
	s_andn2_saveexec_b32 s0, s0
; %bb.337:
	v_cmp_lt_i64_e32 vcc_lo, v[3:4], v[5:6]
	v_mov_b32_e32 v7, 1
	v_cndmask_b32_e32 v2, v6, v4, vcc_lo
	v_cndmask_b32_e32 v1, v5, v3, vcc_lo
; %bb.338:
	s_or_b32 exec_lo, exec_lo, s0
	v_mov_b32_dpp v3, v1 row_ror:4 row_mask:0xf bank_mask:0xf
	v_mov_b32_dpp v4, v2 row_ror:4 row_mask:0xf bank_mask:0xf
	v_and_b32_e32 v6, 1, v7
	v_mov_b32_dpp v5, v7 row_ror:4 row_mask:0xf bank_mask:0xf
	v_mbcnt_lo_u32_b32 v8, -1, 0
	v_cmp_lt_i64_e32 vcc_lo, v[1:2], v[3:4]
	v_cmp_eq_u32_e64 s0, 1, v6
	v_and_b32_e32 v5, 1, v5
	s_and_b32 vcc_lo, s0, vcc_lo
	v_cmp_eq_u32_e64 s1, 1, v5
	v_cndmask_b32_e32 v3, v3, v1, vcc_lo
	v_cndmask_b32_e32 v4, v4, v2, vcc_lo
	v_cndmask_b32_e64 v5, v7, 1, s1
	v_cndmask_b32_e64 v1, v1, v3, s1
	;; [unrolled: 1-line block ×3, first 2 shown]
	v_and_b32_e32 v7, 1, v5
	v_mov_b32_dpp v3, v1 row_ror:8 row_mask:0xf bank_mask:0xf
	v_mov_b32_dpp v4, v2 row_ror:8 row_mask:0xf bank_mask:0xf
	;; [unrolled: 1-line block ×3, first 2 shown]
	v_cmp_eq_u32_e64 s0, 1, v7
	v_cmp_lt_i64_e32 vcc_lo, v[1:2], v[3:4]
	v_and_b32_e32 v6, 1, v6
	v_cmp_eq_u32_e64 s1, 1, v6
	s_and_b32 vcc_lo, s0, vcc_lo
	v_cndmask_b32_e32 v3, v3, v1, vcc_lo
	v_cndmask_b32_e32 v4, v4, v2, vcc_lo
	v_cndmask_b32_e64 v5, v5, 1, s1
	v_cndmask_b32_e64 v1, v1, v3, s1
	v_cndmask_b32_e64 v2, v2, v4, s1
	ds_swizzle_b32 v6, v5 offset:swizzle(BROADCAST,32,15)
	v_and_b32_e32 v7, 1, v5
	ds_swizzle_b32 v3, v1 offset:swizzle(BROADCAST,32,15)
	ds_swizzle_b32 v4, v2 offset:swizzle(BROADCAST,32,15)
	v_cmp_eq_u32_e64 s0, 1, v7
	s_waitcnt lgkmcnt(2)
	v_and_b32_e32 v6, 1, v6
	s_waitcnt lgkmcnt(0)
	v_cmp_lt_i64_e32 vcc_lo, v[1:2], v[3:4]
	v_cmp_eq_u32_e64 s1, 1, v6
	v_mov_b32_e32 v6, 0
	s_and_b32 vcc_lo, s0, vcc_lo
	v_cndmask_b32_e64 v5, v5, 1, s1
	v_cndmask_b32_e32 v3, v3, v1, vcc_lo
	v_cndmask_b32_e32 v4, v4, v2, vcc_lo
	s_mov_b32 s0, exec_lo
	ds_bpermute_b32 v7, v6, v5 offset:124
	v_cndmask_b32_e64 v1, v1, v3, s1
	v_cndmask_b32_e64 v2, v2, v4, s1
	ds_bpermute_b32 v1, v6, v1 offset:124
	ds_bpermute_b32 v2, v6, v2 offset:124
	v_cmpx_eq_u32_e32 0, v8
	s_cbranch_execz .LBB242_340
; %bb.339:
	v_lshrrev_b32_e32 v3, 1, v0
	v_and_b32_e32 v3, 0x70, v3
	s_waitcnt lgkmcnt(2)
	ds_write_b8 v3, v7
	s_waitcnt lgkmcnt(1)
	ds_write_b64 v3, v[1:2] offset:8
.LBB242_340:
	s_or_b32 exec_lo, exec_lo, s0
	s_mov_b32 s0, exec_lo
	s_waitcnt lgkmcnt(0)
	s_barrier
	buffer_gl0_inv
	v_cmpx_gt_u32_e32 32, v0
	s_cbranch_execz .LBB242_354
; %bb.341:
	v_and_b32_e32 v7, 7, v8
	v_lshlrev_b32_e32 v1, 4, v7
	v_cmp_ne_u32_e32 vcc_lo, 7, v7
	ds_read_u8 v10, v1
	ds_read_b64 v[3:4], v1 offset:8
	v_add_co_ci_u32_e64 v2, null, 0, v8, vcc_lo
	v_lshlrev_b32_e32 v2, 2, v2
	s_waitcnt lgkmcnt(1)
	v_and_b32_e32 v1, 0xff, v10
	s_waitcnt lgkmcnt(0)
	ds_bpermute_b32 v5, v2, v3
	ds_bpermute_b32 v6, v2, v4
	ds_bpermute_b32 v11, v2, v1
	s_waitcnt lgkmcnt(0)
	v_and_b32_e32 v1, v10, v11
	v_and_b32_e32 v1, 1, v1
	v_cmp_eq_u32_e32 vcc_lo, 1, v1
                                        ; implicit-def: $vgpr1_vgpr2
	s_and_saveexec_b32 s1, vcc_lo
	s_xor_b32 s1, exec_lo, s1
; %bb.342:
	v_cmp_lt_i64_e32 vcc_lo, v[5:6], v[3:4]
                                        ; implicit-def: $vgpr10
                                        ; implicit-def: $vgpr11
	v_cndmask_b32_e32 v2, v4, v6, vcc_lo
	v_cndmask_b32_e32 v1, v3, v5, vcc_lo
                                        ; implicit-def: $vgpr5_vgpr6
                                        ; implicit-def: $vgpr3_vgpr4
; %bb.343:
	s_or_saveexec_b32 s1, s1
	v_mov_b32_e32 v9, 1
	s_xor_b32 exec_lo, exec_lo, s1
; %bb.344:
	v_and_b32_e32 v1, 1, v10
	v_and_b32_e32 v9, 0xff, v11
	v_cmp_eq_u32_e32 vcc_lo, 1, v1
	v_cndmask_b32_e32 v2, v6, v4, vcc_lo
	v_cndmask_b32_e32 v1, v5, v3, vcc_lo
	v_cndmask_b32_e64 v9, v9, 1, vcc_lo
; %bb.345:
	s_or_b32 exec_lo, exec_lo, s1
	v_cmp_gt_u32_e32 vcc_lo, 6, v7
	v_cndmask_b32_e64 v3, 0, 2, vcc_lo
	v_add_lshl_u32 v3, v3, v8, 2
	ds_bpermute_b32 v7, v3, v9
	ds_bpermute_b32 v5, v3, v1
	;; [unrolled: 1-line block ×3, first 2 shown]
	s_waitcnt lgkmcnt(2)
	v_and_b32_e32 v3, v9, v7
	v_and_b32_e32 v3, 1, v3
	v_cmp_eq_u32_e32 vcc_lo, 1, v3
                                        ; implicit-def: $vgpr3_vgpr4
	s_and_saveexec_b32 s1, vcc_lo
	s_xor_b32 s1, exec_lo, s1
	s_cbranch_execz .LBB242_347
; %bb.346:
	s_waitcnt lgkmcnt(0)
	v_cmp_lt_i64_e32 vcc_lo, v[5:6], v[1:2]
                                        ; implicit-def: $vgpr9
                                        ; implicit-def: $vgpr7
	v_cndmask_b32_e32 v4, v2, v6, vcc_lo
	v_cndmask_b32_e32 v3, v1, v5, vcc_lo
                                        ; implicit-def: $vgpr5_vgpr6
                                        ; implicit-def: $vgpr1_vgpr2
.LBB242_347:
	s_or_saveexec_b32 s1, s1
	v_lshlrev_b32_e32 v10, 2, v8
	v_mov_b32_e32 v8, 1
	s_xor_b32 exec_lo, exec_lo, s1
	s_cbranch_execz .LBB242_349
; %bb.348:
	v_and_b32_e32 v3, 1, v9
	v_and_b32_e32 v7, 0xff, v7
	v_cmp_eq_u32_e32 vcc_lo, 1, v3
	s_waitcnt lgkmcnt(0)
	v_cndmask_b32_e32 v4, v6, v2, vcc_lo
	v_cndmask_b32_e32 v3, v5, v1, vcc_lo
	v_cndmask_b32_e64 v8, v7, 1, vcc_lo
.LBB242_349:
	s_or_b32 exec_lo, exec_lo, s1
	v_or_b32_e32 v1, 16, v10
	ds_bpermute_b32 v9, v1, v8
	s_waitcnt lgkmcnt(2)
	ds_bpermute_b32 v5, v1, v3
	s_waitcnt lgkmcnt(2)
	;; [unrolled: 2-line block ×3, first 2 shown]
	v_and_b32_e32 v1, v8, v9
	v_and_b32_e32 v1, 1, v1
	v_cmp_eq_u32_e32 vcc_lo, 1, v1
                                        ; implicit-def: $vgpr1_vgpr2
	s_and_saveexec_b32 s1, vcc_lo
	s_xor_b32 s1, exec_lo, s1
	s_cbranch_execz .LBB242_351
; %bb.350:
	s_waitcnt lgkmcnt(0)
	v_cmp_lt_i64_e32 vcc_lo, v[5:6], v[3:4]
                                        ; implicit-def: $vgpr8
                                        ; implicit-def: $vgpr9
	v_cndmask_b32_e32 v2, v4, v6, vcc_lo
	v_cndmask_b32_e32 v1, v3, v5, vcc_lo
                                        ; implicit-def: $vgpr5_vgpr6
                                        ; implicit-def: $vgpr3_vgpr4
.LBB242_351:
	s_or_saveexec_b32 s1, s1
	v_mov_b32_e32 v7, 1
	s_xor_b32 exec_lo, exec_lo, s1
	s_cbranch_execz .LBB242_353
; %bb.352:
	v_and_b32_e32 v1, 1, v8
	v_cmp_eq_u32_e32 vcc_lo, 1, v1
	s_waitcnt lgkmcnt(0)
	v_cndmask_b32_e32 v2, v6, v4, vcc_lo
	v_cndmask_b32_e32 v1, v5, v3, vcc_lo
	v_cndmask_b32_e64 v7, v9, 1, vcc_lo
.LBB242_353:
	s_or_b32 exec_lo, exec_lo, s1
.LBB242_354:
	s_or_b32 exec_lo, exec_lo, s0
	s_branch .LBB242_415
.LBB242_355:
                                        ; implicit-def: $vgpr3_vgpr4
                                        ; implicit-def: $vgpr5
                                        ; implicit-def: $vgpr1_vgpr2
.LBB242_356:
	s_and_saveexec_b32 s0, s22
	s_cbranch_execz .LBB242_358
.LBB242_357:
	s_load_dwordx2 s[0:1], s[4:5], 0x38
	v_lshlrev_b64 v[0:1], 4, v[1:2]
	s_waitcnt lgkmcnt(0)
	v_add_co_u32 v0, vcc_lo, s0, v0
	v_add_co_ci_u32_e64 v1, null, s1, v1, vcc_lo
	global_store_byte v[0:1], v5, off
	global_store_dwordx2 v[0:1], v[3:4], off offset:8
.LBB242_358:
	s_endpgm
.LBB242_359:
                                        ; implicit-def: $vgpr1_vgpr2
                                        ; implicit-def: $vgpr7
	s_cbranch_execz .LBB242_415
; %bb.360:
	v_mov_b32_e32 v1, 0
	v_mov_b32_e32 v2, 0
	;; [unrolled: 1-line block ×3, first 2 shown]
	s_sub_i32 s0, s14, s2
	s_mov_b32 s1, exec_lo
	v_cmpx_gt_u32_e64 s0, v0
	s_cbranch_execz .LBB242_362
; %bb.361:
	s_lshl_b64 s[8:9], s[2:3], 3
	v_lshlrev_b32_e32 v1, 3, v0
	s_add_u32 s10, s18, s8
	s_addc_u32 s11, s19, s9
	s_add_u32 s8, s16, s8
	s_addc_u32 s9, s17, s9
	s_add_u32 s2, s12, s2
	s_waitcnt lgkmcnt(0)
	s_clause 0x1
	global_load_dwordx2 v[3:4], v1, s[8:9]
	global_load_dwordx2 v[5:6], v1, s[10:11]
	s_addc_u32 s3, s13, 0
	v_add_co_u32 v1, s2, s2, v0
	v_add_co_ci_u32_e64 v2, null, s3, 0, s2
	s_waitcnt vmcnt(0)
	v_cmp_ne_u64_e32 vcc_lo, v[3:4], v[5:6]
	v_cndmask_b32_e64 v8, 0, 1, vcc_lo
.LBB242_362:
	s_or_b32 exec_lo, exec_lo, s1
	s_waitcnt lgkmcnt(1)
	v_mbcnt_lo_u32_b32 v5, -1, 0
	v_and_b32_e32 v7, 0xffff, v8
	s_waitcnt lgkmcnt(0)
	v_and_b32_e32 v6, 0xe0, v0
	s_min_u32 s0, s0, 0x100
	s_mov_b32 s1, exec_lo
	v_cmp_ne_u32_e32 vcc_lo, 31, v5
	v_add_nc_u32_e32 v10, 1, v5
	v_sub_nc_u32_e64 v6, s0, v6 clamp
	v_add_co_ci_u32_e64 v3, null, 0, v5, vcc_lo
	v_lshlrev_b32_e32 v4, 2, v3
	ds_bpermute_b32 v9, v4, v7
	ds_bpermute_b32 v3, v4, v1
	;; [unrolled: 1-line block ×3, first 2 shown]
	v_cmpx_lt_u32_e64 v10, v6
	s_cbranch_execz .LBB242_368
; %bb.363:
	s_waitcnt lgkmcnt(2)
	v_and_b32_e32 v7, v9, v7
	s_mov_b32 s2, exec_lo
	v_and_b32_e32 v7, 1, v7
	v_cmpx_eq_u32_e32 1, v7
	s_xor_b32 s2, exec_lo, s2
	s_cbranch_execz .LBB242_365
; %bb.364:
	s_waitcnt lgkmcnt(0)
	v_cmp_lt_i64_e32 vcc_lo, v[3:4], v[1:2]
                                        ; implicit-def: $vgpr8
                                        ; implicit-def: $vgpr9
	v_cndmask_b32_e32 v2, v2, v4, vcc_lo
	v_cndmask_b32_e32 v1, v1, v3, vcc_lo
                                        ; implicit-def: $vgpr3_vgpr4
.LBB242_365:
	s_or_saveexec_b32 s2, s2
	v_mov_b32_e32 v7, 1
	s_xor_b32 exec_lo, exec_lo, s2
	s_cbranch_execz .LBB242_367
; %bb.366:
	v_and_b32_e32 v7, 1, v8
	v_cmp_eq_u32_e32 vcc_lo, 1, v7
	v_and_b32_e32 v7, 0xff, v9
	s_waitcnt lgkmcnt(0)
	v_cndmask_b32_e32 v2, v4, v2, vcc_lo
	v_cndmask_b32_e32 v1, v3, v1, vcc_lo
	v_cndmask_b32_e64 v7, v7, 1, vcc_lo
.LBB242_367:
	s_or_b32 exec_lo, exec_lo, s2
.LBB242_368:
	s_or_b32 exec_lo, exec_lo, s1
	v_cmp_gt_u32_e32 vcc_lo, 30, v5
	s_waitcnt lgkmcnt(2)
	v_add_nc_u32_e32 v9, 2, v5
	s_mov_b32 s1, exec_lo
	s_waitcnt lgkmcnt(1)
	v_cndmask_b32_e64 v3, 0, 2, vcc_lo
	s_waitcnt lgkmcnt(0)
	v_add_lshl_u32 v4, v3, v5, 2
	ds_bpermute_b32 v8, v4, v7
	ds_bpermute_b32 v3, v4, v1
	;; [unrolled: 1-line block ×3, first 2 shown]
	v_cmpx_lt_u32_e64 v9, v6
	s_cbranch_execz .LBB242_374
; %bb.369:
	s_waitcnt lgkmcnt(2)
	v_and_b32_e32 v9, v7, v8
	s_mov_b32 s2, exec_lo
	v_and_b32_e32 v9, 1, v9
	v_cmpx_eq_u32_e32 1, v9
	s_xor_b32 s2, exec_lo, s2
	s_cbranch_execz .LBB242_371
; %bb.370:
	s_waitcnt lgkmcnt(0)
	v_cmp_lt_i64_e32 vcc_lo, v[3:4], v[1:2]
                                        ; implicit-def: $vgpr7
                                        ; implicit-def: $vgpr8
	v_cndmask_b32_e32 v2, v2, v4, vcc_lo
	v_cndmask_b32_e32 v1, v1, v3, vcc_lo
                                        ; implicit-def: $vgpr3_vgpr4
.LBB242_371:
	s_or_saveexec_b32 s2, s2
	v_mov_b32_e32 v9, 1
	s_xor_b32 exec_lo, exec_lo, s2
	s_cbranch_execz .LBB242_373
; %bb.372:
	v_and_b32_e32 v7, 1, v7
	v_cmp_eq_u32_e32 vcc_lo, 1, v7
	v_and_b32_e32 v7, 0xff, v8
	s_waitcnt lgkmcnt(0)
	v_cndmask_b32_e32 v2, v4, v2, vcc_lo
	v_cndmask_b32_e32 v1, v3, v1, vcc_lo
	v_cndmask_b32_e64 v9, v7, 1, vcc_lo
.LBB242_373:
	s_or_b32 exec_lo, exec_lo, s2
	v_mov_b32_e32 v7, v9
.LBB242_374:
	s_or_b32 exec_lo, exec_lo, s1
	v_cmp_gt_u32_e32 vcc_lo, 28, v5
	v_add_nc_u32_e32 v9, 4, v5
	s_mov_b32 s1, exec_lo
	s_waitcnt lgkmcnt(1)
	v_cndmask_b32_e64 v3, 0, 4, vcc_lo
	s_waitcnt lgkmcnt(0)
	v_add_lshl_u32 v4, v3, v5, 2
	ds_bpermute_b32 v8, v4, v7
	ds_bpermute_b32 v3, v4, v1
	;; [unrolled: 1-line block ×3, first 2 shown]
	v_cmpx_lt_u32_e64 v9, v6
	s_cbranch_execz .LBB242_380
; %bb.375:
	s_waitcnt lgkmcnt(2)
	v_and_b32_e32 v9, v7, v8
	s_mov_b32 s2, exec_lo
	v_and_b32_e32 v9, 1, v9
	v_cmpx_eq_u32_e32 1, v9
	s_xor_b32 s2, exec_lo, s2
	s_cbranch_execz .LBB242_377
; %bb.376:
	s_waitcnt lgkmcnt(0)
	v_cmp_lt_i64_e32 vcc_lo, v[3:4], v[1:2]
                                        ; implicit-def: $vgpr7
                                        ; implicit-def: $vgpr8
	v_cndmask_b32_e32 v2, v2, v4, vcc_lo
	v_cndmask_b32_e32 v1, v1, v3, vcc_lo
                                        ; implicit-def: $vgpr3_vgpr4
.LBB242_377:
	s_or_saveexec_b32 s2, s2
	v_mov_b32_e32 v9, 1
	s_xor_b32 exec_lo, exec_lo, s2
	s_cbranch_execz .LBB242_379
; %bb.378:
	v_and_b32_e32 v7, 1, v7
	v_cmp_eq_u32_e32 vcc_lo, 1, v7
	v_and_b32_e32 v7, 0xff, v8
	s_waitcnt lgkmcnt(0)
	v_cndmask_b32_e32 v2, v4, v2, vcc_lo
	v_cndmask_b32_e32 v1, v3, v1, vcc_lo
	v_cndmask_b32_e64 v9, v7, 1, vcc_lo
.LBB242_379:
	s_or_b32 exec_lo, exec_lo, s2
	v_mov_b32_e32 v7, v9
.LBB242_380:
	s_or_b32 exec_lo, exec_lo, s1
	v_cmp_gt_u32_e32 vcc_lo, 24, v5
	v_add_nc_u32_e32 v9, 8, v5
	s_mov_b32 s1, exec_lo
	s_waitcnt lgkmcnt(1)
	v_cndmask_b32_e64 v3, 0, 8, vcc_lo
	s_waitcnt lgkmcnt(0)
	v_add_lshl_u32 v4, v3, v5, 2
	ds_bpermute_b32 v8, v4, v7
	ds_bpermute_b32 v3, v4, v1
	;; [unrolled: 1-line block ×3, first 2 shown]
	v_cmpx_lt_u32_e64 v9, v6
	s_cbranch_execz .LBB242_386
; %bb.381:
	s_waitcnt lgkmcnt(2)
	v_and_b32_e32 v9, v7, v8
	s_mov_b32 s2, exec_lo
	v_and_b32_e32 v9, 1, v9
	v_cmpx_eq_u32_e32 1, v9
	s_xor_b32 s2, exec_lo, s2
	s_cbranch_execz .LBB242_383
; %bb.382:
	s_waitcnt lgkmcnt(0)
	v_cmp_lt_i64_e32 vcc_lo, v[3:4], v[1:2]
                                        ; implicit-def: $vgpr7
                                        ; implicit-def: $vgpr8
	v_cndmask_b32_e32 v2, v2, v4, vcc_lo
	v_cndmask_b32_e32 v1, v1, v3, vcc_lo
                                        ; implicit-def: $vgpr3_vgpr4
.LBB242_383:
	s_or_saveexec_b32 s2, s2
	v_mov_b32_e32 v9, 1
	s_xor_b32 exec_lo, exec_lo, s2
	s_cbranch_execz .LBB242_385
; %bb.384:
	v_and_b32_e32 v7, 1, v7
	v_cmp_eq_u32_e32 vcc_lo, 1, v7
	v_and_b32_e32 v7, 0xff, v8
	s_waitcnt lgkmcnt(0)
	v_cndmask_b32_e32 v2, v4, v2, vcc_lo
	v_cndmask_b32_e32 v1, v3, v1, vcc_lo
	v_cndmask_b32_e64 v9, v7, 1, vcc_lo
.LBB242_385:
	s_or_b32 exec_lo, exec_lo, s2
	v_mov_b32_e32 v7, v9
.LBB242_386:
	s_or_b32 exec_lo, exec_lo, s1
	s_waitcnt lgkmcnt(2)
	v_lshlrev_b32_e32 v8, 2, v5
	v_add_nc_u32_e32 v10, 16, v5
	s_waitcnt lgkmcnt(0)
	v_or_b32_e32 v4, 64, v8
	v_cmp_lt_u32_e32 vcc_lo, v10, v6
	v_mov_b32_e32 v6, v7
	ds_bpermute_b32 v9, v4, v7
	ds_bpermute_b32 v3, v4, v1
	;; [unrolled: 1-line block ×3, first 2 shown]
	s_and_saveexec_b32 s1, vcc_lo
	s_cbranch_execz .LBB242_392
; %bb.387:
	s_waitcnt lgkmcnt(2)
	v_and_b32_e32 v6, v7, v9
	s_mov_b32 s2, exec_lo
	v_and_b32_e32 v6, 1, v6
	v_cmpx_eq_u32_e32 1, v6
	s_xor_b32 s2, exec_lo, s2
	s_cbranch_execz .LBB242_389
; %bb.388:
	s_waitcnt lgkmcnt(0)
	v_cmp_lt_i64_e32 vcc_lo, v[3:4], v[1:2]
                                        ; implicit-def: $vgpr7
                                        ; implicit-def: $vgpr9
	v_cndmask_b32_e32 v2, v2, v4, vcc_lo
	v_cndmask_b32_e32 v1, v1, v3, vcc_lo
                                        ; implicit-def: $vgpr3_vgpr4
.LBB242_389:
	s_or_saveexec_b32 s2, s2
	v_mov_b32_e32 v6, 1
	s_xor_b32 exec_lo, exec_lo, s2
	s_cbranch_execz .LBB242_391
; %bb.390:
	v_and_b32_e32 v6, 1, v7
	v_cmp_eq_u32_e32 vcc_lo, 1, v6
	v_cndmask_b32_e64 v6, v9, 1, vcc_lo
	s_waitcnt lgkmcnt(0)
	v_cndmask_b32_e32 v2, v4, v2, vcc_lo
	v_cndmask_b32_e32 v1, v3, v1, vcc_lo
.LBB242_391:
	s_or_b32 exec_lo, exec_lo, s2
	v_and_b32_e32 v7, 0xff, v6
.LBB242_392:
	s_or_b32 exec_lo, exec_lo, s1
	s_mov_b32 s1, exec_lo
	v_cmpx_eq_u32_e32 0, v5
	s_cbranch_execz .LBB242_394
; %bb.393:
	s_waitcnt lgkmcnt(1)
	v_lshrrev_b32_e32 v3, 1, v0
	v_and_b32_e32 v3, 0x70, v3
	ds_write_b8 v3, v6 offset:512
	ds_write_b64 v3, v[1:2] offset:520
.LBB242_394:
	s_or_b32 exec_lo, exec_lo, s1
	s_mov_b32 s1, exec_lo
	s_waitcnt lgkmcnt(0)
	s_barrier
	buffer_gl0_inv
	v_cmpx_gt_u32_e32 8, v0
	s_cbranch_execz .LBB242_414
; %bb.395:
	v_lshlrev_b32_e32 v1, 4, v5
	v_and_b32_e32 v6, 7, v5
	s_add_i32 s0, s0, 31
	s_mov_b32 s2, exec_lo
	s_lshr_b32 s0, s0, 5
	ds_read_u8 v9, v1 offset:512
	ds_read_b64 v[1:2], v1 offset:520
	v_cmp_ne_u32_e32 vcc_lo, 7, v6
	v_add_nc_u32_e32 v11, 1, v6
	v_add_co_ci_u32_e64 v3, null, 0, v5, vcc_lo
	v_lshlrev_b32_e32 v4, 2, v3
	s_waitcnt lgkmcnt(1)
	v_and_b32_e32 v7, 0xff, v9
	s_waitcnt lgkmcnt(0)
	ds_bpermute_b32 v3, v4, v1
	ds_bpermute_b32 v10, v4, v7
	;; [unrolled: 1-line block ×3, first 2 shown]
	v_cmpx_gt_u32_e64 s0, v11
	s_cbranch_execz .LBB242_401
; %bb.396:
	s_waitcnt lgkmcnt(1)
	v_and_b32_e32 v7, v7, v10
	s_mov_b32 s3, exec_lo
	v_and_b32_e32 v7, 1, v7
	v_cmpx_eq_u32_e32 1, v7
	s_xor_b32 s3, exec_lo, s3
	s_cbranch_execz .LBB242_398
; %bb.397:
	s_waitcnt lgkmcnt(0)
	v_cmp_lt_i64_e32 vcc_lo, v[3:4], v[1:2]
                                        ; implicit-def: $vgpr9
                                        ; implicit-def: $vgpr10
	v_cndmask_b32_e32 v2, v2, v4, vcc_lo
	v_cndmask_b32_e32 v1, v1, v3, vcc_lo
                                        ; implicit-def: $vgpr3_vgpr4
.LBB242_398:
	s_or_saveexec_b32 s3, s3
	v_mov_b32_e32 v7, 1
	s_xor_b32 exec_lo, exec_lo, s3
	s_cbranch_execz .LBB242_400
; %bb.399:
	v_and_b32_e32 v7, 1, v9
	v_cmp_eq_u32_e32 vcc_lo, 1, v7
	v_and_b32_e32 v7, 0xff, v10
	s_waitcnt lgkmcnt(0)
	v_cndmask_b32_e32 v2, v4, v2, vcc_lo
	v_cndmask_b32_e32 v1, v3, v1, vcc_lo
	v_cndmask_b32_e64 v7, v7, 1, vcc_lo
.LBB242_400:
	s_or_b32 exec_lo, exec_lo, s3
.LBB242_401:
	s_or_b32 exec_lo, exec_lo, s2
	v_cmp_gt_u32_e32 vcc_lo, 6, v6
	v_add_nc_u32_e32 v9, 2, v6
	s_mov_b32 s2, exec_lo
	s_waitcnt lgkmcnt(2)
	v_cndmask_b32_e64 v3, 0, 2, vcc_lo
	s_waitcnt lgkmcnt(0)
	v_add_lshl_u32 v4, v3, v5, 2
	ds_bpermute_b32 v5, v4, v7
	ds_bpermute_b32 v3, v4, v1
	;; [unrolled: 1-line block ×3, first 2 shown]
	v_cmpx_gt_u32_e64 s0, v9
	s_cbranch_execz .LBB242_407
; %bb.402:
	s_waitcnt lgkmcnt(2)
	v_and_b32_e32 v9, v7, v5
	s_mov_b32 s3, exec_lo
	v_and_b32_e32 v9, 1, v9
	v_cmpx_eq_u32_e32 1, v9
	s_xor_b32 s3, exec_lo, s3
	s_cbranch_execz .LBB242_404
; %bb.403:
	s_waitcnt lgkmcnt(0)
	v_cmp_lt_i64_e32 vcc_lo, v[3:4], v[1:2]
                                        ; implicit-def: $vgpr7
                                        ; implicit-def: $vgpr5
	v_cndmask_b32_e32 v2, v2, v4, vcc_lo
	v_cndmask_b32_e32 v1, v1, v3, vcc_lo
                                        ; implicit-def: $vgpr3_vgpr4
.LBB242_404:
	s_or_saveexec_b32 s3, s3
	v_mov_b32_e32 v9, 1
	s_xor_b32 exec_lo, exec_lo, s3
	s_cbranch_execz .LBB242_406
; %bb.405:
	v_and_b32_e32 v7, 1, v7
	v_and_b32_e32 v5, 0xff, v5
	v_cmp_eq_u32_e32 vcc_lo, 1, v7
	s_waitcnt lgkmcnt(0)
	v_cndmask_b32_e32 v2, v4, v2, vcc_lo
	v_cndmask_b32_e32 v1, v3, v1, vcc_lo
	v_cndmask_b32_e64 v9, v5, 1, vcc_lo
.LBB242_406:
	s_or_b32 exec_lo, exec_lo, s3
	v_mov_b32_e32 v7, v9
.LBB242_407:
	s_or_b32 exec_lo, exec_lo, s2
	s_waitcnt lgkmcnt(0)
	v_or_b32_e32 v4, 16, v8
	v_add_nc_u32_e32 v6, 4, v6
	ds_bpermute_b32 v5, v4, v7
	ds_bpermute_b32 v3, v4, v1
	;; [unrolled: 1-line block ×3, first 2 shown]
	v_cmp_gt_u32_e32 vcc_lo, s0, v6
	s_and_saveexec_b32 s0, vcc_lo
	s_cbranch_execz .LBB242_413
; %bb.408:
	s_waitcnt lgkmcnt(2)
	v_and_b32_e32 v6, v7, v5
	s_mov_b32 s2, exec_lo
	v_and_b32_e32 v6, 1, v6
	v_cmpx_eq_u32_e32 1, v6
	s_xor_b32 s2, exec_lo, s2
	s_cbranch_execz .LBB242_410
; %bb.409:
	s_waitcnt lgkmcnt(0)
	v_cmp_lt_i64_e32 vcc_lo, v[3:4], v[1:2]
                                        ; implicit-def: $vgpr7
                                        ; implicit-def: $vgpr5
	v_cndmask_b32_e32 v2, v2, v4, vcc_lo
	v_cndmask_b32_e32 v1, v1, v3, vcc_lo
                                        ; implicit-def: $vgpr3_vgpr4
.LBB242_410:
	s_or_saveexec_b32 s2, s2
	v_mov_b32_e32 v6, 1
	s_xor_b32 exec_lo, exec_lo, s2
	s_cbranch_execz .LBB242_412
; %bb.411:
	v_and_b32_e32 v6, 1, v7
	v_cmp_eq_u32_e32 vcc_lo, 1, v6
	s_waitcnt lgkmcnt(0)
	v_cndmask_b32_e32 v2, v4, v2, vcc_lo
	v_cndmask_b32_e32 v1, v3, v1, vcc_lo
	v_cndmask_b32_e64 v6, v5, 1, vcc_lo
.LBB242_412:
	s_or_b32 exec_lo, exec_lo, s2
	v_mov_b32_e32 v7, v6
.LBB242_413:
	s_or_b32 exec_lo, exec_lo, s0
.LBB242_414:
	s_or_b32 exec_lo, exec_lo, s1
.LBB242_415:
	s_mov_b32 s2, exec_lo
                                        ; implicit-def: $vgpr3_vgpr4
                                        ; implicit-def: $vgpr5
	v_cmpx_eq_u32_e32 0, v0
	s_cbranch_execz .LBB242_419
; %bb.416:
	s_waitcnt lgkmcnt(0)
	v_mov_b32_e32 v3, s20
	v_mov_b32_e32 v4, s21
	;; [unrolled: 1-line block ×3, first 2 shown]
	s_cmp_eq_u64 s[14:15], 0
	s_cbranch_scc1 .LBB242_418
; %bb.417:
	v_and_b32_e32 v0, 1, v7
	v_cmp_gt_i64_e32 vcc_lo, s[20:21], v[1:2]
	s_bitcmp1_b32 s24, 0
	s_cselect_b32 s1, -1, 0
	v_cmp_eq_u32_e64 s0, 1, v0
	v_cndmask_b32_e64 v5, v7, 1, s1
	s_and_b32 vcc_lo, s0, vcc_lo
	v_cndmask_b32_e32 v0, s20, v1, vcc_lo
	v_cndmask_b32_e32 v3, s21, v2, vcc_lo
	v_cndmask_b32_e64 v4, v2, v3, s1
	v_cndmask_b32_e64 v3, v1, v0, s1
.LBB242_418:
	s_or_b32 s22, s22, exec_lo
.LBB242_419:
	s_or_b32 exec_lo, exec_lo, s2
	v_mov_b32_e32 v1, s6
	v_mov_b32_e32 v2, s7
	s_and_saveexec_b32 s0, s22
	s_cbranch_execnz .LBB242_357
	s_branch .LBB242_358
	.section	.rodata,"a",@progbits
	.p2align	6, 0x0
	.amdhsa_kernel _ZN7rocprim17ROCPRIM_400000_NS6detail17trampoline_kernelINS0_14default_configENS1_22reduce_config_selectorIN6thrust23THRUST_200600_302600_NS5tupleIblNS6_9null_typeES8_S8_S8_S8_S8_S8_S8_EEEEZNS1_11reduce_implILb1ES3_NS6_12zip_iteratorINS7_INS6_11hip_rocprim26transform_input_iterator_tIbNSD_35transform_pair_of_input_iterators_tIbNS6_6detail15normal_iteratorINS6_10device_ptrIKxEEEESL_NS6_8equal_toIxEEEENSG_9not_fun_tINSD_8identityEEEEENSD_19counting_iterator_tIlEES8_S8_S8_S8_S8_S8_S8_S8_EEEEPS9_S9_NSD_9__find_if7functorIS9_EEEE10hipError_tPvRmT1_T2_T3_mT4_P12ihipStream_tbEUlT_E1_NS1_11comp_targetILNS1_3genE8ELNS1_11target_archE1030ELNS1_3gpuE2ELNS1_3repE0EEENS1_30default_config_static_selectorELNS0_4arch9wavefront6targetE0EEEvS14_
		.amdhsa_group_segment_fixed_size 640
		.amdhsa_private_segment_fixed_size 0
		.amdhsa_kernarg_size 88
		.amdhsa_user_sgpr_count 6
		.amdhsa_user_sgpr_private_segment_buffer 1
		.amdhsa_user_sgpr_dispatch_ptr 0
		.amdhsa_user_sgpr_queue_ptr 0
		.amdhsa_user_sgpr_kernarg_segment_ptr 1
		.amdhsa_user_sgpr_dispatch_id 0
		.amdhsa_user_sgpr_flat_scratch_init 0
		.amdhsa_user_sgpr_private_segment_size 0
		.amdhsa_wavefront_size32 1
		.amdhsa_uses_dynamic_stack 0
		.amdhsa_system_sgpr_private_segment_wavefront_offset 0
		.amdhsa_system_sgpr_workgroup_id_x 1
		.amdhsa_system_sgpr_workgroup_id_y 0
		.amdhsa_system_sgpr_workgroup_id_z 0
		.amdhsa_system_sgpr_workgroup_info 0
		.amdhsa_system_vgpr_workitem_id 0
		.amdhsa_next_free_vgpr 36
		.amdhsa_next_free_sgpr 32
		.amdhsa_reserve_vcc 1
		.amdhsa_reserve_flat_scratch 0
		.amdhsa_float_round_mode_32 0
		.amdhsa_float_round_mode_16_64 0
		.amdhsa_float_denorm_mode_32 3
		.amdhsa_float_denorm_mode_16_64 3
		.amdhsa_dx10_clamp 1
		.amdhsa_ieee_mode 1
		.amdhsa_fp16_overflow 0
		.amdhsa_workgroup_processor_mode 1
		.amdhsa_memory_ordered 1
		.amdhsa_forward_progress 1
		.amdhsa_shared_vgpr_count 0
		.amdhsa_exception_fp_ieee_invalid_op 0
		.amdhsa_exception_fp_denorm_src 0
		.amdhsa_exception_fp_ieee_div_zero 0
		.amdhsa_exception_fp_ieee_overflow 0
		.amdhsa_exception_fp_ieee_underflow 0
		.amdhsa_exception_fp_ieee_inexact 0
		.amdhsa_exception_int_div_zero 0
	.end_amdhsa_kernel
	.section	.text._ZN7rocprim17ROCPRIM_400000_NS6detail17trampoline_kernelINS0_14default_configENS1_22reduce_config_selectorIN6thrust23THRUST_200600_302600_NS5tupleIblNS6_9null_typeES8_S8_S8_S8_S8_S8_S8_EEEEZNS1_11reduce_implILb1ES3_NS6_12zip_iteratorINS7_INS6_11hip_rocprim26transform_input_iterator_tIbNSD_35transform_pair_of_input_iterators_tIbNS6_6detail15normal_iteratorINS6_10device_ptrIKxEEEESL_NS6_8equal_toIxEEEENSG_9not_fun_tINSD_8identityEEEEENSD_19counting_iterator_tIlEES8_S8_S8_S8_S8_S8_S8_S8_EEEEPS9_S9_NSD_9__find_if7functorIS9_EEEE10hipError_tPvRmT1_T2_T3_mT4_P12ihipStream_tbEUlT_E1_NS1_11comp_targetILNS1_3genE8ELNS1_11target_archE1030ELNS1_3gpuE2ELNS1_3repE0EEENS1_30default_config_static_selectorELNS0_4arch9wavefront6targetE0EEEvS14_,"axG",@progbits,_ZN7rocprim17ROCPRIM_400000_NS6detail17trampoline_kernelINS0_14default_configENS1_22reduce_config_selectorIN6thrust23THRUST_200600_302600_NS5tupleIblNS6_9null_typeES8_S8_S8_S8_S8_S8_S8_EEEEZNS1_11reduce_implILb1ES3_NS6_12zip_iteratorINS7_INS6_11hip_rocprim26transform_input_iterator_tIbNSD_35transform_pair_of_input_iterators_tIbNS6_6detail15normal_iteratorINS6_10device_ptrIKxEEEESL_NS6_8equal_toIxEEEENSG_9not_fun_tINSD_8identityEEEEENSD_19counting_iterator_tIlEES8_S8_S8_S8_S8_S8_S8_S8_EEEEPS9_S9_NSD_9__find_if7functorIS9_EEEE10hipError_tPvRmT1_T2_T3_mT4_P12ihipStream_tbEUlT_E1_NS1_11comp_targetILNS1_3genE8ELNS1_11target_archE1030ELNS1_3gpuE2ELNS1_3repE0EEENS1_30default_config_static_selectorELNS0_4arch9wavefront6targetE0EEEvS14_,comdat
.Lfunc_end242:
	.size	_ZN7rocprim17ROCPRIM_400000_NS6detail17trampoline_kernelINS0_14default_configENS1_22reduce_config_selectorIN6thrust23THRUST_200600_302600_NS5tupleIblNS6_9null_typeES8_S8_S8_S8_S8_S8_S8_EEEEZNS1_11reduce_implILb1ES3_NS6_12zip_iteratorINS7_INS6_11hip_rocprim26transform_input_iterator_tIbNSD_35transform_pair_of_input_iterators_tIbNS6_6detail15normal_iteratorINS6_10device_ptrIKxEEEESL_NS6_8equal_toIxEEEENSG_9not_fun_tINSD_8identityEEEEENSD_19counting_iterator_tIlEES8_S8_S8_S8_S8_S8_S8_S8_EEEEPS9_S9_NSD_9__find_if7functorIS9_EEEE10hipError_tPvRmT1_T2_T3_mT4_P12ihipStream_tbEUlT_E1_NS1_11comp_targetILNS1_3genE8ELNS1_11target_archE1030ELNS1_3gpuE2ELNS1_3repE0EEENS1_30default_config_static_selectorELNS0_4arch9wavefront6targetE0EEEvS14_, .Lfunc_end242-_ZN7rocprim17ROCPRIM_400000_NS6detail17trampoline_kernelINS0_14default_configENS1_22reduce_config_selectorIN6thrust23THRUST_200600_302600_NS5tupleIblNS6_9null_typeES8_S8_S8_S8_S8_S8_S8_EEEEZNS1_11reduce_implILb1ES3_NS6_12zip_iteratorINS7_INS6_11hip_rocprim26transform_input_iterator_tIbNSD_35transform_pair_of_input_iterators_tIbNS6_6detail15normal_iteratorINS6_10device_ptrIKxEEEESL_NS6_8equal_toIxEEEENSG_9not_fun_tINSD_8identityEEEEENSD_19counting_iterator_tIlEES8_S8_S8_S8_S8_S8_S8_S8_EEEEPS9_S9_NSD_9__find_if7functorIS9_EEEE10hipError_tPvRmT1_T2_T3_mT4_P12ihipStream_tbEUlT_E1_NS1_11comp_targetILNS1_3genE8ELNS1_11target_archE1030ELNS1_3gpuE2ELNS1_3repE0EEENS1_30default_config_static_selectorELNS0_4arch9wavefront6targetE0EEEvS14_
                                        ; -- End function
	.set _ZN7rocprim17ROCPRIM_400000_NS6detail17trampoline_kernelINS0_14default_configENS1_22reduce_config_selectorIN6thrust23THRUST_200600_302600_NS5tupleIblNS6_9null_typeES8_S8_S8_S8_S8_S8_S8_EEEEZNS1_11reduce_implILb1ES3_NS6_12zip_iteratorINS7_INS6_11hip_rocprim26transform_input_iterator_tIbNSD_35transform_pair_of_input_iterators_tIbNS6_6detail15normal_iteratorINS6_10device_ptrIKxEEEESL_NS6_8equal_toIxEEEENSG_9not_fun_tINSD_8identityEEEEENSD_19counting_iterator_tIlEES8_S8_S8_S8_S8_S8_S8_S8_EEEEPS9_S9_NSD_9__find_if7functorIS9_EEEE10hipError_tPvRmT1_T2_T3_mT4_P12ihipStream_tbEUlT_E1_NS1_11comp_targetILNS1_3genE8ELNS1_11target_archE1030ELNS1_3gpuE2ELNS1_3repE0EEENS1_30default_config_static_selectorELNS0_4arch9wavefront6targetE0EEEvS14_.num_vgpr, 36
	.set _ZN7rocprim17ROCPRIM_400000_NS6detail17trampoline_kernelINS0_14default_configENS1_22reduce_config_selectorIN6thrust23THRUST_200600_302600_NS5tupleIblNS6_9null_typeES8_S8_S8_S8_S8_S8_S8_EEEEZNS1_11reduce_implILb1ES3_NS6_12zip_iteratorINS7_INS6_11hip_rocprim26transform_input_iterator_tIbNSD_35transform_pair_of_input_iterators_tIbNS6_6detail15normal_iteratorINS6_10device_ptrIKxEEEESL_NS6_8equal_toIxEEEENSG_9not_fun_tINSD_8identityEEEEENSD_19counting_iterator_tIlEES8_S8_S8_S8_S8_S8_S8_S8_EEEEPS9_S9_NSD_9__find_if7functorIS9_EEEE10hipError_tPvRmT1_T2_T3_mT4_P12ihipStream_tbEUlT_E1_NS1_11comp_targetILNS1_3genE8ELNS1_11target_archE1030ELNS1_3gpuE2ELNS1_3repE0EEENS1_30default_config_static_selectorELNS0_4arch9wavefront6targetE0EEEvS14_.num_agpr, 0
	.set _ZN7rocprim17ROCPRIM_400000_NS6detail17trampoline_kernelINS0_14default_configENS1_22reduce_config_selectorIN6thrust23THRUST_200600_302600_NS5tupleIblNS6_9null_typeES8_S8_S8_S8_S8_S8_S8_EEEEZNS1_11reduce_implILb1ES3_NS6_12zip_iteratorINS7_INS6_11hip_rocprim26transform_input_iterator_tIbNSD_35transform_pair_of_input_iterators_tIbNS6_6detail15normal_iteratorINS6_10device_ptrIKxEEEESL_NS6_8equal_toIxEEEENSG_9not_fun_tINSD_8identityEEEEENSD_19counting_iterator_tIlEES8_S8_S8_S8_S8_S8_S8_S8_EEEEPS9_S9_NSD_9__find_if7functorIS9_EEEE10hipError_tPvRmT1_T2_T3_mT4_P12ihipStream_tbEUlT_E1_NS1_11comp_targetILNS1_3genE8ELNS1_11target_archE1030ELNS1_3gpuE2ELNS1_3repE0EEENS1_30default_config_static_selectorELNS0_4arch9wavefront6targetE0EEEvS14_.numbered_sgpr, 32
	.set _ZN7rocprim17ROCPRIM_400000_NS6detail17trampoline_kernelINS0_14default_configENS1_22reduce_config_selectorIN6thrust23THRUST_200600_302600_NS5tupleIblNS6_9null_typeES8_S8_S8_S8_S8_S8_S8_EEEEZNS1_11reduce_implILb1ES3_NS6_12zip_iteratorINS7_INS6_11hip_rocprim26transform_input_iterator_tIbNSD_35transform_pair_of_input_iterators_tIbNS6_6detail15normal_iteratorINS6_10device_ptrIKxEEEESL_NS6_8equal_toIxEEEENSG_9not_fun_tINSD_8identityEEEEENSD_19counting_iterator_tIlEES8_S8_S8_S8_S8_S8_S8_S8_EEEEPS9_S9_NSD_9__find_if7functorIS9_EEEE10hipError_tPvRmT1_T2_T3_mT4_P12ihipStream_tbEUlT_E1_NS1_11comp_targetILNS1_3genE8ELNS1_11target_archE1030ELNS1_3gpuE2ELNS1_3repE0EEENS1_30default_config_static_selectorELNS0_4arch9wavefront6targetE0EEEvS14_.num_named_barrier, 0
	.set _ZN7rocprim17ROCPRIM_400000_NS6detail17trampoline_kernelINS0_14default_configENS1_22reduce_config_selectorIN6thrust23THRUST_200600_302600_NS5tupleIblNS6_9null_typeES8_S8_S8_S8_S8_S8_S8_EEEEZNS1_11reduce_implILb1ES3_NS6_12zip_iteratorINS7_INS6_11hip_rocprim26transform_input_iterator_tIbNSD_35transform_pair_of_input_iterators_tIbNS6_6detail15normal_iteratorINS6_10device_ptrIKxEEEESL_NS6_8equal_toIxEEEENSG_9not_fun_tINSD_8identityEEEEENSD_19counting_iterator_tIlEES8_S8_S8_S8_S8_S8_S8_S8_EEEEPS9_S9_NSD_9__find_if7functorIS9_EEEE10hipError_tPvRmT1_T2_T3_mT4_P12ihipStream_tbEUlT_E1_NS1_11comp_targetILNS1_3genE8ELNS1_11target_archE1030ELNS1_3gpuE2ELNS1_3repE0EEENS1_30default_config_static_selectorELNS0_4arch9wavefront6targetE0EEEvS14_.private_seg_size, 0
	.set _ZN7rocprim17ROCPRIM_400000_NS6detail17trampoline_kernelINS0_14default_configENS1_22reduce_config_selectorIN6thrust23THRUST_200600_302600_NS5tupleIblNS6_9null_typeES8_S8_S8_S8_S8_S8_S8_EEEEZNS1_11reduce_implILb1ES3_NS6_12zip_iteratorINS7_INS6_11hip_rocprim26transform_input_iterator_tIbNSD_35transform_pair_of_input_iterators_tIbNS6_6detail15normal_iteratorINS6_10device_ptrIKxEEEESL_NS6_8equal_toIxEEEENSG_9not_fun_tINSD_8identityEEEEENSD_19counting_iterator_tIlEES8_S8_S8_S8_S8_S8_S8_S8_EEEEPS9_S9_NSD_9__find_if7functorIS9_EEEE10hipError_tPvRmT1_T2_T3_mT4_P12ihipStream_tbEUlT_E1_NS1_11comp_targetILNS1_3genE8ELNS1_11target_archE1030ELNS1_3gpuE2ELNS1_3repE0EEENS1_30default_config_static_selectorELNS0_4arch9wavefront6targetE0EEEvS14_.uses_vcc, 1
	.set _ZN7rocprim17ROCPRIM_400000_NS6detail17trampoline_kernelINS0_14default_configENS1_22reduce_config_selectorIN6thrust23THRUST_200600_302600_NS5tupleIblNS6_9null_typeES8_S8_S8_S8_S8_S8_S8_EEEEZNS1_11reduce_implILb1ES3_NS6_12zip_iteratorINS7_INS6_11hip_rocprim26transform_input_iterator_tIbNSD_35transform_pair_of_input_iterators_tIbNS6_6detail15normal_iteratorINS6_10device_ptrIKxEEEESL_NS6_8equal_toIxEEEENSG_9not_fun_tINSD_8identityEEEEENSD_19counting_iterator_tIlEES8_S8_S8_S8_S8_S8_S8_S8_EEEEPS9_S9_NSD_9__find_if7functorIS9_EEEE10hipError_tPvRmT1_T2_T3_mT4_P12ihipStream_tbEUlT_E1_NS1_11comp_targetILNS1_3genE8ELNS1_11target_archE1030ELNS1_3gpuE2ELNS1_3repE0EEENS1_30default_config_static_selectorELNS0_4arch9wavefront6targetE0EEEvS14_.uses_flat_scratch, 0
	.set _ZN7rocprim17ROCPRIM_400000_NS6detail17trampoline_kernelINS0_14default_configENS1_22reduce_config_selectorIN6thrust23THRUST_200600_302600_NS5tupleIblNS6_9null_typeES8_S8_S8_S8_S8_S8_S8_EEEEZNS1_11reduce_implILb1ES3_NS6_12zip_iteratorINS7_INS6_11hip_rocprim26transform_input_iterator_tIbNSD_35transform_pair_of_input_iterators_tIbNS6_6detail15normal_iteratorINS6_10device_ptrIKxEEEESL_NS6_8equal_toIxEEEENSG_9not_fun_tINSD_8identityEEEEENSD_19counting_iterator_tIlEES8_S8_S8_S8_S8_S8_S8_S8_EEEEPS9_S9_NSD_9__find_if7functorIS9_EEEE10hipError_tPvRmT1_T2_T3_mT4_P12ihipStream_tbEUlT_E1_NS1_11comp_targetILNS1_3genE8ELNS1_11target_archE1030ELNS1_3gpuE2ELNS1_3repE0EEENS1_30default_config_static_selectorELNS0_4arch9wavefront6targetE0EEEvS14_.has_dyn_sized_stack, 0
	.set _ZN7rocprim17ROCPRIM_400000_NS6detail17trampoline_kernelINS0_14default_configENS1_22reduce_config_selectorIN6thrust23THRUST_200600_302600_NS5tupleIblNS6_9null_typeES8_S8_S8_S8_S8_S8_S8_EEEEZNS1_11reduce_implILb1ES3_NS6_12zip_iteratorINS7_INS6_11hip_rocprim26transform_input_iterator_tIbNSD_35transform_pair_of_input_iterators_tIbNS6_6detail15normal_iteratorINS6_10device_ptrIKxEEEESL_NS6_8equal_toIxEEEENSG_9not_fun_tINSD_8identityEEEEENSD_19counting_iterator_tIlEES8_S8_S8_S8_S8_S8_S8_S8_EEEEPS9_S9_NSD_9__find_if7functorIS9_EEEE10hipError_tPvRmT1_T2_T3_mT4_P12ihipStream_tbEUlT_E1_NS1_11comp_targetILNS1_3genE8ELNS1_11target_archE1030ELNS1_3gpuE2ELNS1_3repE0EEENS1_30default_config_static_selectorELNS0_4arch9wavefront6targetE0EEEvS14_.has_recursion, 0
	.set _ZN7rocprim17ROCPRIM_400000_NS6detail17trampoline_kernelINS0_14default_configENS1_22reduce_config_selectorIN6thrust23THRUST_200600_302600_NS5tupleIblNS6_9null_typeES8_S8_S8_S8_S8_S8_S8_EEEEZNS1_11reduce_implILb1ES3_NS6_12zip_iteratorINS7_INS6_11hip_rocprim26transform_input_iterator_tIbNSD_35transform_pair_of_input_iterators_tIbNS6_6detail15normal_iteratorINS6_10device_ptrIKxEEEESL_NS6_8equal_toIxEEEENSG_9not_fun_tINSD_8identityEEEEENSD_19counting_iterator_tIlEES8_S8_S8_S8_S8_S8_S8_S8_EEEEPS9_S9_NSD_9__find_if7functorIS9_EEEE10hipError_tPvRmT1_T2_T3_mT4_P12ihipStream_tbEUlT_E1_NS1_11comp_targetILNS1_3genE8ELNS1_11target_archE1030ELNS1_3gpuE2ELNS1_3repE0EEENS1_30default_config_static_selectorELNS0_4arch9wavefront6targetE0EEEvS14_.has_indirect_call, 0
	.section	.AMDGPU.csdata,"",@progbits
; Kernel info:
; codeLenInByte = 15076
; TotalNumSgprs: 34
; NumVgprs: 36
; ScratchSize: 0
; MemoryBound: 0
; FloatMode: 240
; IeeeMode: 1
; LDSByteSize: 640 bytes/workgroup (compile time only)
; SGPRBlocks: 0
; VGPRBlocks: 4
; NumSGPRsForWavesPerEU: 34
; NumVGPRsForWavesPerEU: 36
; Occupancy: 16
; WaveLimiterHint : 0
; COMPUTE_PGM_RSRC2:SCRATCH_EN: 0
; COMPUTE_PGM_RSRC2:USER_SGPR: 6
; COMPUTE_PGM_RSRC2:TRAP_HANDLER: 0
; COMPUTE_PGM_RSRC2:TGID_X_EN: 1
; COMPUTE_PGM_RSRC2:TGID_Y_EN: 0
; COMPUTE_PGM_RSRC2:TGID_Z_EN: 0
; COMPUTE_PGM_RSRC2:TIDIG_COMP_CNT: 0
	.section	.text._ZN7rocprim17ROCPRIM_400000_NS6detail17trampoline_kernelINS0_14default_configENS1_21merge_config_selectorINS0_5tupleIJiiEEENS0_10empty_typeEEEZNS1_10merge_implIS3_NS0_12zip_iteratorINS5_IJN6thrust23THRUST_200600_302600_NS6detail15normal_iteratorINSC_10device_ptrIKiEEEESI_EEEEESK_NSA_INS5_IJNSE_INSF_IiEEEESM_EEEEEPS7_SP_SP_NSC_11hip_rocprim7__merge17predicate_wrapperIiiNSC_4lessIiEEEEEE10hipError_tPvRmT0_T1_T2_T3_T4_T5_mmT6_P12ihipStream_tbEUlT_E_NS1_11comp_targetILNS1_3genE0ELNS1_11target_archE4294967295ELNS1_3gpuE0ELNS1_3repE0EEENS1_30default_config_static_selectorELNS0_4arch9wavefront6targetE0EEEvS10_,"axG",@progbits,_ZN7rocprim17ROCPRIM_400000_NS6detail17trampoline_kernelINS0_14default_configENS1_21merge_config_selectorINS0_5tupleIJiiEEENS0_10empty_typeEEEZNS1_10merge_implIS3_NS0_12zip_iteratorINS5_IJN6thrust23THRUST_200600_302600_NS6detail15normal_iteratorINSC_10device_ptrIKiEEEESI_EEEEESK_NSA_INS5_IJNSE_INSF_IiEEEESM_EEEEEPS7_SP_SP_NSC_11hip_rocprim7__merge17predicate_wrapperIiiNSC_4lessIiEEEEEE10hipError_tPvRmT0_T1_T2_T3_T4_T5_mmT6_P12ihipStream_tbEUlT_E_NS1_11comp_targetILNS1_3genE0ELNS1_11target_archE4294967295ELNS1_3gpuE0ELNS1_3repE0EEENS1_30default_config_static_selectorELNS0_4arch9wavefront6targetE0EEEvS10_,comdat
	.protected	_ZN7rocprim17ROCPRIM_400000_NS6detail17trampoline_kernelINS0_14default_configENS1_21merge_config_selectorINS0_5tupleIJiiEEENS0_10empty_typeEEEZNS1_10merge_implIS3_NS0_12zip_iteratorINS5_IJN6thrust23THRUST_200600_302600_NS6detail15normal_iteratorINSC_10device_ptrIKiEEEESI_EEEEESK_NSA_INS5_IJNSE_INSF_IiEEEESM_EEEEEPS7_SP_SP_NSC_11hip_rocprim7__merge17predicate_wrapperIiiNSC_4lessIiEEEEEE10hipError_tPvRmT0_T1_T2_T3_T4_T5_mmT6_P12ihipStream_tbEUlT_E_NS1_11comp_targetILNS1_3genE0ELNS1_11target_archE4294967295ELNS1_3gpuE0ELNS1_3repE0EEENS1_30default_config_static_selectorELNS0_4arch9wavefront6targetE0EEEvS10_ ; -- Begin function _ZN7rocprim17ROCPRIM_400000_NS6detail17trampoline_kernelINS0_14default_configENS1_21merge_config_selectorINS0_5tupleIJiiEEENS0_10empty_typeEEEZNS1_10merge_implIS3_NS0_12zip_iteratorINS5_IJN6thrust23THRUST_200600_302600_NS6detail15normal_iteratorINSC_10device_ptrIKiEEEESI_EEEEESK_NSA_INS5_IJNSE_INSF_IiEEEESM_EEEEEPS7_SP_SP_NSC_11hip_rocprim7__merge17predicate_wrapperIiiNSC_4lessIiEEEEEE10hipError_tPvRmT0_T1_T2_T3_T4_T5_mmT6_P12ihipStream_tbEUlT_E_NS1_11comp_targetILNS1_3genE0ELNS1_11target_archE4294967295ELNS1_3gpuE0ELNS1_3repE0EEENS1_30default_config_static_selectorELNS0_4arch9wavefront6targetE0EEEvS10_
	.globl	_ZN7rocprim17ROCPRIM_400000_NS6detail17trampoline_kernelINS0_14default_configENS1_21merge_config_selectorINS0_5tupleIJiiEEENS0_10empty_typeEEEZNS1_10merge_implIS3_NS0_12zip_iteratorINS5_IJN6thrust23THRUST_200600_302600_NS6detail15normal_iteratorINSC_10device_ptrIKiEEEESI_EEEEESK_NSA_INS5_IJNSE_INSF_IiEEEESM_EEEEEPS7_SP_SP_NSC_11hip_rocprim7__merge17predicate_wrapperIiiNSC_4lessIiEEEEEE10hipError_tPvRmT0_T1_T2_T3_T4_T5_mmT6_P12ihipStream_tbEUlT_E_NS1_11comp_targetILNS1_3genE0ELNS1_11target_archE4294967295ELNS1_3gpuE0ELNS1_3repE0EEENS1_30default_config_static_selectorELNS0_4arch9wavefront6targetE0EEEvS10_
	.p2align	8
	.type	_ZN7rocprim17ROCPRIM_400000_NS6detail17trampoline_kernelINS0_14default_configENS1_21merge_config_selectorINS0_5tupleIJiiEEENS0_10empty_typeEEEZNS1_10merge_implIS3_NS0_12zip_iteratorINS5_IJN6thrust23THRUST_200600_302600_NS6detail15normal_iteratorINSC_10device_ptrIKiEEEESI_EEEEESK_NSA_INS5_IJNSE_INSF_IiEEEESM_EEEEEPS7_SP_SP_NSC_11hip_rocprim7__merge17predicate_wrapperIiiNSC_4lessIiEEEEEE10hipError_tPvRmT0_T1_T2_T3_T4_T5_mmT6_P12ihipStream_tbEUlT_E_NS1_11comp_targetILNS1_3genE0ELNS1_11target_archE4294967295ELNS1_3gpuE0ELNS1_3repE0EEENS1_30default_config_static_selectorELNS0_4arch9wavefront6targetE0EEEvS10_,@function
_ZN7rocprim17ROCPRIM_400000_NS6detail17trampoline_kernelINS0_14default_configENS1_21merge_config_selectorINS0_5tupleIJiiEEENS0_10empty_typeEEEZNS1_10merge_implIS3_NS0_12zip_iteratorINS5_IJN6thrust23THRUST_200600_302600_NS6detail15normal_iteratorINSC_10device_ptrIKiEEEESI_EEEEESK_NSA_INS5_IJNSE_INSF_IiEEEESM_EEEEEPS7_SP_SP_NSC_11hip_rocprim7__merge17predicate_wrapperIiiNSC_4lessIiEEEEEE10hipError_tPvRmT0_T1_T2_T3_T4_T5_mmT6_P12ihipStream_tbEUlT_E_NS1_11comp_targetILNS1_3genE0ELNS1_11target_archE4294967295ELNS1_3gpuE0ELNS1_3repE0EEENS1_30default_config_static_selectorELNS0_4arch9wavefront6targetE0EEEvS10_: ; @_ZN7rocprim17ROCPRIM_400000_NS6detail17trampoline_kernelINS0_14default_configENS1_21merge_config_selectorINS0_5tupleIJiiEEENS0_10empty_typeEEEZNS1_10merge_implIS3_NS0_12zip_iteratorINS5_IJN6thrust23THRUST_200600_302600_NS6detail15normal_iteratorINSC_10device_ptrIKiEEEESI_EEEEESK_NSA_INS5_IJNSE_INSF_IiEEEESM_EEEEEPS7_SP_SP_NSC_11hip_rocprim7__merge17predicate_wrapperIiiNSC_4lessIiEEEEEE10hipError_tPvRmT0_T1_T2_T3_T4_T5_mmT6_P12ihipStream_tbEUlT_E_NS1_11comp_targetILNS1_3genE0ELNS1_11target_archE4294967295ELNS1_3gpuE0ELNS1_3repE0EEENS1_30default_config_static_selectorELNS0_4arch9wavefront6targetE0EEEvS10_
; %bb.0:
	.section	.rodata,"a",@progbits
	.p2align	6, 0x0
	.amdhsa_kernel _ZN7rocprim17ROCPRIM_400000_NS6detail17trampoline_kernelINS0_14default_configENS1_21merge_config_selectorINS0_5tupleIJiiEEENS0_10empty_typeEEEZNS1_10merge_implIS3_NS0_12zip_iteratorINS5_IJN6thrust23THRUST_200600_302600_NS6detail15normal_iteratorINSC_10device_ptrIKiEEEESI_EEEEESK_NSA_INS5_IJNSE_INSF_IiEEEESM_EEEEEPS7_SP_SP_NSC_11hip_rocprim7__merge17predicate_wrapperIiiNSC_4lessIiEEEEEE10hipError_tPvRmT0_T1_T2_T3_T4_T5_mmT6_P12ihipStream_tbEUlT_E_NS1_11comp_targetILNS1_3genE0ELNS1_11target_archE4294967295ELNS1_3gpuE0ELNS1_3repE0EEENS1_30default_config_static_selectorELNS0_4arch9wavefront6targetE0EEEvS10_
		.amdhsa_group_segment_fixed_size 0
		.amdhsa_private_segment_fixed_size 0
		.amdhsa_kernarg_size 64
		.amdhsa_user_sgpr_count 6
		.amdhsa_user_sgpr_private_segment_buffer 1
		.amdhsa_user_sgpr_dispatch_ptr 0
		.amdhsa_user_sgpr_queue_ptr 0
		.amdhsa_user_sgpr_kernarg_segment_ptr 1
		.amdhsa_user_sgpr_dispatch_id 0
		.amdhsa_user_sgpr_flat_scratch_init 0
		.amdhsa_user_sgpr_private_segment_size 0
		.amdhsa_wavefront_size32 1
		.amdhsa_uses_dynamic_stack 0
		.amdhsa_system_sgpr_private_segment_wavefront_offset 0
		.amdhsa_system_sgpr_workgroup_id_x 1
		.amdhsa_system_sgpr_workgroup_id_y 0
		.amdhsa_system_sgpr_workgroup_id_z 0
		.amdhsa_system_sgpr_workgroup_info 0
		.amdhsa_system_vgpr_workitem_id 0
		.amdhsa_next_free_vgpr 1
		.amdhsa_next_free_sgpr 1
		.amdhsa_reserve_vcc 0
		.amdhsa_reserve_flat_scratch 0
		.amdhsa_float_round_mode_32 0
		.amdhsa_float_round_mode_16_64 0
		.amdhsa_float_denorm_mode_32 3
		.amdhsa_float_denorm_mode_16_64 3
		.amdhsa_dx10_clamp 1
		.amdhsa_ieee_mode 1
		.amdhsa_fp16_overflow 0
		.amdhsa_workgroup_processor_mode 1
		.amdhsa_memory_ordered 1
		.amdhsa_forward_progress 1
		.amdhsa_shared_vgpr_count 0
		.amdhsa_exception_fp_ieee_invalid_op 0
		.amdhsa_exception_fp_denorm_src 0
		.amdhsa_exception_fp_ieee_div_zero 0
		.amdhsa_exception_fp_ieee_overflow 0
		.amdhsa_exception_fp_ieee_underflow 0
		.amdhsa_exception_fp_ieee_inexact 0
		.amdhsa_exception_int_div_zero 0
	.end_amdhsa_kernel
	.section	.text._ZN7rocprim17ROCPRIM_400000_NS6detail17trampoline_kernelINS0_14default_configENS1_21merge_config_selectorINS0_5tupleIJiiEEENS0_10empty_typeEEEZNS1_10merge_implIS3_NS0_12zip_iteratorINS5_IJN6thrust23THRUST_200600_302600_NS6detail15normal_iteratorINSC_10device_ptrIKiEEEESI_EEEEESK_NSA_INS5_IJNSE_INSF_IiEEEESM_EEEEEPS7_SP_SP_NSC_11hip_rocprim7__merge17predicate_wrapperIiiNSC_4lessIiEEEEEE10hipError_tPvRmT0_T1_T2_T3_T4_T5_mmT6_P12ihipStream_tbEUlT_E_NS1_11comp_targetILNS1_3genE0ELNS1_11target_archE4294967295ELNS1_3gpuE0ELNS1_3repE0EEENS1_30default_config_static_selectorELNS0_4arch9wavefront6targetE0EEEvS10_,"axG",@progbits,_ZN7rocprim17ROCPRIM_400000_NS6detail17trampoline_kernelINS0_14default_configENS1_21merge_config_selectorINS0_5tupleIJiiEEENS0_10empty_typeEEEZNS1_10merge_implIS3_NS0_12zip_iteratorINS5_IJN6thrust23THRUST_200600_302600_NS6detail15normal_iteratorINSC_10device_ptrIKiEEEESI_EEEEESK_NSA_INS5_IJNSE_INSF_IiEEEESM_EEEEEPS7_SP_SP_NSC_11hip_rocprim7__merge17predicate_wrapperIiiNSC_4lessIiEEEEEE10hipError_tPvRmT0_T1_T2_T3_T4_T5_mmT6_P12ihipStream_tbEUlT_E_NS1_11comp_targetILNS1_3genE0ELNS1_11target_archE4294967295ELNS1_3gpuE0ELNS1_3repE0EEENS1_30default_config_static_selectorELNS0_4arch9wavefront6targetE0EEEvS10_,comdat
.Lfunc_end243:
	.size	_ZN7rocprim17ROCPRIM_400000_NS6detail17trampoline_kernelINS0_14default_configENS1_21merge_config_selectorINS0_5tupleIJiiEEENS0_10empty_typeEEEZNS1_10merge_implIS3_NS0_12zip_iteratorINS5_IJN6thrust23THRUST_200600_302600_NS6detail15normal_iteratorINSC_10device_ptrIKiEEEESI_EEEEESK_NSA_INS5_IJNSE_INSF_IiEEEESM_EEEEEPS7_SP_SP_NSC_11hip_rocprim7__merge17predicate_wrapperIiiNSC_4lessIiEEEEEE10hipError_tPvRmT0_T1_T2_T3_T4_T5_mmT6_P12ihipStream_tbEUlT_E_NS1_11comp_targetILNS1_3genE0ELNS1_11target_archE4294967295ELNS1_3gpuE0ELNS1_3repE0EEENS1_30default_config_static_selectorELNS0_4arch9wavefront6targetE0EEEvS10_, .Lfunc_end243-_ZN7rocprim17ROCPRIM_400000_NS6detail17trampoline_kernelINS0_14default_configENS1_21merge_config_selectorINS0_5tupleIJiiEEENS0_10empty_typeEEEZNS1_10merge_implIS3_NS0_12zip_iteratorINS5_IJN6thrust23THRUST_200600_302600_NS6detail15normal_iteratorINSC_10device_ptrIKiEEEESI_EEEEESK_NSA_INS5_IJNSE_INSF_IiEEEESM_EEEEEPS7_SP_SP_NSC_11hip_rocprim7__merge17predicate_wrapperIiiNSC_4lessIiEEEEEE10hipError_tPvRmT0_T1_T2_T3_T4_T5_mmT6_P12ihipStream_tbEUlT_E_NS1_11comp_targetILNS1_3genE0ELNS1_11target_archE4294967295ELNS1_3gpuE0ELNS1_3repE0EEENS1_30default_config_static_selectorELNS0_4arch9wavefront6targetE0EEEvS10_
                                        ; -- End function
	.set _ZN7rocprim17ROCPRIM_400000_NS6detail17trampoline_kernelINS0_14default_configENS1_21merge_config_selectorINS0_5tupleIJiiEEENS0_10empty_typeEEEZNS1_10merge_implIS3_NS0_12zip_iteratorINS5_IJN6thrust23THRUST_200600_302600_NS6detail15normal_iteratorINSC_10device_ptrIKiEEEESI_EEEEESK_NSA_INS5_IJNSE_INSF_IiEEEESM_EEEEEPS7_SP_SP_NSC_11hip_rocprim7__merge17predicate_wrapperIiiNSC_4lessIiEEEEEE10hipError_tPvRmT0_T1_T2_T3_T4_T5_mmT6_P12ihipStream_tbEUlT_E_NS1_11comp_targetILNS1_3genE0ELNS1_11target_archE4294967295ELNS1_3gpuE0ELNS1_3repE0EEENS1_30default_config_static_selectorELNS0_4arch9wavefront6targetE0EEEvS10_.num_vgpr, 0
	.set _ZN7rocprim17ROCPRIM_400000_NS6detail17trampoline_kernelINS0_14default_configENS1_21merge_config_selectorINS0_5tupleIJiiEEENS0_10empty_typeEEEZNS1_10merge_implIS3_NS0_12zip_iteratorINS5_IJN6thrust23THRUST_200600_302600_NS6detail15normal_iteratorINSC_10device_ptrIKiEEEESI_EEEEESK_NSA_INS5_IJNSE_INSF_IiEEEESM_EEEEEPS7_SP_SP_NSC_11hip_rocprim7__merge17predicate_wrapperIiiNSC_4lessIiEEEEEE10hipError_tPvRmT0_T1_T2_T3_T4_T5_mmT6_P12ihipStream_tbEUlT_E_NS1_11comp_targetILNS1_3genE0ELNS1_11target_archE4294967295ELNS1_3gpuE0ELNS1_3repE0EEENS1_30default_config_static_selectorELNS0_4arch9wavefront6targetE0EEEvS10_.num_agpr, 0
	.set _ZN7rocprim17ROCPRIM_400000_NS6detail17trampoline_kernelINS0_14default_configENS1_21merge_config_selectorINS0_5tupleIJiiEEENS0_10empty_typeEEEZNS1_10merge_implIS3_NS0_12zip_iteratorINS5_IJN6thrust23THRUST_200600_302600_NS6detail15normal_iteratorINSC_10device_ptrIKiEEEESI_EEEEESK_NSA_INS5_IJNSE_INSF_IiEEEESM_EEEEEPS7_SP_SP_NSC_11hip_rocprim7__merge17predicate_wrapperIiiNSC_4lessIiEEEEEE10hipError_tPvRmT0_T1_T2_T3_T4_T5_mmT6_P12ihipStream_tbEUlT_E_NS1_11comp_targetILNS1_3genE0ELNS1_11target_archE4294967295ELNS1_3gpuE0ELNS1_3repE0EEENS1_30default_config_static_selectorELNS0_4arch9wavefront6targetE0EEEvS10_.numbered_sgpr, 0
	.set _ZN7rocprim17ROCPRIM_400000_NS6detail17trampoline_kernelINS0_14default_configENS1_21merge_config_selectorINS0_5tupleIJiiEEENS0_10empty_typeEEEZNS1_10merge_implIS3_NS0_12zip_iteratorINS5_IJN6thrust23THRUST_200600_302600_NS6detail15normal_iteratorINSC_10device_ptrIKiEEEESI_EEEEESK_NSA_INS5_IJNSE_INSF_IiEEEESM_EEEEEPS7_SP_SP_NSC_11hip_rocprim7__merge17predicate_wrapperIiiNSC_4lessIiEEEEEE10hipError_tPvRmT0_T1_T2_T3_T4_T5_mmT6_P12ihipStream_tbEUlT_E_NS1_11comp_targetILNS1_3genE0ELNS1_11target_archE4294967295ELNS1_3gpuE0ELNS1_3repE0EEENS1_30default_config_static_selectorELNS0_4arch9wavefront6targetE0EEEvS10_.num_named_barrier, 0
	.set _ZN7rocprim17ROCPRIM_400000_NS6detail17trampoline_kernelINS0_14default_configENS1_21merge_config_selectorINS0_5tupleIJiiEEENS0_10empty_typeEEEZNS1_10merge_implIS3_NS0_12zip_iteratorINS5_IJN6thrust23THRUST_200600_302600_NS6detail15normal_iteratorINSC_10device_ptrIKiEEEESI_EEEEESK_NSA_INS5_IJNSE_INSF_IiEEEESM_EEEEEPS7_SP_SP_NSC_11hip_rocprim7__merge17predicate_wrapperIiiNSC_4lessIiEEEEEE10hipError_tPvRmT0_T1_T2_T3_T4_T5_mmT6_P12ihipStream_tbEUlT_E_NS1_11comp_targetILNS1_3genE0ELNS1_11target_archE4294967295ELNS1_3gpuE0ELNS1_3repE0EEENS1_30default_config_static_selectorELNS0_4arch9wavefront6targetE0EEEvS10_.private_seg_size, 0
	.set _ZN7rocprim17ROCPRIM_400000_NS6detail17trampoline_kernelINS0_14default_configENS1_21merge_config_selectorINS0_5tupleIJiiEEENS0_10empty_typeEEEZNS1_10merge_implIS3_NS0_12zip_iteratorINS5_IJN6thrust23THRUST_200600_302600_NS6detail15normal_iteratorINSC_10device_ptrIKiEEEESI_EEEEESK_NSA_INS5_IJNSE_INSF_IiEEEESM_EEEEEPS7_SP_SP_NSC_11hip_rocprim7__merge17predicate_wrapperIiiNSC_4lessIiEEEEEE10hipError_tPvRmT0_T1_T2_T3_T4_T5_mmT6_P12ihipStream_tbEUlT_E_NS1_11comp_targetILNS1_3genE0ELNS1_11target_archE4294967295ELNS1_3gpuE0ELNS1_3repE0EEENS1_30default_config_static_selectorELNS0_4arch9wavefront6targetE0EEEvS10_.uses_vcc, 0
	.set _ZN7rocprim17ROCPRIM_400000_NS6detail17trampoline_kernelINS0_14default_configENS1_21merge_config_selectorINS0_5tupleIJiiEEENS0_10empty_typeEEEZNS1_10merge_implIS3_NS0_12zip_iteratorINS5_IJN6thrust23THRUST_200600_302600_NS6detail15normal_iteratorINSC_10device_ptrIKiEEEESI_EEEEESK_NSA_INS5_IJNSE_INSF_IiEEEESM_EEEEEPS7_SP_SP_NSC_11hip_rocprim7__merge17predicate_wrapperIiiNSC_4lessIiEEEEEE10hipError_tPvRmT0_T1_T2_T3_T4_T5_mmT6_P12ihipStream_tbEUlT_E_NS1_11comp_targetILNS1_3genE0ELNS1_11target_archE4294967295ELNS1_3gpuE0ELNS1_3repE0EEENS1_30default_config_static_selectorELNS0_4arch9wavefront6targetE0EEEvS10_.uses_flat_scratch, 0
	.set _ZN7rocprim17ROCPRIM_400000_NS6detail17trampoline_kernelINS0_14default_configENS1_21merge_config_selectorINS0_5tupleIJiiEEENS0_10empty_typeEEEZNS1_10merge_implIS3_NS0_12zip_iteratorINS5_IJN6thrust23THRUST_200600_302600_NS6detail15normal_iteratorINSC_10device_ptrIKiEEEESI_EEEEESK_NSA_INS5_IJNSE_INSF_IiEEEESM_EEEEEPS7_SP_SP_NSC_11hip_rocprim7__merge17predicate_wrapperIiiNSC_4lessIiEEEEEE10hipError_tPvRmT0_T1_T2_T3_T4_T5_mmT6_P12ihipStream_tbEUlT_E_NS1_11comp_targetILNS1_3genE0ELNS1_11target_archE4294967295ELNS1_3gpuE0ELNS1_3repE0EEENS1_30default_config_static_selectorELNS0_4arch9wavefront6targetE0EEEvS10_.has_dyn_sized_stack, 0
	.set _ZN7rocprim17ROCPRIM_400000_NS6detail17trampoline_kernelINS0_14default_configENS1_21merge_config_selectorINS0_5tupleIJiiEEENS0_10empty_typeEEEZNS1_10merge_implIS3_NS0_12zip_iteratorINS5_IJN6thrust23THRUST_200600_302600_NS6detail15normal_iteratorINSC_10device_ptrIKiEEEESI_EEEEESK_NSA_INS5_IJNSE_INSF_IiEEEESM_EEEEEPS7_SP_SP_NSC_11hip_rocprim7__merge17predicate_wrapperIiiNSC_4lessIiEEEEEE10hipError_tPvRmT0_T1_T2_T3_T4_T5_mmT6_P12ihipStream_tbEUlT_E_NS1_11comp_targetILNS1_3genE0ELNS1_11target_archE4294967295ELNS1_3gpuE0ELNS1_3repE0EEENS1_30default_config_static_selectorELNS0_4arch9wavefront6targetE0EEEvS10_.has_recursion, 0
	.set _ZN7rocprim17ROCPRIM_400000_NS6detail17trampoline_kernelINS0_14default_configENS1_21merge_config_selectorINS0_5tupleIJiiEEENS0_10empty_typeEEEZNS1_10merge_implIS3_NS0_12zip_iteratorINS5_IJN6thrust23THRUST_200600_302600_NS6detail15normal_iteratorINSC_10device_ptrIKiEEEESI_EEEEESK_NSA_INS5_IJNSE_INSF_IiEEEESM_EEEEEPS7_SP_SP_NSC_11hip_rocprim7__merge17predicate_wrapperIiiNSC_4lessIiEEEEEE10hipError_tPvRmT0_T1_T2_T3_T4_T5_mmT6_P12ihipStream_tbEUlT_E_NS1_11comp_targetILNS1_3genE0ELNS1_11target_archE4294967295ELNS1_3gpuE0ELNS1_3repE0EEENS1_30default_config_static_selectorELNS0_4arch9wavefront6targetE0EEEvS10_.has_indirect_call, 0
	.section	.AMDGPU.csdata,"",@progbits
; Kernel info:
; codeLenInByte = 0
; TotalNumSgprs: 0
; NumVgprs: 0
; ScratchSize: 0
; MemoryBound: 0
; FloatMode: 240
; IeeeMode: 1
; LDSByteSize: 0 bytes/workgroup (compile time only)
; SGPRBlocks: 0
; VGPRBlocks: 0
; NumSGPRsForWavesPerEU: 1
; NumVGPRsForWavesPerEU: 1
; Occupancy: 16
; WaveLimiterHint : 0
; COMPUTE_PGM_RSRC2:SCRATCH_EN: 0
; COMPUTE_PGM_RSRC2:USER_SGPR: 6
; COMPUTE_PGM_RSRC2:TRAP_HANDLER: 0
; COMPUTE_PGM_RSRC2:TGID_X_EN: 1
; COMPUTE_PGM_RSRC2:TGID_Y_EN: 0
; COMPUTE_PGM_RSRC2:TGID_Z_EN: 0
; COMPUTE_PGM_RSRC2:TIDIG_COMP_CNT: 0
	.section	.text._ZN7rocprim17ROCPRIM_400000_NS6detail17trampoline_kernelINS0_14default_configENS1_21merge_config_selectorINS0_5tupleIJiiEEENS0_10empty_typeEEEZNS1_10merge_implIS3_NS0_12zip_iteratorINS5_IJN6thrust23THRUST_200600_302600_NS6detail15normal_iteratorINSC_10device_ptrIKiEEEESI_EEEEESK_NSA_INS5_IJNSE_INSF_IiEEEESM_EEEEEPS7_SP_SP_NSC_11hip_rocprim7__merge17predicate_wrapperIiiNSC_4lessIiEEEEEE10hipError_tPvRmT0_T1_T2_T3_T4_T5_mmT6_P12ihipStream_tbEUlT_E_NS1_11comp_targetILNS1_3genE5ELNS1_11target_archE942ELNS1_3gpuE9ELNS1_3repE0EEENS1_30default_config_static_selectorELNS0_4arch9wavefront6targetE0EEEvS10_,"axG",@progbits,_ZN7rocprim17ROCPRIM_400000_NS6detail17trampoline_kernelINS0_14default_configENS1_21merge_config_selectorINS0_5tupleIJiiEEENS0_10empty_typeEEEZNS1_10merge_implIS3_NS0_12zip_iteratorINS5_IJN6thrust23THRUST_200600_302600_NS6detail15normal_iteratorINSC_10device_ptrIKiEEEESI_EEEEESK_NSA_INS5_IJNSE_INSF_IiEEEESM_EEEEEPS7_SP_SP_NSC_11hip_rocprim7__merge17predicate_wrapperIiiNSC_4lessIiEEEEEE10hipError_tPvRmT0_T1_T2_T3_T4_T5_mmT6_P12ihipStream_tbEUlT_E_NS1_11comp_targetILNS1_3genE5ELNS1_11target_archE942ELNS1_3gpuE9ELNS1_3repE0EEENS1_30default_config_static_selectorELNS0_4arch9wavefront6targetE0EEEvS10_,comdat
	.protected	_ZN7rocprim17ROCPRIM_400000_NS6detail17trampoline_kernelINS0_14default_configENS1_21merge_config_selectorINS0_5tupleIJiiEEENS0_10empty_typeEEEZNS1_10merge_implIS3_NS0_12zip_iteratorINS5_IJN6thrust23THRUST_200600_302600_NS6detail15normal_iteratorINSC_10device_ptrIKiEEEESI_EEEEESK_NSA_INS5_IJNSE_INSF_IiEEEESM_EEEEEPS7_SP_SP_NSC_11hip_rocprim7__merge17predicate_wrapperIiiNSC_4lessIiEEEEEE10hipError_tPvRmT0_T1_T2_T3_T4_T5_mmT6_P12ihipStream_tbEUlT_E_NS1_11comp_targetILNS1_3genE5ELNS1_11target_archE942ELNS1_3gpuE9ELNS1_3repE0EEENS1_30default_config_static_selectorELNS0_4arch9wavefront6targetE0EEEvS10_ ; -- Begin function _ZN7rocprim17ROCPRIM_400000_NS6detail17trampoline_kernelINS0_14default_configENS1_21merge_config_selectorINS0_5tupleIJiiEEENS0_10empty_typeEEEZNS1_10merge_implIS3_NS0_12zip_iteratorINS5_IJN6thrust23THRUST_200600_302600_NS6detail15normal_iteratorINSC_10device_ptrIKiEEEESI_EEEEESK_NSA_INS5_IJNSE_INSF_IiEEEESM_EEEEEPS7_SP_SP_NSC_11hip_rocprim7__merge17predicate_wrapperIiiNSC_4lessIiEEEEEE10hipError_tPvRmT0_T1_T2_T3_T4_T5_mmT6_P12ihipStream_tbEUlT_E_NS1_11comp_targetILNS1_3genE5ELNS1_11target_archE942ELNS1_3gpuE9ELNS1_3repE0EEENS1_30default_config_static_selectorELNS0_4arch9wavefront6targetE0EEEvS10_
	.globl	_ZN7rocprim17ROCPRIM_400000_NS6detail17trampoline_kernelINS0_14default_configENS1_21merge_config_selectorINS0_5tupleIJiiEEENS0_10empty_typeEEEZNS1_10merge_implIS3_NS0_12zip_iteratorINS5_IJN6thrust23THRUST_200600_302600_NS6detail15normal_iteratorINSC_10device_ptrIKiEEEESI_EEEEESK_NSA_INS5_IJNSE_INSF_IiEEEESM_EEEEEPS7_SP_SP_NSC_11hip_rocprim7__merge17predicate_wrapperIiiNSC_4lessIiEEEEEE10hipError_tPvRmT0_T1_T2_T3_T4_T5_mmT6_P12ihipStream_tbEUlT_E_NS1_11comp_targetILNS1_3genE5ELNS1_11target_archE942ELNS1_3gpuE9ELNS1_3repE0EEENS1_30default_config_static_selectorELNS0_4arch9wavefront6targetE0EEEvS10_
	.p2align	8
	.type	_ZN7rocprim17ROCPRIM_400000_NS6detail17trampoline_kernelINS0_14default_configENS1_21merge_config_selectorINS0_5tupleIJiiEEENS0_10empty_typeEEEZNS1_10merge_implIS3_NS0_12zip_iteratorINS5_IJN6thrust23THRUST_200600_302600_NS6detail15normal_iteratorINSC_10device_ptrIKiEEEESI_EEEEESK_NSA_INS5_IJNSE_INSF_IiEEEESM_EEEEEPS7_SP_SP_NSC_11hip_rocprim7__merge17predicate_wrapperIiiNSC_4lessIiEEEEEE10hipError_tPvRmT0_T1_T2_T3_T4_T5_mmT6_P12ihipStream_tbEUlT_E_NS1_11comp_targetILNS1_3genE5ELNS1_11target_archE942ELNS1_3gpuE9ELNS1_3repE0EEENS1_30default_config_static_selectorELNS0_4arch9wavefront6targetE0EEEvS10_,@function
_ZN7rocprim17ROCPRIM_400000_NS6detail17trampoline_kernelINS0_14default_configENS1_21merge_config_selectorINS0_5tupleIJiiEEENS0_10empty_typeEEEZNS1_10merge_implIS3_NS0_12zip_iteratorINS5_IJN6thrust23THRUST_200600_302600_NS6detail15normal_iteratorINSC_10device_ptrIKiEEEESI_EEEEESK_NSA_INS5_IJNSE_INSF_IiEEEESM_EEEEEPS7_SP_SP_NSC_11hip_rocprim7__merge17predicate_wrapperIiiNSC_4lessIiEEEEEE10hipError_tPvRmT0_T1_T2_T3_T4_T5_mmT6_P12ihipStream_tbEUlT_E_NS1_11comp_targetILNS1_3genE5ELNS1_11target_archE942ELNS1_3gpuE9ELNS1_3repE0EEENS1_30default_config_static_selectorELNS0_4arch9wavefront6targetE0EEEvS10_: ; @_ZN7rocprim17ROCPRIM_400000_NS6detail17trampoline_kernelINS0_14default_configENS1_21merge_config_selectorINS0_5tupleIJiiEEENS0_10empty_typeEEEZNS1_10merge_implIS3_NS0_12zip_iteratorINS5_IJN6thrust23THRUST_200600_302600_NS6detail15normal_iteratorINSC_10device_ptrIKiEEEESI_EEEEESK_NSA_INS5_IJNSE_INSF_IiEEEESM_EEEEEPS7_SP_SP_NSC_11hip_rocprim7__merge17predicate_wrapperIiiNSC_4lessIiEEEEEE10hipError_tPvRmT0_T1_T2_T3_T4_T5_mmT6_P12ihipStream_tbEUlT_E_NS1_11comp_targetILNS1_3genE5ELNS1_11target_archE942ELNS1_3gpuE9ELNS1_3repE0EEENS1_30default_config_static_selectorELNS0_4arch9wavefront6targetE0EEEvS10_
; %bb.0:
	.section	.rodata,"a",@progbits
	.p2align	6, 0x0
	.amdhsa_kernel _ZN7rocprim17ROCPRIM_400000_NS6detail17trampoline_kernelINS0_14default_configENS1_21merge_config_selectorINS0_5tupleIJiiEEENS0_10empty_typeEEEZNS1_10merge_implIS3_NS0_12zip_iteratorINS5_IJN6thrust23THRUST_200600_302600_NS6detail15normal_iteratorINSC_10device_ptrIKiEEEESI_EEEEESK_NSA_INS5_IJNSE_INSF_IiEEEESM_EEEEEPS7_SP_SP_NSC_11hip_rocprim7__merge17predicate_wrapperIiiNSC_4lessIiEEEEEE10hipError_tPvRmT0_T1_T2_T3_T4_T5_mmT6_P12ihipStream_tbEUlT_E_NS1_11comp_targetILNS1_3genE5ELNS1_11target_archE942ELNS1_3gpuE9ELNS1_3repE0EEENS1_30default_config_static_selectorELNS0_4arch9wavefront6targetE0EEEvS10_
		.amdhsa_group_segment_fixed_size 0
		.amdhsa_private_segment_fixed_size 0
		.amdhsa_kernarg_size 64
		.amdhsa_user_sgpr_count 6
		.amdhsa_user_sgpr_private_segment_buffer 1
		.amdhsa_user_sgpr_dispatch_ptr 0
		.amdhsa_user_sgpr_queue_ptr 0
		.amdhsa_user_sgpr_kernarg_segment_ptr 1
		.amdhsa_user_sgpr_dispatch_id 0
		.amdhsa_user_sgpr_flat_scratch_init 0
		.amdhsa_user_sgpr_private_segment_size 0
		.amdhsa_wavefront_size32 1
		.amdhsa_uses_dynamic_stack 0
		.amdhsa_system_sgpr_private_segment_wavefront_offset 0
		.amdhsa_system_sgpr_workgroup_id_x 1
		.amdhsa_system_sgpr_workgroup_id_y 0
		.amdhsa_system_sgpr_workgroup_id_z 0
		.amdhsa_system_sgpr_workgroup_info 0
		.amdhsa_system_vgpr_workitem_id 0
		.amdhsa_next_free_vgpr 1
		.amdhsa_next_free_sgpr 1
		.amdhsa_reserve_vcc 0
		.amdhsa_reserve_flat_scratch 0
		.amdhsa_float_round_mode_32 0
		.amdhsa_float_round_mode_16_64 0
		.amdhsa_float_denorm_mode_32 3
		.amdhsa_float_denorm_mode_16_64 3
		.amdhsa_dx10_clamp 1
		.amdhsa_ieee_mode 1
		.amdhsa_fp16_overflow 0
		.amdhsa_workgroup_processor_mode 1
		.amdhsa_memory_ordered 1
		.amdhsa_forward_progress 1
		.amdhsa_shared_vgpr_count 0
		.amdhsa_exception_fp_ieee_invalid_op 0
		.amdhsa_exception_fp_denorm_src 0
		.amdhsa_exception_fp_ieee_div_zero 0
		.amdhsa_exception_fp_ieee_overflow 0
		.amdhsa_exception_fp_ieee_underflow 0
		.amdhsa_exception_fp_ieee_inexact 0
		.amdhsa_exception_int_div_zero 0
	.end_amdhsa_kernel
	.section	.text._ZN7rocprim17ROCPRIM_400000_NS6detail17trampoline_kernelINS0_14default_configENS1_21merge_config_selectorINS0_5tupleIJiiEEENS0_10empty_typeEEEZNS1_10merge_implIS3_NS0_12zip_iteratorINS5_IJN6thrust23THRUST_200600_302600_NS6detail15normal_iteratorINSC_10device_ptrIKiEEEESI_EEEEESK_NSA_INS5_IJNSE_INSF_IiEEEESM_EEEEEPS7_SP_SP_NSC_11hip_rocprim7__merge17predicate_wrapperIiiNSC_4lessIiEEEEEE10hipError_tPvRmT0_T1_T2_T3_T4_T5_mmT6_P12ihipStream_tbEUlT_E_NS1_11comp_targetILNS1_3genE5ELNS1_11target_archE942ELNS1_3gpuE9ELNS1_3repE0EEENS1_30default_config_static_selectorELNS0_4arch9wavefront6targetE0EEEvS10_,"axG",@progbits,_ZN7rocprim17ROCPRIM_400000_NS6detail17trampoline_kernelINS0_14default_configENS1_21merge_config_selectorINS0_5tupleIJiiEEENS0_10empty_typeEEEZNS1_10merge_implIS3_NS0_12zip_iteratorINS5_IJN6thrust23THRUST_200600_302600_NS6detail15normal_iteratorINSC_10device_ptrIKiEEEESI_EEEEESK_NSA_INS5_IJNSE_INSF_IiEEEESM_EEEEEPS7_SP_SP_NSC_11hip_rocprim7__merge17predicate_wrapperIiiNSC_4lessIiEEEEEE10hipError_tPvRmT0_T1_T2_T3_T4_T5_mmT6_P12ihipStream_tbEUlT_E_NS1_11comp_targetILNS1_3genE5ELNS1_11target_archE942ELNS1_3gpuE9ELNS1_3repE0EEENS1_30default_config_static_selectorELNS0_4arch9wavefront6targetE0EEEvS10_,comdat
.Lfunc_end244:
	.size	_ZN7rocprim17ROCPRIM_400000_NS6detail17trampoline_kernelINS0_14default_configENS1_21merge_config_selectorINS0_5tupleIJiiEEENS0_10empty_typeEEEZNS1_10merge_implIS3_NS0_12zip_iteratorINS5_IJN6thrust23THRUST_200600_302600_NS6detail15normal_iteratorINSC_10device_ptrIKiEEEESI_EEEEESK_NSA_INS5_IJNSE_INSF_IiEEEESM_EEEEEPS7_SP_SP_NSC_11hip_rocprim7__merge17predicate_wrapperIiiNSC_4lessIiEEEEEE10hipError_tPvRmT0_T1_T2_T3_T4_T5_mmT6_P12ihipStream_tbEUlT_E_NS1_11comp_targetILNS1_3genE5ELNS1_11target_archE942ELNS1_3gpuE9ELNS1_3repE0EEENS1_30default_config_static_selectorELNS0_4arch9wavefront6targetE0EEEvS10_, .Lfunc_end244-_ZN7rocprim17ROCPRIM_400000_NS6detail17trampoline_kernelINS0_14default_configENS1_21merge_config_selectorINS0_5tupleIJiiEEENS0_10empty_typeEEEZNS1_10merge_implIS3_NS0_12zip_iteratorINS5_IJN6thrust23THRUST_200600_302600_NS6detail15normal_iteratorINSC_10device_ptrIKiEEEESI_EEEEESK_NSA_INS5_IJNSE_INSF_IiEEEESM_EEEEEPS7_SP_SP_NSC_11hip_rocprim7__merge17predicate_wrapperIiiNSC_4lessIiEEEEEE10hipError_tPvRmT0_T1_T2_T3_T4_T5_mmT6_P12ihipStream_tbEUlT_E_NS1_11comp_targetILNS1_3genE5ELNS1_11target_archE942ELNS1_3gpuE9ELNS1_3repE0EEENS1_30default_config_static_selectorELNS0_4arch9wavefront6targetE0EEEvS10_
                                        ; -- End function
	.set _ZN7rocprim17ROCPRIM_400000_NS6detail17trampoline_kernelINS0_14default_configENS1_21merge_config_selectorINS0_5tupleIJiiEEENS0_10empty_typeEEEZNS1_10merge_implIS3_NS0_12zip_iteratorINS5_IJN6thrust23THRUST_200600_302600_NS6detail15normal_iteratorINSC_10device_ptrIKiEEEESI_EEEEESK_NSA_INS5_IJNSE_INSF_IiEEEESM_EEEEEPS7_SP_SP_NSC_11hip_rocprim7__merge17predicate_wrapperIiiNSC_4lessIiEEEEEE10hipError_tPvRmT0_T1_T2_T3_T4_T5_mmT6_P12ihipStream_tbEUlT_E_NS1_11comp_targetILNS1_3genE5ELNS1_11target_archE942ELNS1_3gpuE9ELNS1_3repE0EEENS1_30default_config_static_selectorELNS0_4arch9wavefront6targetE0EEEvS10_.num_vgpr, 0
	.set _ZN7rocprim17ROCPRIM_400000_NS6detail17trampoline_kernelINS0_14default_configENS1_21merge_config_selectorINS0_5tupleIJiiEEENS0_10empty_typeEEEZNS1_10merge_implIS3_NS0_12zip_iteratorINS5_IJN6thrust23THRUST_200600_302600_NS6detail15normal_iteratorINSC_10device_ptrIKiEEEESI_EEEEESK_NSA_INS5_IJNSE_INSF_IiEEEESM_EEEEEPS7_SP_SP_NSC_11hip_rocprim7__merge17predicate_wrapperIiiNSC_4lessIiEEEEEE10hipError_tPvRmT0_T1_T2_T3_T4_T5_mmT6_P12ihipStream_tbEUlT_E_NS1_11comp_targetILNS1_3genE5ELNS1_11target_archE942ELNS1_3gpuE9ELNS1_3repE0EEENS1_30default_config_static_selectorELNS0_4arch9wavefront6targetE0EEEvS10_.num_agpr, 0
	.set _ZN7rocprim17ROCPRIM_400000_NS6detail17trampoline_kernelINS0_14default_configENS1_21merge_config_selectorINS0_5tupleIJiiEEENS0_10empty_typeEEEZNS1_10merge_implIS3_NS0_12zip_iteratorINS5_IJN6thrust23THRUST_200600_302600_NS6detail15normal_iteratorINSC_10device_ptrIKiEEEESI_EEEEESK_NSA_INS5_IJNSE_INSF_IiEEEESM_EEEEEPS7_SP_SP_NSC_11hip_rocprim7__merge17predicate_wrapperIiiNSC_4lessIiEEEEEE10hipError_tPvRmT0_T1_T2_T3_T4_T5_mmT6_P12ihipStream_tbEUlT_E_NS1_11comp_targetILNS1_3genE5ELNS1_11target_archE942ELNS1_3gpuE9ELNS1_3repE0EEENS1_30default_config_static_selectorELNS0_4arch9wavefront6targetE0EEEvS10_.numbered_sgpr, 0
	.set _ZN7rocprim17ROCPRIM_400000_NS6detail17trampoline_kernelINS0_14default_configENS1_21merge_config_selectorINS0_5tupleIJiiEEENS0_10empty_typeEEEZNS1_10merge_implIS3_NS0_12zip_iteratorINS5_IJN6thrust23THRUST_200600_302600_NS6detail15normal_iteratorINSC_10device_ptrIKiEEEESI_EEEEESK_NSA_INS5_IJNSE_INSF_IiEEEESM_EEEEEPS7_SP_SP_NSC_11hip_rocprim7__merge17predicate_wrapperIiiNSC_4lessIiEEEEEE10hipError_tPvRmT0_T1_T2_T3_T4_T5_mmT6_P12ihipStream_tbEUlT_E_NS1_11comp_targetILNS1_3genE5ELNS1_11target_archE942ELNS1_3gpuE9ELNS1_3repE0EEENS1_30default_config_static_selectorELNS0_4arch9wavefront6targetE0EEEvS10_.num_named_barrier, 0
	.set _ZN7rocprim17ROCPRIM_400000_NS6detail17trampoline_kernelINS0_14default_configENS1_21merge_config_selectorINS0_5tupleIJiiEEENS0_10empty_typeEEEZNS1_10merge_implIS3_NS0_12zip_iteratorINS5_IJN6thrust23THRUST_200600_302600_NS6detail15normal_iteratorINSC_10device_ptrIKiEEEESI_EEEEESK_NSA_INS5_IJNSE_INSF_IiEEEESM_EEEEEPS7_SP_SP_NSC_11hip_rocprim7__merge17predicate_wrapperIiiNSC_4lessIiEEEEEE10hipError_tPvRmT0_T1_T2_T3_T4_T5_mmT6_P12ihipStream_tbEUlT_E_NS1_11comp_targetILNS1_3genE5ELNS1_11target_archE942ELNS1_3gpuE9ELNS1_3repE0EEENS1_30default_config_static_selectorELNS0_4arch9wavefront6targetE0EEEvS10_.private_seg_size, 0
	.set _ZN7rocprim17ROCPRIM_400000_NS6detail17trampoline_kernelINS0_14default_configENS1_21merge_config_selectorINS0_5tupleIJiiEEENS0_10empty_typeEEEZNS1_10merge_implIS3_NS0_12zip_iteratorINS5_IJN6thrust23THRUST_200600_302600_NS6detail15normal_iteratorINSC_10device_ptrIKiEEEESI_EEEEESK_NSA_INS5_IJNSE_INSF_IiEEEESM_EEEEEPS7_SP_SP_NSC_11hip_rocprim7__merge17predicate_wrapperIiiNSC_4lessIiEEEEEE10hipError_tPvRmT0_T1_T2_T3_T4_T5_mmT6_P12ihipStream_tbEUlT_E_NS1_11comp_targetILNS1_3genE5ELNS1_11target_archE942ELNS1_3gpuE9ELNS1_3repE0EEENS1_30default_config_static_selectorELNS0_4arch9wavefront6targetE0EEEvS10_.uses_vcc, 0
	.set _ZN7rocprim17ROCPRIM_400000_NS6detail17trampoline_kernelINS0_14default_configENS1_21merge_config_selectorINS0_5tupleIJiiEEENS0_10empty_typeEEEZNS1_10merge_implIS3_NS0_12zip_iteratorINS5_IJN6thrust23THRUST_200600_302600_NS6detail15normal_iteratorINSC_10device_ptrIKiEEEESI_EEEEESK_NSA_INS5_IJNSE_INSF_IiEEEESM_EEEEEPS7_SP_SP_NSC_11hip_rocprim7__merge17predicate_wrapperIiiNSC_4lessIiEEEEEE10hipError_tPvRmT0_T1_T2_T3_T4_T5_mmT6_P12ihipStream_tbEUlT_E_NS1_11comp_targetILNS1_3genE5ELNS1_11target_archE942ELNS1_3gpuE9ELNS1_3repE0EEENS1_30default_config_static_selectorELNS0_4arch9wavefront6targetE0EEEvS10_.uses_flat_scratch, 0
	.set _ZN7rocprim17ROCPRIM_400000_NS6detail17trampoline_kernelINS0_14default_configENS1_21merge_config_selectorINS0_5tupleIJiiEEENS0_10empty_typeEEEZNS1_10merge_implIS3_NS0_12zip_iteratorINS5_IJN6thrust23THRUST_200600_302600_NS6detail15normal_iteratorINSC_10device_ptrIKiEEEESI_EEEEESK_NSA_INS5_IJNSE_INSF_IiEEEESM_EEEEEPS7_SP_SP_NSC_11hip_rocprim7__merge17predicate_wrapperIiiNSC_4lessIiEEEEEE10hipError_tPvRmT0_T1_T2_T3_T4_T5_mmT6_P12ihipStream_tbEUlT_E_NS1_11comp_targetILNS1_3genE5ELNS1_11target_archE942ELNS1_3gpuE9ELNS1_3repE0EEENS1_30default_config_static_selectorELNS0_4arch9wavefront6targetE0EEEvS10_.has_dyn_sized_stack, 0
	.set _ZN7rocprim17ROCPRIM_400000_NS6detail17trampoline_kernelINS0_14default_configENS1_21merge_config_selectorINS0_5tupleIJiiEEENS0_10empty_typeEEEZNS1_10merge_implIS3_NS0_12zip_iteratorINS5_IJN6thrust23THRUST_200600_302600_NS6detail15normal_iteratorINSC_10device_ptrIKiEEEESI_EEEEESK_NSA_INS5_IJNSE_INSF_IiEEEESM_EEEEEPS7_SP_SP_NSC_11hip_rocprim7__merge17predicate_wrapperIiiNSC_4lessIiEEEEEE10hipError_tPvRmT0_T1_T2_T3_T4_T5_mmT6_P12ihipStream_tbEUlT_E_NS1_11comp_targetILNS1_3genE5ELNS1_11target_archE942ELNS1_3gpuE9ELNS1_3repE0EEENS1_30default_config_static_selectorELNS0_4arch9wavefront6targetE0EEEvS10_.has_recursion, 0
	.set _ZN7rocprim17ROCPRIM_400000_NS6detail17trampoline_kernelINS0_14default_configENS1_21merge_config_selectorINS0_5tupleIJiiEEENS0_10empty_typeEEEZNS1_10merge_implIS3_NS0_12zip_iteratorINS5_IJN6thrust23THRUST_200600_302600_NS6detail15normal_iteratorINSC_10device_ptrIKiEEEESI_EEEEESK_NSA_INS5_IJNSE_INSF_IiEEEESM_EEEEEPS7_SP_SP_NSC_11hip_rocprim7__merge17predicate_wrapperIiiNSC_4lessIiEEEEEE10hipError_tPvRmT0_T1_T2_T3_T4_T5_mmT6_P12ihipStream_tbEUlT_E_NS1_11comp_targetILNS1_3genE5ELNS1_11target_archE942ELNS1_3gpuE9ELNS1_3repE0EEENS1_30default_config_static_selectorELNS0_4arch9wavefront6targetE0EEEvS10_.has_indirect_call, 0
	.section	.AMDGPU.csdata,"",@progbits
; Kernel info:
; codeLenInByte = 0
; TotalNumSgprs: 0
; NumVgprs: 0
; ScratchSize: 0
; MemoryBound: 0
; FloatMode: 240
; IeeeMode: 1
; LDSByteSize: 0 bytes/workgroup (compile time only)
; SGPRBlocks: 0
; VGPRBlocks: 0
; NumSGPRsForWavesPerEU: 1
; NumVGPRsForWavesPerEU: 1
; Occupancy: 16
; WaveLimiterHint : 0
; COMPUTE_PGM_RSRC2:SCRATCH_EN: 0
; COMPUTE_PGM_RSRC2:USER_SGPR: 6
; COMPUTE_PGM_RSRC2:TRAP_HANDLER: 0
; COMPUTE_PGM_RSRC2:TGID_X_EN: 1
; COMPUTE_PGM_RSRC2:TGID_Y_EN: 0
; COMPUTE_PGM_RSRC2:TGID_Z_EN: 0
; COMPUTE_PGM_RSRC2:TIDIG_COMP_CNT: 0
	.section	.text._ZN7rocprim17ROCPRIM_400000_NS6detail17trampoline_kernelINS0_14default_configENS1_21merge_config_selectorINS0_5tupleIJiiEEENS0_10empty_typeEEEZNS1_10merge_implIS3_NS0_12zip_iteratorINS5_IJN6thrust23THRUST_200600_302600_NS6detail15normal_iteratorINSC_10device_ptrIKiEEEESI_EEEEESK_NSA_INS5_IJNSE_INSF_IiEEEESM_EEEEEPS7_SP_SP_NSC_11hip_rocprim7__merge17predicate_wrapperIiiNSC_4lessIiEEEEEE10hipError_tPvRmT0_T1_T2_T3_T4_T5_mmT6_P12ihipStream_tbEUlT_E_NS1_11comp_targetILNS1_3genE4ELNS1_11target_archE910ELNS1_3gpuE8ELNS1_3repE0EEENS1_30default_config_static_selectorELNS0_4arch9wavefront6targetE0EEEvS10_,"axG",@progbits,_ZN7rocprim17ROCPRIM_400000_NS6detail17trampoline_kernelINS0_14default_configENS1_21merge_config_selectorINS0_5tupleIJiiEEENS0_10empty_typeEEEZNS1_10merge_implIS3_NS0_12zip_iteratorINS5_IJN6thrust23THRUST_200600_302600_NS6detail15normal_iteratorINSC_10device_ptrIKiEEEESI_EEEEESK_NSA_INS5_IJNSE_INSF_IiEEEESM_EEEEEPS7_SP_SP_NSC_11hip_rocprim7__merge17predicate_wrapperIiiNSC_4lessIiEEEEEE10hipError_tPvRmT0_T1_T2_T3_T4_T5_mmT6_P12ihipStream_tbEUlT_E_NS1_11comp_targetILNS1_3genE4ELNS1_11target_archE910ELNS1_3gpuE8ELNS1_3repE0EEENS1_30default_config_static_selectorELNS0_4arch9wavefront6targetE0EEEvS10_,comdat
	.protected	_ZN7rocprim17ROCPRIM_400000_NS6detail17trampoline_kernelINS0_14default_configENS1_21merge_config_selectorINS0_5tupleIJiiEEENS0_10empty_typeEEEZNS1_10merge_implIS3_NS0_12zip_iteratorINS5_IJN6thrust23THRUST_200600_302600_NS6detail15normal_iteratorINSC_10device_ptrIKiEEEESI_EEEEESK_NSA_INS5_IJNSE_INSF_IiEEEESM_EEEEEPS7_SP_SP_NSC_11hip_rocprim7__merge17predicate_wrapperIiiNSC_4lessIiEEEEEE10hipError_tPvRmT0_T1_T2_T3_T4_T5_mmT6_P12ihipStream_tbEUlT_E_NS1_11comp_targetILNS1_3genE4ELNS1_11target_archE910ELNS1_3gpuE8ELNS1_3repE0EEENS1_30default_config_static_selectorELNS0_4arch9wavefront6targetE0EEEvS10_ ; -- Begin function _ZN7rocprim17ROCPRIM_400000_NS6detail17trampoline_kernelINS0_14default_configENS1_21merge_config_selectorINS0_5tupleIJiiEEENS0_10empty_typeEEEZNS1_10merge_implIS3_NS0_12zip_iteratorINS5_IJN6thrust23THRUST_200600_302600_NS6detail15normal_iteratorINSC_10device_ptrIKiEEEESI_EEEEESK_NSA_INS5_IJNSE_INSF_IiEEEESM_EEEEEPS7_SP_SP_NSC_11hip_rocprim7__merge17predicate_wrapperIiiNSC_4lessIiEEEEEE10hipError_tPvRmT0_T1_T2_T3_T4_T5_mmT6_P12ihipStream_tbEUlT_E_NS1_11comp_targetILNS1_3genE4ELNS1_11target_archE910ELNS1_3gpuE8ELNS1_3repE0EEENS1_30default_config_static_selectorELNS0_4arch9wavefront6targetE0EEEvS10_
	.globl	_ZN7rocprim17ROCPRIM_400000_NS6detail17trampoline_kernelINS0_14default_configENS1_21merge_config_selectorINS0_5tupleIJiiEEENS0_10empty_typeEEEZNS1_10merge_implIS3_NS0_12zip_iteratorINS5_IJN6thrust23THRUST_200600_302600_NS6detail15normal_iteratorINSC_10device_ptrIKiEEEESI_EEEEESK_NSA_INS5_IJNSE_INSF_IiEEEESM_EEEEEPS7_SP_SP_NSC_11hip_rocprim7__merge17predicate_wrapperIiiNSC_4lessIiEEEEEE10hipError_tPvRmT0_T1_T2_T3_T4_T5_mmT6_P12ihipStream_tbEUlT_E_NS1_11comp_targetILNS1_3genE4ELNS1_11target_archE910ELNS1_3gpuE8ELNS1_3repE0EEENS1_30default_config_static_selectorELNS0_4arch9wavefront6targetE0EEEvS10_
	.p2align	8
	.type	_ZN7rocprim17ROCPRIM_400000_NS6detail17trampoline_kernelINS0_14default_configENS1_21merge_config_selectorINS0_5tupleIJiiEEENS0_10empty_typeEEEZNS1_10merge_implIS3_NS0_12zip_iteratorINS5_IJN6thrust23THRUST_200600_302600_NS6detail15normal_iteratorINSC_10device_ptrIKiEEEESI_EEEEESK_NSA_INS5_IJNSE_INSF_IiEEEESM_EEEEEPS7_SP_SP_NSC_11hip_rocprim7__merge17predicate_wrapperIiiNSC_4lessIiEEEEEE10hipError_tPvRmT0_T1_T2_T3_T4_T5_mmT6_P12ihipStream_tbEUlT_E_NS1_11comp_targetILNS1_3genE4ELNS1_11target_archE910ELNS1_3gpuE8ELNS1_3repE0EEENS1_30default_config_static_selectorELNS0_4arch9wavefront6targetE0EEEvS10_,@function
_ZN7rocprim17ROCPRIM_400000_NS6detail17trampoline_kernelINS0_14default_configENS1_21merge_config_selectorINS0_5tupleIJiiEEENS0_10empty_typeEEEZNS1_10merge_implIS3_NS0_12zip_iteratorINS5_IJN6thrust23THRUST_200600_302600_NS6detail15normal_iteratorINSC_10device_ptrIKiEEEESI_EEEEESK_NSA_INS5_IJNSE_INSF_IiEEEESM_EEEEEPS7_SP_SP_NSC_11hip_rocprim7__merge17predicate_wrapperIiiNSC_4lessIiEEEEEE10hipError_tPvRmT0_T1_T2_T3_T4_T5_mmT6_P12ihipStream_tbEUlT_E_NS1_11comp_targetILNS1_3genE4ELNS1_11target_archE910ELNS1_3gpuE8ELNS1_3repE0EEENS1_30default_config_static_selectorELNS0_4arch9wavefront6targetE0EEEvS10_: ; @_ZN7rocprim17ROCPRIM_400000_NS6detail17trampoline_kernelINS0_14default_configENS1_21merge_config_selectorINS0_5tupleIJiiEEENS0_10empty_typeEEEZNS1_10merge_implIS3_NS0_12zip_iteratorINS5_IJN6thrust23THRUST_200600_302600_NS6detail15normal_iteratorINSC_10device_ptrIKiEEEESI_EEEEESK_NSA_INS5_IJNSE_INSF_IiEEEESM_EEEEEPS7_SP_SP_NSC_11hip_rocprim7__merge17predicate_wrapperIiiNSC_4lessIiEEEEEE10hipError_tPvRmT0_T1_T2_T3_T4_T5_mmT6_P12ihipStream_tbEUlT_E_NS1_11comp_targetILNS1_3genE4ELNS1_11target_archE910ELNS1_3gpuE8ELNS1_3repE0EEENS1_30default_config_static_selectorELNS0_4arch9wavefront6targetE0EEEvS10_
; %bb.0:
	.section	.rodata,"a",@progbits
	.p2align	6, 0x0
	.amdhsa_kernel _ZN7rocprim17ROCPRIM_400000_NS6detail17trampoline_kernelINS0_14default_configENS1_21merge_config_selectorINS0_5tupleIJiiEEENS0_10empty_typeEEEZNS1_10merge_implIS3_NS0_12zip_iteratorINS5_IJN6thrust23THRUST_200600_302600_NS6detail15normal_iteratorINSC_10device_ptrIKiEEEESI_EEEEESK_NSA_INS5_IJNSE_INSF_IiEEEESM_EEEEEPS7_SP_SP_NSC_11hip_rocprim7__merge17predicate_wrapperIiiNSC_4lessIiEEEEEE10hipError_tPvRmT0_T1_T2_T3_T4_T5_mmT6_P12ihipStream_tbEUlT_E_NS1_11comp_targetILNS1_3genE4ELNS1_11target_archE910ELNS1_3gpuE8ELNS1_3repE0EEENS1_30default_config_static_selectorELNS0_4arch9wavefront6targetE0EEEvS10_
		.amdhsa_group_segment_fixed_size 0
		.amdhsa_private_segment_fixed_size 0
		.amdhsa_kernarg_size 64
		.amdhsa_user_sgpr_count 6
		.amdhsa_user_sgpr_private_segment_buffer 1
		.amdhsa_user_sgpr_dispatch_ptr 0
		.amdhsa_user_sgpr_queue_ptr 0
		.amdhsa_user_sgpr_kernarg_segment_ptr 1
		.amdhsa_user_sgpr_dispatch_id 0
		.amdhsa_user_sgpr_flat_scratch_init 0
		.amdhsa_user_sgpr_private_segment_size 0
		.amdhsa_wavefront_size32 1
		.amdhsa_uses_dynamic_stack 0
		.amdhsa_system_sgpr_private_segment_wavefront_offset 0
		.amdhsa_system_sgpr_workgroup_id_x 1
		.amdhsa_system_sgpr_workgroup_id_y 0
		.amdhsa_system_sgpr_workgroup_id_z 0
		.amdhsa_system_sgpr_workgroup_info 0
		.amdhsa_system_vgpr_workitem_id 0
		.amdhsa_next_free_vgpr 1
		.amdhsa_next_free_sgpr 1
		.amdhsa_reserve_vcc 0
		.amdhsa_reserve_flat_scratch 0
		.amdhsa_float_round_mode_32 0
		.amdhsa_float_round_mode_16_64 0
		.amdhsa_float_denorm_mode_32 3
		.amdhsa_float_denorm_mode_16_64 3
		.amdhsa_dx10_clamp 1
		.amdhsa_ieee_mode 1
		.amdhsa_fp16_overflow 0
		.amdhsa_workgroup_processor_mode 1
		.amdhsa_memory_ordered 1
		.amdhsa_forward_progress 1
		.amdhsa_shared_vgpr_count 0
		.amdhsa_exception_fp_ieee_invalid_op 0
		.amdhsa_exception_fp_denorm_src 0
		.amdhsa_exception_fp_ieee_div_zero 0
		.amdhsa_exception_fp_ieee_overflow 0
		.amdhsa_exception_fp_ieee_underflow 0
		.amdhsa_exception_fp_ieee_inexact 0
		.amdhsa_exception_int_div_zero 0
	.end_amdhsa_kernel
	.section	.text._ZN7rocprim17ROCPRIM_400000_NS6detail17trampoline_kernelINS0_14default_configENS1_21merge_config_selectorINS0_5tupleIJiiEEENS0_10empty_typeEEEZNS1_10merge_implIS3_NS0_12zip_iteratorINS5_IJN6thrust23THRUST_200600_302600_NS6detail15normal_iteratorINSC_10device_ptrIKiEEEESI_EEEEESK_NSA_INS5_IJNSE_INSF_IiEEEESM_EEEEEPS7_SP_SP_NSC_11hip_rocprim7__merge17predicate_wrapperIiiNSC_4lessIiEEEEEE10hipError_tPvRmT0_T1_T2_T3_T4_T5_mmT6_P12ihipStream_tbEUlT_E_NS1_11comp_targetILNS1_3genE4ELNS1_11target_archE910ELNS1_3gpuE8ELNS1_3repE0EEENS1_30default_config_static_selectorELNS0_4arch9wavefront6targetE0EEEvS10_,"axG",@progbits,_ZN7rocprim17ROCPRIM_400000_NS6detail17trampoline_kernelINS0_14default_configENS1_21merge_config_selectorINS0_5tupleIJiiEEENS0_10empty_typeEEEZNS1_10merge_implIS3_NS0_12zip_iteratorINS5_IJN6thrust23THRUST_200600_302600_NS6detail15normal_iteratorINSC_10device_ptrIKiEEEESI_EEEEESK_NSA_INS5_IJNSE_INSF_IiEEEESM_EEEEEPS7_SP_SP_NSC_11hip_rocprim7__merge17predicate_wrapperIiiNSC_4lessIiEEEEEE10hipError_tPvRmT0_T1_T2_T3_T4_T5_mmT6_P12ihipStream_tbEUlT_E_NS1_11comp_targetILNS1_3genE4ELNS1_11target_archE910ELNS1_3gpuE8ELNS1_3repE0EEENS1_30default_config_static_selectorELNS0_4arch9wavefront6targetE0EEEvS10_,comdat
.Lfunc_end245:
	.size	_ZN7rocprim17ROCPRIM_400000_NS6detail17trampoline_kernelINS0_14default_configENS1_21merge_config_selectorINS0_5tupleIJiiEEENS0_10empty_typeEEEZNS1_10merge_implIS3_NS0_12zip_iteratorINS5_IJN6thrust23THRUST_200600_302600_NS6detail15normal_iteratorINSC_10device_ptrIKiEEEESI_EEEEESK_NSA_INS5_IJNSE_INSF_IiEEEESM_EEEEEPS7_SP_SP_NSC_11hip_rocprim7__merge17predicate_wrapperIiiNSC_4lessIiEEEEEE10hipError_tPvRmT0_T1_T2_T3_T4_T5_mmT6_P12ihipStream_tbEUlT_E_NS1_11comp_targetILNS1_3genE4ELNS1_11target_archE910ELNS1_3gpuE8ELNS1_3repE0EEENS1_30default_config_static_selectorELNS0_4arch9wavefront6targetE0EEEvS10_, .Lfunc_end245-_ZN7rocprim17ROCPRIM_400000_NS6detail17trampoline_kernelINS0_14default_configENS1_21merge_config_selectorINS0_5tupleIJiiEEENS0_10empty_typeEEEZNS1_10merge_implIS3_NS0_12zip_iteratorINS5_IJN6thrust23THRUST_200600_302600_NS6detail15normal_iteratorINSC_10device_ptrIKiEEEESI_EEEEESK_NSA_INS5_IJNSE_INSF_IiEEEESM_EEEEEPS7_SP_SP_NSC_11hip_rocprim7__merge17predicate_wrapperIiiNSC_4lessIiEEEEEE10hipError_tPvRmT0_T1_T2_T3_T4_T5_mmT6_P12ihipStream_tbEUlT_E_NS1_11comp_targetILNS1_3genE4ELNS1_11target_archE910ELNS1_3gpuE8ELNS1_3repE0EEENS1_30default_config_static_selectorELNS0_4arch9wavefront6targetE0EEEvS10_
                                        ; -- End function
	.set _ZN7rocprim17ROCPRIM_400000_NS6detail17trampoline_kernelINS0_14default_configENS1_21merge_config_selectorINS0_5tupleIJiiEEENS0_10empty_typeEEEZNS1_10merge_implIS3_NS0_12zip_iteratorINS5_IJN6thrust23THRUST_200600_302600_NS6detail15normal_iteratorINSC_10device_ptrIKiEEEESI_EEEEESK_NSA_INS5_IJNSE_INSF_IiEEEESM_EEEEEPS7_SP_SP_NSC_11hip_rocprim7__merge17predicate_wrapperIiiNSC_4lessIiEEEEEE10hipError_tPvRmT0_T1_T2_T3_T4_T5_mmT6_P12ihipStream_tbEUlT_E_NS1_11comp_targetILNS1_3genE4ELNS1_11target_archE910ELNS1_3gpuE8ELNS1_3repE0EEENS1_30default_config_static_selectorELNS0_4arch9wavefront6targetE0EEEvS10_.num_vgpr, 0
	.set _ZN7rocprim17ROCPRIM_400000_NS6detail17trampoline_kernelINS0_14default_configENS1_21merge_config_selectorINS0_5tupleIJiiEEENS0_10empty_typeEEEZNS1_10merge_implIS3_NS0_12zip_iteratorINS5_IJN6thrust23THRUST_200600_302600_NS6detail15normal_iteratorINSC_10device_ptrIKiEEEESI_EEEEESK_NSA_INS5_IJNSE_INSF_IiEEEESM_EEEEEPS7_SP_SP_NSC_11hip_rocprim7__merge17predicate_wrapperIiiNSC_4lessIiEEEEEE10hipError_tPvRmT0_T1_T2_T3_T4_T5_mmT6_P12ihipStream_tbEUlT_E_NS1_11comp_targetILNS1_3genE4ELNS1_11target_archE910ELNS1_3gpuE8ELNS1_3repE0EEENS1_30default_config_static_selectorELNS0_4arch9wavefront6targetE0EEEvS10_.num_agpr, 0
	.set _ZN7rocprim17ROCPRIM_400000_NS6detail17trampoline_kernelINS0_14default_configENS1_21merge_config_selectorINS0_5tupleIJiiEEENS0_10empty_typeEEEZNS1_10merge_implIS3_NS0_12zip_iteratorINS5_IJN6thrust23THRUST_200600_302600_NS6detail15normal_iteratorINSC_10device_ptrIKiEEEESI_EEEEESK_NSA_INS5_IJNSE_INSF_IiEEEESM_EEEEEPS7_SP_SP_NSC_11hip_rocprim7__merge17predicate_wrapperIiiNSC_4lessIiEEEEEE10hipError_tPvRmT0_T1_T2_T3_T4_T5_mmT6_P12ihipStream_tbEUlT_E_NS1_11comp_targetILNS1_3genE4ELNS1_11target_archE910ELNS1_3gpuE8ELNS1_3repE0EEENS1_30default_config_static_selectorELNS0_4arch9wavefront6targetE0EEEvS10_.numbered_sgpr, 0
	.set _ZN7rocprim17ROCPRIM_400000_NS6detail17trampoline_kernelINS0_14default_configENS1_21merge_config_selectorINS0_5tupleIJiiEEENS0_10empty_typeEEEZNS1_10merge_implIS3_NS0_12zip_iteratorINS5_IJN6thrust23THRUST_200600_302600_NS6detail15normal_iteratorINSC_10device_ptrIKiEEEESI_EEEEESK_NSA_INS5_IJNSE_INSF_IiEEEESM_EEEEEPS7_SP_SP_NSC_11hip_rocprim7__merge17predicate_wrapperIiiNSC_4lessIiEEEEEE10hipError_tPvRmT0_T1_T2_T3_T4_T5_mmT6_P12ihipStream_tbEUlT_E_NS1_11comp_targetILNS1_3genE4ELNS1_11target_archE910ELNS1_3gpuE8ELNS1_3repE0EEENS1_30default_config_static_selectorELNS0_4arch9wavefront6targetE0EEEvS10_.num_named_barrier, 0
	.set _ZN7rocprim17ROCPRIM_400000_NS6detail17trampoline_kernelINS0_14default_configENS1_21merge_config_selectorINS0_5tupleIJiiEEENS0_10empty_typeEEEZNS1_10merge_implIS3_NS0_12zip_iteratorINS5_IJN6thrust23THRUST_200600_302600_NS6detail15normal_iteratorINSC_10device_ptrIKiEEEESI_EEEEESK_NSA_INS5_IJNSE_INSF_IiEEEESM_EEEEEPS7_SP_SP_NSC_11hip_rocprim7__merge17predicate_wrapperIiiNSC_4lessIiEEEEEE10hipError_tPvRmT0_T1_T2_T3_T4_T5_mmT6_P12ihipStream_tbEUlT_E_NS1_11comp_targetILNS1_3genE4ELNS1_11target_archE910ELNS1_3gpuE8ELNS1_3repE0EEENS1_30default_config_static_selectorELNS0_4arch9wavefront6targetE0EEEvS10_.private_seg_size, 0
	.set _ZN7rocprim17ROCPRIM_400000_NS6detail17trampoline_kernelINS0_14default_configENS1_21merge_config_selectorINS0_5tupleIJiiEEENS0_10empty_typeEEEZNS1_10merge_implIS3_NS0_12zip_iteratorINS5_IJN6thrust23THRUST_200600_302600_NS6detail15normal_iteratorINSC_10device_ptrIKiEEEESI_EEEEESK_NSA_INS5_IJNSE_INSF_IiEEEESM_EEEEEPS7_SP_SP_NSC_11hip_rocprim7__merge17predicate_wrapperIiiNSC_4lessIiEEEEEE10hipError_tPvRmT0_T1_T2_T3_T4_T5_mmT6_P12ihipStream_tbEUlT_E_NS1_11comp_targetILNS1_3genE4ELNS1_11target_archE910ELNS1_3gpuE8ELNS1_3repE0EEENS1_30default_config_static_selectorELNS0_4arch9wavefront6targetE0EEEvS10_.uses_vcc, 0
	.set _ZN7rocprim17ROCPRIM_400000_NS6detail17trampoline_kernelINS0_14default_configENS1_21merge_config_selectorINS0_5tupleIJiiEEENS0_10empty_typeEEEZNS1_10merge_implIS3_NS0_12zip_iteratorINS5_IJN6thrust23THRUST_200600_302600_NS6detail15normal_iteratorINSC_10device_ptrIKiEEEESI_EEEEESK_NSA_INS5_IJNSE_INSF_IiEEEESM_EEEEEPS7_SP_SP_NSC_11hip_rocprim7__merge17predicate_wrapperIiiNSC_4lessIiEEEEEE10hipError_tPvRmT0_T1_T2_T3_T4_T5_mmT6_P12ihipStream_tbEUlT_E_NS1_11comp_targetILNS1_3genE4ELNS1_11target_archE910ELNS1_3gpuE8ELNS1_3repE0EEENS1_30default_config_static_selectorELNS0_4arch9wavefront6targetE0EEEvS10_.uses_flat_scratch, 0
	.set _ZN7rocprim17ROCPRIM_400000_NS6detail17trampoline_kernelINS0_14default_configENS1_21merge_config_selectorINS0_5tupleIJiiEEENS0_10empty_typeEEEZNS1_10merge_implIS3_NS0_12zip_iteratorINS5_IJN6thrust23THRUST_200600_302600_NS6detail15normal_iteratorINSC_10device_ptrIKiEEEESI_EEEEESK_NSA_INS5_IJNSE_INSF_IiEEEESM_EEEEEPS7_SP_SP_NSC_11hip_rocprim7__merge17predicate_wrapperIiiNSC_4lessIiEEEEEE10hipError_tPvRmT0_T1_T2_T3_T4_T5_mmT6_P12ihipStream_tbEUlT_E_NS1_11comp_targetILNS1_3genE4ELNS1_11target_archE910ELNS1_3gpuE8ELNS1_3repE0EEENS1_30default_config_static_selectorELNS0_4arch9wavefront6targetE0EEEvS10_.has_dyn_sized_stack, 0
	.set _ZN7rocprim17ROCPRIM_400000_NS6detail17trampoline_kernelINS0_14default_configENS1_21merge_config_selectorINS0_5tupleIJiiEEENS0_10empty_typeEEEZNS1_10merge_implIS3_NS0_12zip_iteratorINS5_IJN6thrust23THRUST_200600_302600_NS6detail15normal_iteratorINSC_10device_ptrIKiEEEESI_EEEEESK_NSA_INS5_IJNSE_INSF_IiEEEESM_EEEEEPS7_SP_SP_NSC_11hip_rocprim7__merge17predicate_wrapperIiiNSC_4lessIiEEEEEE10hipError_tPvRmT0_T1_T2_T3_T4_T5_mmT6_P12ihipStream_tbEUlT_E_NS1_11comp_targetILNS1_3genE4ELNS1_11target_archE910ELNS1_3gpuE8ELNS1_3repE0EEENS1_30default_config_static_selectorELNS0_4arch9wavefront6targetE0EEEvS10_.has_recursion, 0
	.set _ZN7rocprim17ROCPRIM_400000_NS6detail17trampoline_kernelINS0_14default_configENS1_21merge_config_selectorINS0_5tupleIJiiEEENS0_10empty_typeEEEZNS1_10merge_implIS3_NS0_12zip_iteratorINS5_IJN6thrust23THRUST_200600_302600_NS6detail15normal_iteratorINSC_10device_ptrIKiEEEESI_EEEEESK_NSA_INS5_IJNSE_INSF_IiEEEESM_EEEEEPS7_SP_SP_NSC_11hip_rocprim7__merge17predicate_wrapperIiiNSC_4lessIiEEEEEE10hipError_tPvRmT0_T1_T2_T3_T4_T5_mmT6_P12ihipStream_tbEUlT_E_NS1_11comp_targetILNS1_3genE4ELNS1_11target_archE910ELNS1_3gpuE8ELNS1_3repE0EEENS1_30default_config_static_selectorELNS0_4arch9wavefront6targetE0EEEvS10_.has_indirect_call, 0
	.section	.AMDGPU.csdata,"",@progbits
; Kernel info:
; codeLenInByte = 0
; TotalNumSgprs: 0
; NumVgprs: 0
; ScratchSize: 0
; MemoryBound: 0
; FloatMode: 240
; IeeeMode: 1
; LDSByteSize: 0 bytes/workgroup (compile time only)
; SGPRBlocks: 0
; VGPRBlocks: 0
; NumSGPRsForWavesPerEU: 1
; NumVGPRsForWavesPerEU: 1
; Occupancy: 16
; WaveLimiterHint : 0
; COMPUTE_PGM_RSRC2:SCRATCH_EN: 0
; COMPUTE_PGM_RSRC2:USER_SGPR: 6
; COMPUTE_PGM_RSRC2:TRAP_HANDLER: 0
; COMPUTE_PGM_RSRC2:TGID_X_EN: 1
; COMPUTE_PGM_RSRC2:TGID_Y_EN: 0
; COMPUTE_PGM_RSRC2:TGID_Z_EN: 0
; COMPUTE_PGM_RSRC2:TIDIG_COMP_CNT: 0
	.section	.text._ZN7rocprim17ROCPRIM_400000_NS6detail17trampoline_kernelINS0_14default_configENS1_21merge_config_selectorINS0_5tupleIJiiEEENS0_10empty_typeEEEZNS1_10merge_implIS3_NS0_12zip_iteratorINS5_IJN6thrust23THRUST_200600_302600_NS6detail15normal_iteratorINSC_10device_ptrIKiEEEESI_EEEEESK_NSA_INS5_IJNSE_INSF_IiEEEESM_EEEEEPS7_SP_SP_NSC_11hip_rocprim7__merge17predicate_wrapperIiiNSC_4lessIiEEEEEE10hipError_tPvRmT0_T1_T2_T3_T4_T5_mmT6_P12ihipStream_tbEUlT_E_NS1_11comp_targetILNS1_3genE3ELNS1_11target_archE908ELNS1_3gpuE7ELNS1_3repE0EEENS1_30default_config_static_selectorELNS0_4arch9wavefront6targetE0EEEvS10_,"axG",@progbits,_ZN7rocprim17ROCPRIM_400000_NS6detail17trampoline_kernelINS0_14default_configENS1_21merge_config_selectorINS0_5tupleIJiiEEENS0_10empty_typeEEEZNS1_10merge_implIS3_NS0_12zip_iteratorINS5_IJN6thrust23THRUST_200600_302600_NS6detail15normal_iteratorINSC_10device_ptrIKiEEEESI_EEEEESK_NSA_INS5_IJNSE_INSF_IiEEEESM_EEEEEPS7_SP_SP_NSC_11hip_rocprim7__merge17predicate_wrapperIiiNSC_4lessIiEEEEEE10hipError_tPvRmT0_T1_T2_T3_T4_T5_mmT6_P12ihipStream_tbEUlT_E_NS1_11comp_targetILNS1_3genE3ELNS1_11target_archE908ELNS1_3gpuE7ELNS1_3repE0EEENS1_30default_config_static_selectorELNS0_4arch9wavefront6targetE0EEEvS10_,comdat
	.protected	_ZN7rocprim17ROCPRIM_400000_NS6detail17trampoline_kernelINS0_14default_configENS1_21merge_config_selectorINS0_5tupleIJiiEEENS0_10empty_typeEEEZNS1_10merge_implIS3_NS0_12zip_iteratorINS5_IJN6thrust23THRUST_200600_302600_NS6detail15normal_iteratorINSC_10device_ptrIKiEEEESI_EEEEESK_NSA_INS5_IJNSE_INSF_IiEEEESM_EEEEEPS7_SP_SP_NSC_11hip_rocprim7__merge17predicate_wrapperIiiNSC_4lessIiEEEEEE10hipError_tPvRmT0_T1_T2_T3_T4_T5_mmT6_P12ihipStream_tbEUlT_E_NS1_11comp_targetILNS1_3genE3ELNS1_11target_archE908ELNS1_3gpuE7ELNS1_3repE0EEENS1_30default_config_static_selectorELNS0_4arch9wavefront6targetE0EEEvS10_ ; -- Begin function _ZN7rocprim17ROCPRIM_400000_NS6detail17trampoline_kernelINS0_14default_configENS1_21merge_config_selectorINS0_5tupleIJiiEEENS0_10empty_typeEEEZNS1_10merge_implIS3_NS0_12zip_iteratorINS5_IJN6thrust23THRUST_200600_302600_NS6detail15normal_iteratorINSC_10device_ptrIKiEEEESI_EEEEESK_NSA_INS5_IJNSE_INSF_IiEEEESM_EEEEEPS7_SP_SP_NSC_11hip_rocprim7__merge17predicate_wrapperIiiNSC_4lessIiEEEEEE10hipError_tPvRmT0_T1_T2_T3_T4_T5_mmT6_P12ihipStream_tbEUlT_E_NS1_11comp_targetILNS1_3genE3ELNS1_11target_archE908ELNS1_3gpuE7ELNS1_3repE0EEENS1_30default_config_static_selectorELNS0_4arch9wavefront6targetE0EEEvS10_
	.globl	_ZN7rocprim17ROCPRIM_400000_NS6detail17trampoline_kernelINS0_14default_configENS1_21merge_config_selectorINS0_5tupleIJiiEEENS0_10empty_typeEEEZNS1_10merge_implIS3_NS0_12zip_iteratorINS5_IJN6thrust23THRUST_200600_302600_NS6detail15normal_iteratorINSC_10device_ptrIKiEEEESI_EEEEESK_NSA_INS5_IJNSE_INSF_IiEEEESM_EEEEEPS7_SP_SP_NSC_11hip_rocprim7__merge17predicate_wrapperIiiNSC_4lessIiEEEEEE10hipError_tPvRmT0_T1_T2_T3_T4_T5_mmT6_P12ihipStream_tbEUlT_E_NS1_11comp_targetILNS1_3genE3ELNS1_11target_archE908ELNS1_3gpuE7ELNS1_3repE0EEENS1_30default_config_static_selectorELNS0_4arch9wavefront6targetE0EEEvS10_
	.p2align	8
	.type	_ZN7rocprim17ROCPRIM_400000_NS6detail17trampoline_kernelINS0_14default_configENS1_21merge_config_selectorINS0_5tupleIJiiEEENS0_10empty_typeEEEZNS1_10merge_implIS3_NS0_12zip_iteratorINS5_IJN6thrust23THRUST_200600_302600_NS6detail15normal_iteratorINSC_10device_ptrIKiEEEESI_EEEEESK_NSA_INS5_IJNSE_INSF_IiEEEESM_EEEEEPS7_SP_SP_NSC_11hip_rocprim7__merge17predicate_wrapperIiiNSC_4lessIiEEEEEE10hipError_tPvRmT0_T1_T2_T3_T4_T5_mmT6_P12ihipStream_tbEUlT_E_NS1_11comp_targetILNS1_3genE3ELNS1_11target_archE908ELNS1_3gpuE7ELNS1_3repE0EEENS1_30default_config_static_selectorELNS0_4arch9wavefront6targetE0EEEvS10_,@function
_ZN7rocprim17ROCPRIM_400000_NS6detail17trampoline_kernelINS0_14default_configENS1_21merge_config_selectorINS0_5tupleIJiiEEENS0_10empty_typeEEEZNS1_10merge_implIS3_NS0_12zip_iteratorINS5_IJN6thrust23THRUST_200600_302600_NS6detail15normal_iteratorINSC_10device_ptrIKiEEEESI_EEEEESK_NSA_INS5_IJNSE_INSF_IiEEEESM_EEEEEPS7_SP_SP_NSC_11hip_rocprim7__merge17predicate_wrapperIiiNSC_4lessIiEEEEEE10hipError_tPvRmT0_T1_T2_T3_T4_T5_mmT6_P12ihipStream_tbEUlT_E_NS1_11comp_targetILNS1_3genE3ELNS1_11target_archE908ELNS1_3gpuE7ELNS1_3repE0EEENS1_30default_config_static_selectorELNS0_4arch9wavefront6targetE0EEEvS10_: ; @_ZN7rocprim17ROCPRIM_400000_NS6detail17trampoline_kernelINS0_14default_configENS1_21merge_config_selectorINS0_5tupleIJiiEEENS0_10empty_typeEEEZNS1_10merge_implIS3_NS0_12zip_iteratorINS5_IJN6thrust23THRUST_200600_302600_NS6detail15normal_iteratorINSC_10device_ptrIKiEEEESI_EEEEESK_NSA_INS5_IJNSE_INSF_IiEEEESM_EEEEEPS7_SP_SP_NSC_11hip_rocprim7__merge17predicate_wrapperIiiNSC_4lessIiEEEEEE10hipError_tPvRmT0_T1_T2_T3_T4_T5_mmT6_P12ihipStream_tbEUlT_E_NS1_11comp_targetILNS1_3genE3ELNS1_11target_archE908ELNS1_3gpuE7ELNS1_3repE0EEENS1_30default_config_static_selectorELNS0_4arch9wavefront6targetE0EEEvS10_
; %bb.0:
	.section	.rodata,"a",@progbits
	.p2align	6, 0x0
	.amdhsa_kernel _ZN7rocprim17ROCPRIM_400000_NS6detail17trampoline_kernelINS0_14default_configENS1_21merge_config_selectorINS0_5tupleIJiiEEENS0_10empty_typeEEEZNS1_10merge_implIS3_NS0_12zip_iteratorINS5_IJN6thrust23THRUST_200600_302600_NS6detail15normal_iteratorINSC_10device_ptrIKiEEEESI_EEEEESK_NSA_INS5_IJNSE_INSF_IiEEEESM_EEEEEPS7_SP_SP_NSC_11hip_rocprim7__merge17predicate_wrapperIiiNSC_4lessIiEEEEEE10hipError_tPvRmT0_T1_T2_T3_T4_T5_mmT6_P12ihipStream_tbEUlT_E_NS1_11comp_targetILNS1_3genE3ELNS1_11target_archE908ELNS1_3gpuE7ELNS1_3repE0EEENS1_30default_config_static_selectorELNS0_4arch9wavefront6targetE0EEEvS10_
		.amdhsa_group_segment_fixed_size 0
		.amdhsa_private_segment_fixed_size 0
		.amdhsa_kernarg_size 64
		.amdhsa_user_sgpr_count 6
		.amdhsa_user_sgpr_private_segment_buffer 1
		.amdhsa_user_sgpr_dispatch_ptr 0
		.amdhsa_user_sgpr_queue_ptr 0
		.amdhsa_user_sgpr_kernarg_segment_ptr 1
		.amdhsa_user_sgpr_dispatch_id 0
		.amdhsa_user_sgpr_flat_scratch_init 0
		.amdhsa_user_sgpr_private_segment_size 0
		.amdhsa_wavefront_size32 1
		.amdhsa_uses_dynamic_stack 0
		.amdhsa_system_sgpr_private_segment_wavefront_offset 0
		.amdhsa_system_sgpr_workgroup_id_x 1
		.amdhsa_system_sgpr_workgroup_id_y 0
		.amdhsa_system_sgpr_workgroup_id_z 0
		.amdhsa_system_sgpr_workgroup_info 0
		.amdhsa_system_vgpr_workitem_id 0
		.amdhsa_next_free_vgpr 1
		.amdhsa_next_free_sgpr 1
		.amdhsa_reserve_vcc 0
		.amdhsa_reserve_flat_scratch 0
		.amdhsa_float_round_mode_32 0
		.amdhsa_float_round_mode_16_64 0
		.amdhsa_float_denorm_mode_32 3
		.amdhsa_float_denorm_mode_16_64 3
		.amdhsa_dx10_clamp 1
		.amdhsa_ieee_mode 1
		.amdhsa_fp16_overflow 0
		.amdhsa_workgroup_processor_mode 1
		.amdhsa_memory_ordered 1
		.amdhsa_forward_progress 1
		.amdhsa_shared_vgpr_count 0
		.amdhsa_exception_fp_ieee_invalid_op 0
		.amdhsa_exception_fp_denorm_src 0
		.amdhsa_exception_fp_ieee_div_zero 0
		.amdhsa_exception_fp_ieee_overflow 0
		.amdhsa_exception_fp_ieee_underflow 0
		.amdhsa_exception_fp_ieee_inexact 0
		.amdhsa_exception_int_div_zero 0
	.end_amdhsa_kernel
	.section	.text._ZN7rocprim17ROCPRIM_400000_NS6detail17trampoline_kernelINS0_14default_configENS1_21merge_config_selectorINS0_5tupleIJiiEEENS0_10empty_typeEEEZNS1_10merge_implIS3_NS0_12zip_iteratorINS5_IJN6thrust23THRUST_200600_302600_NS6detail15normal_iteratorINSC_10device_ptrIKiEEEESI_EEEEESK_NSA_INS5_IJNSE_INSF_IiEEEESM_EEEEEPS7_SP_SP_NSC_11hip_rocprim7__merge17predicate_wrapperIiiNSC_4lessIiEEEEEE10hipError_tPvRmT0_T1_T2_T3_T4_T5_mmT6_P12ihipStream_tbEUlT_E_NS1_11comp_targetILNS1_3genE3ELNS1_11target_archE908ELNS1_3gpuE7ELNS1_3repE0EEENS1_30default_config_static_selectorELNS0_4arch9wavefront6targetE0EEEvS10_,"axG",@progbits,_ZN7rocprim17ROCPRIM_400000_NS6detail17trampoline_kernelINS0_14default_configENS1_21merge_config_selectorINS0_5tupleIJiiEEENS0_10empty_typeEEEZNS1_10merge_implIS3_NS0_12zip_iteratorINS5_IJN6thrust23THRUST_200600_302600_NS6detail15normal_iteratorINSC_10device_ptrIKiEEEESI_EEEEESK_NSA_INS5_IJNSE_INSF_IiEEEESM_EEEEEPS7_SP_SP_NSC_11hip_rocprim7__merge17predicate_wrapperIiiNSC_4lessIiEEEEEE10hipError_tPvRmT0_T1_T2_T3_T4_T5_mmT6_P12ihipStream_tbEUlT_E_NS1_11comp_targetILNS1_3genE3ELNS1_11target_archE908ELNS1_3gpuE7ELNS1_3repE0EEENS1_30default_config_static_selectorELNS0_4arch9wavefront6targetE0EEEvS10_,comdat
.Lfunc_end246:
	.size	_ZN7rocprim17ROCPRIM_400000_NS6detail17trampoline_kernelINS0_14default_configENS1_21merge_config_selectorINS0_5tupleIJiiEEENS0_10empty_typeEEEZNS1_10merge_implIS3_NS0_12zip_iteratorINS5_IJN6thrust23THRUST_200600_302600_NS6detail15normal_iteratorINSC_10device_ptrIKiEEEESI_EEEEESK_NSA_INS5_IJNSE_INSF_IiEEEESM_EEEEEPS7_SP_SP_NSC_11hip_rocprim7__merge17predicate_wrapperIiiNSC_4lessIiEEEEEE10hipError_tPvRmT0_T1_T2_T3_T4_T5_mmT6_P12ihipStream_tbEUlT_E_NS1_11comp_targetILNS1_3genE3ELNS1_11target_archE908ELNS1_3gpuE7ELNS1_3repE0EEENS1_30default_config_static_selectorELNS0_4arch9wavefront6targetE0EEEvS10_, .Lfunc_end246-_ZN7rocprim17ROCPRIM_400000_NS6detail17trampoline_kernelINS0_14default_configENS1_21merge_config_selectorINS0_5tupleIJiiEEENS0_10empty_typeEEEZNS1_10merge_implIS3_NS0_12zip_iteratorINS5_IJN6thrust23THRUST_200600_302600_NS6detail15normal_iteratorINSC_10device_ptrIKiEEEESI_EEEEESK_NSA_INS5_IJNSE_INSF_IiEEEESM_EEEEEPS7_SP_SP_NSC_11hip_rocprim7__merge17predicate_wrapperIiiNSC_4lessIiEEEEEE10hipError_tPvRmT0_T1_T2_T3_T4_T5_mmT6_P12ihipStream_tbEUlT_E_NS1_11comp_targetILNS1_3genE3ELNS1_11target_archE908ELNS1_3gpuE7ELNS1_3repE0EEENS1_30default_config_static_selectorELNS0_4arch9wavefront6targetE0EEEvS10_
                                        ; -- End function
	.set _ZN7rocprim17ROCPRIM_400000_NS6detail17trampoline_kernelINS0_14default_configENS1_21merge_config_selectorINS0_5tupleIJiiEEENS0_10empty_typeEEEZNS1_10merge_implIS3_NS0_12zip_iteratorINS5_IJN6thrust23THRUST_200600_302600_NS6detail15normal_iteratorINSC_10device_ptrIKiEEEESI_EEEEESK_NSA_INS5_IJNSE_INSF_IiEEEESM_EEEEEPS7_SP_SP_NSC_11hip_rocprim7__merge17predicate_wrapperIiiNSC_4lessIiEEEEEE10hipError_tPvRmT0_T1_T2_T3_T4_T5_mmT6_P12ihipStream_tbEUlT_E_NS1_11comp_targetILNS1_3genE3ELNS1_11target_archE908ELNS1_3gpuE7ELNS1_3repE0EEENS1_30default_config_static_selectorELNS0_4arch9wavefront6targetE0EEEvS10_.num_vgpr, 0
	.set _ZN7rocprim17ROCPRIM_400000_NS6detail17trampoline_kernelINS0_14default_configENS1_21merge_config_selectorINS0_5tupleIJiiEEENS0_10empty_typeEEEZNS1_10merge_implIS3_NS0_12zip_iteratorINS5_IJN6thrust23THRUST_200600_302600_NS6detail15normal_iteratorINSC_10device_ptrIKiEEEESI_EEEEESK_NSA_INS5_IJNSE_INSF_IiEEEESM_EEEEEPS7_SP_SP_NSC_11hip_rocprim7__merge17predicate_wrapperIiiNSC_4lessIiEEEEEE10hipError_tPvRmT0_T1_T2_T3_T4_T5_mmT6_P12ihipStream_tbEUlT_E_NS1_11comp_targetILNS1_3genE3ELNS1_11target_archE908ELNS1_3gpuE7ELNS1_3repE0EEENS1_30default_config_static_selectorELNS0_4arch9wavefront6targetE0EEEvS10_.num_agpr, 0
	.set _ZN7rocprim17ROCPRIM_400000_NS6detail17trampoline_kernelINS0_14default_configENS1_21merge_config_selectorINS0_5tupleIJiiEEENS0_10empty_typeEEEZNS1_10merge_implIS3_NS0_12zip_iteratorINS5_IJN6thrust23THRUST_200600_302600_NS6detail15normal_iteratorINSC_10device_ptrIKiEEEESI_EEEEESK_NSA_INS5_IJNSE_INSF_IiEEEESM_EEEEEPS7_SP_SP_NSC_11hip_rocprim7__merge17predicate_wrapperIiiNSC_4lessIiEEEEEE10hipError_tPvRmT0_T1_T2_T3_T4_T5_mmT6_P12ihipStream_tbEUlT_E_NS1_11comp_targetILNS1_3genE3ELNS1_11target_archE908ELNS1_3gpuE7ELNS1_3repE0EEENS1_30default_config_static_selectorELNS0_4arch9wavefront6targetE0EEEvS10_.numbered_sgpr, 0
	.set _ZN7rocprim17ROCPRIM_400000_NS6detail17trampoline_kernelINS0_14default_configENS1_21merge_config_selectorINS0_5tupleIJiiEEENS0_10empty_typeEEEZNS1_10merge_implIS3_NS0_12zip_iteratorINS5_IJN6thrust23THRUST_200600_302600_NS6detail15normal_iteratorINSC_10device_ptrIKiEEEESI_EEEEESK_NSA_INS5_IJNSE_INSF_IiEEEESM_EEEEEPS7_SP_SP_NSC_11hip_rocprim7__merge17predicate_wrapperIiiNSC_4lessIiEEEEEE10hipError_tPvRmT0_T1_T2_T3_T4_T5_mmT6_P12ihipStream_tbEUlT_E_NS1_11comp_targetILNS1_3genE3ELNS1_11target_archE908ELNS1_3gpuE7ELNS1_3repE0EEENS1_30default_config_static_selectorELNS0_4arch9wavefront6targetE0EEEvS10_.num_named_barrier, 0
	.set _ZN7rocprim17ROCPRIM_400000_NS6detail17trampoline_kernelINS0_14default_configENS1_21merge_config_selectorINS0_5tupleIJiiEEENS0_10empty_typeEEEZNS1_10merge_implIS3_NS0_12zip_iteratorINS5_IJN6thrust23THRUST_200600_302600_NS6detail15normal_iteratorINSC_10device_ptrIKiEEEESI_EEEEESK_NSA_INS5_IJNSE_INSF_IiEEEESM_EEEEEPS7_SP_SP_NSC_11hip_rocprim7__merge17predicate_wrapperIiiNSC_4lessIiEEEEEE10hipError_tPvRmT0_T1_T2_T3_T4_T5_mmT6_P12ihipStream_tbEUlT_E_NS1_11comp_targetILNS1_3genE3ELNS1_11target_archE908ELNS1_3gpuE7ELNS1_3repE0EEENS1_30default_config_static_selectorELNS0_4arch9wavefront6targetE0EEEvS10_.private_seg_size, 0
	.set _ZN7rocprim17ROCPRIM_400000_NS6detail17trampoline_kernelINS0_14default_configENS1_21merge_config_selectorINS0_5tupleIJiiEEENS0_10empty_typeEEEZNS1_10merge_implIS3_NS0_12zip_iteratorINS5_IJN6thrust23THRUST_200600_302600_NS6detail15normal_iteratorINSC_10device_ptrIKiEEEESI_EEEEESK_NSA_INS5_IJNSE_INSF_IiEEEESM_EEEEEPS7_SP_SP_NSC_11hip_rocprim7__merge17predicate_wrapperIiiNSC_4lessIiEEEEEE10hipError_tPvRmT0_T1_T2_T3_T4_T5_mmT6_P12ihipStream_tbEUlT_E_NS1_11comp_targetILNS1_3genE3ELNS1_11target_archE908ELNS1_3gpuE7ELNS1_3repE0EEENS1_30default_config_static_selectorELNS0_4arch9wavefront6targetE0EEEvS10_.uses_vcc, 0
	.set _ZN7rocprim17ROCPRIM_400000_NS6detail17trampoline_kernelINS0_14default_configENS1_21merge_config_selectorINS0_5tupleIJiiEEENS0_10empty_typeEEEZNS1_10merge_implIS3_NS0_12zip_iteratorINS5_IJN6thrust23THRUST_200600_302600_NS6detail15normal_iteratorINSC_10device_ptrIKiEEEESI_EEEEESK_NSA_INS5_IJNSE_INSF_IiEEEESM_EEEEEPS7_SP_SP_NSC_11hip_rocprim7__merge17predicate_wrapperIiiNSC_4lessIiEEEEEE10hipError_tPvRmT0_T1_T2_T3_T4_T5_mmT6_P12ihipStream_tbEUlT_E_NS1_11comp_targetILNS1_3genE3ELNS1_11target_archE908ELNS1_3gpuE7ELNS1_3repE0EEENS1_30default_config_static_selectorELNS0_4arch9wavefront6targetE0EEEvS10_.uses_flat_scratch, 0
	.set _ZN7rocprim17ROCPRIM_400000_NS6detail17trampoline_kernelINS0_14default_configENS1_21merge_config_selectorINS0_5tupleIJiiEEENS0_10empty_typeEEEZNS1_10merge_implIS3_NS0_12zip_iteratorINS5_IJN6thrust23THRUST_200600_302600_NS6detail15normal_iteratorINSC_10device_ptrIKiEEEESI_EEEEESK_NSA_INS5_IJNSE_INSF_IiEEEESM_EEEEEPS7_SP_SP_NSC_11hip_rocprim7__merge17predicate_wrapperIiiNSC_4lessIiEEEEEE10hipError_tPvRmT0_T1_T2_T3_T4_T5_mmT6_P12ihipStream_tbEUlT_E_NS1_11comp_targetILNS1_3genE3ELNS1_11target_archE908ELNS1_3gpuE7ELNS1_3repE0EEENS1_30default_config_static_selectorELNS0_4arch9wavefront6targetE0EEEvS10_.has_dyn_sized_stack, 0
	.set _ZN7rocprim17ROCPRIM_400000_NS6detail17trampoline_kernelINS0_14default_configENS1_21merge_config_selectorINS0_5tupleIJiiEEENS0_10empty_typeEEEZNS1_10merge_implIS3_NS0_12zip_iteratorINS5_IJN6thrust23THRUST_200600_302600_NS6detail15normal_iteratorINSC_10device_ptrIKiEEEESI_EEEEESK_NSA_INS5_IJNSE_INSF_IiEEEESM_EEEEEPS7_SP_SP_NSC_11hip_rocprim7__merge17predicate_wrapperIiiNSC_4lessIiEEEEEE10hipError_tPvRmT0_T1_T2_T3_T4_T5_mmT6_P12ihipStream_tbEUlT_E_NS1_11comp_targetILNS1_3genE3ELNS1_11target_archE908ELNS1_3gpuE7ELNS1_3repE0EEENS1_30default_config_static_selectorELNS0_4arch9wavefront6targetE0EEEvS10_.has_recursion, 0
	.set _ZN7rocprim17ROCPRIM_400000_NS6detail17trampoline_kernelINS0_14default_configENS1_21merge_config_selectorINS0_5tupleIJiiEEENS0_10empty_typeEEEZNS1_10merge_implIS3_NS0_12zip_iteratorINS5_IJN6thrust23THRUST_200600_302600_NS6detail15normal_iteratorINSC_10device_ptrIKiEEEESI_EEEEESK_NSA_INS5_IJNSE_INSF_IiEEEESM_EEEEEPS7_SP_SP_NSC_11hip_rocprim7__merge17predicate_wrapperIiiNSC_4lessIiEEEEEE10hipError_tPvRmT0_T1_T2_T3_T4_T5_mmT6_P12ihipStream_tbEUlT_E_NS1_11comp_targetILNS1_3genE3ELNS1_11target_archE908ELNS1_3gpuE7ELNS1_3repE0EEENS1_30default_config_static_selectorELNS0_4arch9wavefront6targetE0EEEvS10_.has_indirect_call, 0
	.section	.AMDGPU.csdata,"",@progbits
; Kernel info:
; codeLenInByte = 0
; TotalNumSgprs: 0
; NumVgprs: 0
; ScratchSize: 0
; MemoryBound: 0
; FloatMode: 240
; IeeeMode: 1
; LDSByteSize: 0 bytes/workgroup (compile time only)
; SGPRBlocks: 0
; VGPRBlocks: 0
; NumSGPRsForWavesPerEU: 1
; NumVGPRsForWavesPerEU: 1
; Occupancy: 16
; WaveLimiterHint : 0
; COMPUTE_PGM_RSRC2:SCRATCH_EN: 0
; COMPUTE_PGM_RSRC2:USER_SGPR: 6
; COMPUTE_PGM_RSRC2:TRAP_HANDLER: 0
; COMPUTE_PGM_RSRC2:TGID_X_EN: 1
; COMPUTE_PGM_RSRC2:TGID_Y_EN: 0
; COMPUTE_PGM_RSRC2:TGID_Z_EN: 0
; COMPUTE_PGM_RSRC2:TIDIG_COMP_CNT: 0
	.section	.text._ZN7rocprim17ROCPRIM_400000_NS6detail17trampoline_kernelINS0_14default_configENS1_21merge_config_selectorINS0_5tupleIJiiEEENS0_10empty_typeEEEZNS1_10merge_implIS3_NS0_12zip_iteratorINS5_IJN6thrust23THRUST_200600_302600_NS6detail15normal_iteratorINSC_10device_ptrIKiEEEESI_EEEEESK_NSA_INS5_IJNSE_INSF_IiEEEESM_EEEEEPS7_SP_SP_NSC_11hip_rocprim7__merge17predicate_wrapperIiiNSC_4lessIiEEEEEE10hipError_tPvRmT0_T1_T2_T3_T4_T5_mmT6_P12ihipStream_tbEUlT_E_NS1_11comp_targetILNS1_3genE2ELNS1_11target_archE906ELNS1_3gpuE6ELNS1_3repE0EEENS1_30default_config_static_selectorELNS0_4arch9wavefront6targetE0EEEvS10_,"axG",@progbits,_ZN7rocprim17ROCPRIM_400000_NS6detail17trampoline_kernelINS0_14default_configENS1_21merge_config_selectorINS0_5tupleIJiiEEENS0_10empty_typeEEEZNS1_10merge_implIS3_NS0_12zip_iteratorINS5_IJN6thrust23THRUST_200600_302600_NS6detail15normal_iteratorINSC_10device_ptrIKiEEEESI_EEEEESK_NSA_INS5_IJNSE_INSF_IiEEEESM_EEEEEPS7_SP_SP_NSC_11hip_rocprim7__merge17predicate_wrapperIiiNSC_4lessIiEEEEEE10hipError_tPvRmT0_T1_T2_T3_T4_T5_mmT6_P12ihipStream_tbEUlT_E_NS1_11comp_targetILNS1_3genE2ELNS1_11target_archE906ELNS1_3gpuE6ELNS1_3repE0EEENS1_30default_config_static_selectorELNS0_4arch9wavefront6targetE0EEEvS10_,comdat
	.protected	_ZN7rocprim17ROCPRIM_400000_NS6detail17trampoline_kernelINS0_14default_configENS1_21merge_config_selectorINS0_5tupleIJiiEEENS0_10empty_typeEEEZNS1_10merge_implIS3_NS0_12zip_iteratorINS5_IJN6thrust23THRUST_200600_302600_NS6detail15normal_iteratorINSC_10device_ptrIKiEEEESI_EEEEESK_NSA_INS5_IJNSE_INSF_IiEEEESM_EEEEEPS7_SP_SP_NSC_11hip_rocprim7__merge17predicate_wrapperIiiNSC_4lessIiEEEEEE10hipError_tPvRmT0_T1_T2_T3_T4_T5_mmT6_P12ihipStream_tbEUlT_E_NS1_11comp_targetILNS1_3genE2ELNS1_11target_archE906ELNS1_3gpuE6ELNS1_3repE0EEENS1_30default_config_static_selectorELNS0_4arch9wavefront6targetE0EEEvS10_ ; -- Begin function _ZN7rocprim17ROCPRIM_400000_NS6detail17trampoline_kernelINS0_14default_configENS1_21merge_config_selectorINS0_5tupleIJiiEEENS0_10empty_typeEEEZNS1_10merge_implIS3_NS0_12zip_iteratorINS5_IJN6thrust23THRUST_200600_302600_NS6detail15normal_iteratorINSC_10device_ptrIKiEEEESI_EEEEESK_NSA_INS5_IJNSE_INSF_IiEEEESM_EEEEEPS7_SP_SP_NSC_11hip_rocprim7__merge17predicate_wrapperIiiNSC_4lessIiEEEEEE10hipError_tPvRmT0_T1_T2_T3_T4_T5_mmT6_P12ihipStream_tbEUlT_E_NS1_11comp_targetILNS1_3genE2ELNS1_11target_archE906ELNS1_3gpuE6ELNS1_3repE0EEENS1_30default_config_static_selectorELNS0_4arch9wavefront6targetE0EEEvS10_
	.globl	_ZN7rocprim17ROCPRIM_400000_NS6detail17trampoline_kernelINS0_14default_configENS1_21merge_config_selectorINS0_5tupleIJiiEEENS0_10empty_typeEEEZNS1_10merge_implIS3_NS0_12zip_iteratorINS5_IJN6thrust23THRUST_200600_302600_NS6detail15normal_iteratorINSC_10device_ptrIKiEEEESI_EEEEESK_NSA_INS5_IJNSE_INSF_IiEEEESM_EEEEEPS7_SP_SP_NSC_11hip_rocprim7__merge17predicate_wrapperIiiNSC_4lessIiEEEEEE10hipError_tPvRmT0_T1_T2_T3_T4_T5_mmT6_P12ihipStream_tbEUlT_E_NS1_11comp_targetILNS1_3genE2ELNS1_11target_archE906ELNS1_3gpuE6ELNS1_3repE0EEENS1_30default_config_static_selectorELNS0_4arch9wavefront6targetE0EEEvS10_
	.p2align	8
	.type	_ZN7rocprim17ROCPRIM_400000_NS6detail17trampoline_kernelINS0_14default_configENS1_21merge_config_selectorINS0_5tupleIJiiEEENS0_10empty_typeEEEZNS1_10merge_implIS3_NS0_12zip_iteratorINS5_IJN6thrust23THRUST_200600_302600_NS6detail15normal_iteratorINSC_10device_ptrIKiEEEESI_EEEEESK_NSA_INS5_IJNSE_INSF_IiEEEESM_EEEEEPS7_SP_SP_NSC_11hip_rocprim7__merge17predicate_wrapperIiiNSC_4lessIiEEEEEE10hipError_tPvRmT0_T1_T2_T3_T4_T5_mmT6_P12ihipStream_tbEUlT_E_NS1_11comp_targetILNS1_3genE2ELNS1_11target_archE906ELNS1_3gpuE6ELNS1_3repE0EEENS1_30default_config_static_selectorELNS0_4arch9wavefront6targetE0EEEvS10_,@function
_ZN7rocprim17ROCPRIM_400000_NS6detail17trampoline_kernelINS0_14default_configENS1_21merge_config_selectorINS0_5tupleIJiiEEENS0_10empty_typeEEEZNS1_10merge_implIS3_NS0_12zip_iteratorINS5_IJN6thrust23THRUST_200600_302600_NS6detail15normal_iteratorINSC_10device_ptrIKiEEEESI_EEEEESK_NSA_INS5_IJNSE_INSF_IiEEEESM_EEEEEPS7_SP_SP_NSC_11hip_rocprim7__merge17predicate_wrapperIiiNSC_4lessIiEEEEEE10hipError_tPvRmT0_T1_T2_T3_T4_T5_mmT6_P12ihipStream_tbEUlT_E_NS1_11comp_targetILNS1_3genE2ELNS1_11target_archE906ELNS1_3gpuE6ELNS1_3repE0EEENS1_30default_config_static_selectorELNS0_4arch9wavefront6targetE0EEEvS10_: ; @_ZN7rocprim17ROCPRIM_400000_NS6detail17trampoline_kernelINS0_14default_configENS1_21merge_config_selectorINS0_5tupleIJiiEEENS0_10empty_typeEEEZNS1_10merge_implIS3_NS0_12zip_iteratorINS5_IJN6thrust23THRUST_200600_302600_NS6detail15normal_iteratorINSC_10device_ptrIKiEEEESI_EEEEESK_NSA_INS5_IJNSE_INSF_IiEEEESM_EEEEEPS7_SP_SP_NSC_11hip_rocprim7__merge17predicate_wrapperIiiNSC_4lessIiEEEEEE10hipError_tPvRmT0_T1_T2_T3_T4_T5_mmT6_P12ihipStream_tbEUlT_E_NS1_11comp_targetILNS1_3genE2ELNS1_11target_archE906ELNS1_3gpuE6ELNS1_3repE0EEENS1_30default_config_static_selectorELNS0_4arch9wavefront6targetE0EEEvS10_
; %bb.0:
	.section	.rodata,"a",@progbits
	.p2align	6, 0x0
	.amdhsa_kernel _ZN7rocprim17ROCPRIM_400000_NS6detail17trampoline_kernelINS0_14default_configENS1_21merge_config_selectorINS0_5tupleIJiiEEENS0_10empty_typeEEEZNS1_10merge_implIS3_NS0_12zip_iteratorINS5_IJN6thrust23THRUST_200600_302600_NS6detail15normal_iteratorINSC_10device_ptrIKiEEEESI_EEEEESK_NSA_INS5_IJNSE_INSF_IiEEEESM_EEEEEPS7_SP_SP_NSC_11hip_rocprim7__merge17predicate_wrapperIiiNSC_4lessIiEEEEEE10hipError_tPvRmT0_T1_T2_T3_T4_T5_mmT6_P12ihipStream_tbEUlT_E_NS1_11comp_targetILNS1_3genE2ELNS1_11target_archE906ELNS1_3gpuE6ELNS1_3repE0EEENS1_30default_config_static_selectorELNS0_4arch9wavefront6targetE0EEEvS10_
		.amdhsa_group_segment_fixed_size 0
		.amdhsa_private_segment_fixed_size 0
		.amdhsa_kernarg_size 64
		.amdhsa_user_sgpr_count 6
		.amdhsa_user_sgpr_private_segment_buffer 1
		.amdhsa_user_sgpr_dispatch_ptr 0
		.amdhsa_user_sgpr_queue_ptr 0
		.amdhsa_user_sgpr_kernarg_segment_ptr 1
		.amdhsa_user_sgpr_dispatch_id 0
		.amdhsa_user_sgpr_flat_scratch_init 0
		.amdhsa_user_sgpr_private_segment_size 0
		.amdhsa_wavefront_size32 1
		.amdhsa_uses_dynamic_stack 0
		.amdhsa_system_sgpr_private_segment_wavefront_offset 0
		.amdhsa_system_sgpr_workgroup_id_x 1
		.amdhsa_system_sgpr_workgroup_id_y 0
		.amdhsa_system_sgpr_workgroup_id_z 0
		.amdhsa_system_sgpr_workgroup_info 0
		.amdhsa_system_vgpr_workitem_id 0
		.amdhsa_next_free_vgpr 1
		.amdhsa_next_free_sgpr 1
		.amdhsa_reserve_vcc 0
		.amdhsa_reserve_flat_scratch 0
		.amdhsa_float_round_mode_32 0
		.amdhsa_float_round_mode_16_64 0
		.amdhsa_float_denorm_mode_32 3
		.amdhsa_float_denorm_mode_16_64 3
		.amdhsa_dx10_clamp 1
		.amdhsa_ieee_mode 1
		.amdhsa_fp16_overflow 0
		.amdhsa_workgroup_processor_mode 1
		.amdhsa_memory_ordered 1
		.amdhsa_forward_progress 1
		.amdhsa_shared_vgpr_count 0
		.amdhsa_exception_fp_ieee_invalid_op 0
		.amdhsa_exception_fp_denorm_src 0
		.amdhsa_exception_fp_ieee_div_zero 0
		.amdhsa_exception_fp_ieee_overflow 0
		.amdhsa_exception_fp_ieee_underflow 0
		.amdhsa_exception_fp_ieee_inexact 0
		.amdhsa_exception_int_div_zero 0
	.end_amdhsa_kernel
	.section	.text._ZN7rocprim17ROCPRIM_400000_NS6detail17trampoline_kernelINS0_14default_configENS1_21merge_config_selectorINS0_5tupleIJiiEEENS0_10empty_typeEEEZNS1_10merge_implIS3_NS0_12zip_iteratorINS5_IJN6thrust23THRUST_200600_302600_NS6detail15normal_iteratorINSC_10device_ptrIKiEEEESI_EEEEESK_NSA_INS5_IJNSE_INSF_IiEEEESM_EEEEEPS7_SP_SP_NSC_11hip_rocprim7__merge17predicate_wrapperIiiNSC_4lessIiEEEEEE10hipError_tPvRmT0_T1_T2_T3_T4_T5_mmT6_P12ihipStream_tbEUlT_E_NS1_11comp_targetILNS1_3genE2ELNS1_11target_archE906ELNS1_3gpuE6ELNS1_3repE0EEENS1_30default_config_static_selectorELNS0_4arch9wavefront6targetE0EEEvS10_,"axG",@progbits,_ZN7rocprim17ROCPRIM_400000_NS6detail17trampoline_kernelINS0_14default_configENS1_21merge_config_selectorINS0_5tupleIJiiEEENS0_10empty_typeEEEZNS1_10merge_implIS3_NS0_12zip_iteratorINS5_IJN6thrust23THRUST_200600_302600_NS6detail15normal_iteratorINSC_10device_ptrIKiEEEESI_EEEEESK_NSA_INS5_IJNSE_INSF_IiEEEESM_EEEEEPS7_SP_SP_NSC_11hip_rocprim7__merge17predicate_wrapperIiiNSC_4lessIiEEEEEE10hipError_tPvRmT0_T1_T2_T3_T4_T5_mmT6_P12ihipStream_tbEUlT_E_NS1_11comp_targetILNS1_3genE2ELNS1_11target_archE906ELNS1_3gpuE6ELNS1_3repE0EEENS1_30default_config_static_selectorELNS0_4arch9wavefront6targetE0EEEvS10_,comdat
.Lfunc_end247:
	.size	_ZN7rocprim17ROCPRIM_400000_NS6detail17trampoline_kernelINS0_14default_configENS1_21merge_config_selectorINS0_5tupleIJiiEEENS0_10empty_typeEEEZNS1_10merge_implIS3_NS0_12zip_iteratorINS5_IJN6thrust23THRUST_200600_302600_NS6detail15normal_iteratorINSC_10device_ptrIKiEEEESI_EEEEESK_NSA_INS5_IJNSE_INSF_IiEEEESM_EEEEEPS7_SP_SP_NSC_11hip_rocprim7__merge17predicate_wrapperIiiNSC_4lessIiEEEEEE10hipError_tPvRmT0_T1_T2_T3_T4_T5_mmT6_P12ihipStream_tbEUlT_E_NS1_11comp_targetILNS1_3genE2ELNS1_11target_archE906ELNS1_3gpuE6ELNS1_3repE0EEENS1_30default_config_static_selectorELNS0_4arch9wavefront6targetE0EEEvS10_, .Lfunc_end247-_ZN7rocprim17ROCPRIM_400000_NS6detail17trampoline_kernelINS0_14default_configENS1_21merge_config_selectorINS0_5tupleIJiiEEENS0_10empty_typeEEEZNS1_10merge_implIS3_NS0_12zip_iteratorINS5_IJN6thrust23THRUST_200600_302600_NS6detail15normal_iteratorINSC_10device_ptrIKiEEEESI_EEEEESK_NSA_INS5_IJNSE_INSF_IiEEEESM_EEEEEPS7_SP_SP_NSC_11hip_rocprim7__merge17predicate_wrapperIiiNSC_4lessIiEEEEEE10hipError_tPvRmT0_T1_T2_T3_T4_T5_mmT6_P12ihipStream_tbEUlT_E_NS1_11comp_targetILNS1_3genE2ELNS1_11target_archE906ELNS1_3gpuE6ELNS1_3repE0EEENS1_30default_config_static_selectorELNS0_4arch9wavefront6targetE0EEEvS10_
                                        ; -- End function
	.set _ZN7rocprim17ROCPRIM_400000_NS6detail17trampoline_kernelINS0_14default_configENS1_21merge_config_selectorINS0_5tupleIJiiEEENS0_10empty_typeEEEZNS1_10merge_implIS3_NS0_12zip_iteratorINS5_IJN6thrust23THRUST_200600_302600_NS6detail15normal_iteratorINSC_10device_ptrIKiEEEESI_EEEEESK_NSA_INS5_IJNSE_INSF_IiEEEESM_EEEEEPS7_SP_SP_NSC_11hip_rocprim7__merge17predicate_wrapperIiiNSC_4lessIiEEEEEE10hipError_tPvRmT0_T1_T2_T3_T4_T5_mmT6_P12ihipStream_tbEUlT_E_NS1_11comp_targetILNS1_3genE2ELNS1_11target_archE906ELNS1_3gpuE6ELNS1_3repE0EEENS1_30default_config_static_selectorELNS0_4arch9wavefront6targetE0EEEvS10_.num_vgpr, 0
	.set _ZN7rocprim17ROCPRIM_400000_NS6detail17trampoline_kernelINS0_14default_configENS1_21merge_config_selectorINS0_5tupleIJiiEEENS0_10empty_typeEEEZNS1_10merge_implIS3_NS0_12zip_iteratorINS5_IJN6thrust23THRUST_200600_302600_NS6detail15normal_iteratorINSC_10device_ptrIKiEEEESI_EEEEESK_NSA_INS5_IJNSE_INSF_IiEEEESM_EEEEEPS7_SP_SP_NSC_11hip_rocprim7__merge17predicate_wrapperIiiNSC_4lessIiEEEEEE10hipError_tPvRmT0_T1_T2_T3_T4_T5_mmT6_P12ihipStream_tbEUlT_E_NS1_11comp_targetILNS1_3genE2ELNS1_11target_archE906ELNS1_3gpuE6ELNS1_3repE0EEENS1_30default_config_static_selectorELNS0_4arch9wavefront6targetE0EEEvS10_.num_agpr, 0
	.set _ZN7rocprim17ROCPRIM_400000_NS6detail17trampoline_kernelINS0_14default_configENS1_21merge_config_selectorINS0_5tupleIJiiEEENS0_10empty_typeEEEZNS1_10merge_implIS3_NS0_12zip_iteratorINS5_IJN6thrust23THRUST_200600_302600_NS6detail15normal_iteratorINSC_10device_ptrIKiEEEESI_EEEEESK_NSA_INS5_IJNSE_INSF_IiEEEESM_EEEEEPS7_SP_SP_NSC_11hip_rocprim7__merge17predicate_wrapperIiiNSC_4lessIiEEEEEE10hipError_tPvRmT0_T1_T2_T3_T4_T5_mmT6_P12ihipStream_tbEUlT_E_NS1_11comp_targetILNS1_3genE2ELNS1_11target_archE906ELNS1_3gpuE6ELNS1_3repE0EEENS1_30default_config_static_selectorELNS0_4arch9wavefront6targetE0EEEvS10_.numbered_sgpr, 0
	.set _ZN7rocprim17ROCPRIM_400000_NS6detail17trampoline_kernelINS0_14default_configENS1_21merge_config_selectorINS0_5tupleIJiiEEENS0_10empty_typeEEEZNS1_10merge_implIS3_NS0_12zip_iteratorINS5_IJN6thrust23THRUST_200600_302600_NS6detail15normal_iteratorINSC_10device_ptrIKiEEEESI_EEEEESK_NSA_INS5_IJNSE_INSF_IiEEEESM_EEEEEPS7_SP_SP_NSC_11hip_rocprim7__merge17predicate_wrapperIiiNSC_4lessIiEEEEEE10hipError_tPvRmT0_T1_T2_T3_T4_T5_mmT6_P12ihipStream_tbEUlT_E_NS1_11comp_targetILNS1_3genE2ELNS1_11target_archE906ELNS1_3gpuE6ELNS1_3repE0EEENS1_30default_config_static_selectorELNS0_4arch9wavefront6targetE0EEEvS10_.num_named_barrier, 0
	.set _ZN7rocprim17ROCPRIM_400000_NS6detail17trampoline_kernelINS0_14default_configENS1_21merge_config_selectorINS0_5tupleIJiiEEENS0_10empty_typeEEEZNS1_10merge_implIS3_NS0_12zip_iteratorINS5_IJN6thrust23THRUST_200600_302600_NS6detail15normal_iteratorINSC_10device_ptrIKiEEEESI_EEEEESK_NSA_INS5_IJNSE_INSF_IiEEEESM_EEEEEPS7_SP_SP_NSC_11hip_rocprim7__merge17predicate_wrapperIiiNSC_4lessIiEEEEEE10hipError_tPvRmT0_T1_T2_T3_T4_T5_mmT6_P12ihipStream_tbEUlT_E_NS1_11comp_targetILNS1_3genE2ELNS1_11target_archE906ELNS1_3gpuE6ELNS1_3repE0EEENS1_30default_config_static_selectorELNS0_4arch9wavefront6targetE0EEEvS10_.private_seg_size, 0
	.set _ZN7rocprim17ROCPRIM_400000_NS6detail17trampoline_kernelINS0_14default_configENS1_21merge_config_selectorINS0_5tupleIJiiEEENS0_10empty_typeEEEZNS1_10merge_implIS3_NS0_12zip_iteratorINS5_IJN6thrust23THRUST_200600_302600_NS6detail15normal_iteratorINSC_10device_ptrIKiEEEESI_EEEEESK_NSA_INS5_IJNSE_INSF_IiEEEESM_EEEEEPS7_SP_SP_NSC_11hip_rocprim7__merge17predicate_wrapperIiiNSC_4lessIiEEEEEE10hipError_tPvRmT0_T1_T2_T3_T4_T5_mmT6_P12ihipStream_tbEUlT_E_NS1_11comp_targetILNS1_3genE2ELNS1_11target_archE906ELNS1_3gpuE6ELNS1_3repE0EEENS1_30default_config_static_selectorELNS0_4arch9wavefront6targetE0EEEvS10_.uses_vcc, 0
	.set _ZN7rocprim17ROCPRIM_400000_NS6detail17trampoline_kernelINS0_14default_configENS1_21merge_config_selectorINS0_5tupleIJiiEEENS0_10empty_typeEEEZNS1_10merge_implIS3_NS0_12zip_iteratorINS5_IJN6thrust23THRUST_200600_302600_NS6detail15normal_iteratorINSC_10device_ptrIKiEEEESI_EEEEESK_NSA_INS5_IJNSE_INSF_IiEEEESM_EEEEEPS7_SP_SP_NSC_11hip_rocprim7__merge17predicate_wrapperIiiNSC_4lessIiEEEEEE10hipError_tPvRmT0_T1_T2_T3_T4_T5_mmT6_P12ihipStream_tbEUlT_E_NS1_11comp_targetILNS1_3genE2ELNS1_11target_archE906ELNS1_3gpuE6ELNS1_3repE0EEENS1_30default_config_static_selectorELNS0_4arch9wavefront6targetE0EEEvS10_.uses_flat_scratch, 0
	.set _ZN7rocprim17ROCPRIM_400000_NS6detail17trampoline_kernelINS0_14default_configENS1_21merge_config_selectorINS0_5tupleIJiiEEENS0_10empty_typeEEEZNS1_10merge_implIS3_NS0_12zip_iteratorINS5_IJN6thrust23THRUST_200600_302600_NS6detail15normal_iteratorINSC_10device_ptrIKiEEEESI_EEEEESK_NSA_INS5_IJNSE_INSF_IiEEEESM_EEEEEPS7_SP_SP_NSC_11hip_rocprim7__merge17predicate_wrapperIiiNSC_4lessIiEEEEEE10hipError_tPvRmT0_T1_T2_T3_T4_T5_mmT6_P12ihipStream_tbEUlT_E_NS1_11comp_targetILNS1_3genE2ELNS1_11target_archE906ELNS1_3gpuE6ELNS1_3repE0EEENS1_30default_config_static_selectorELNS0_4arch9wavefront6targetE0EEEvS10_.has_dyn_sized_stack, 0
	.set _ZN7rocprim17ROCPRIM_400000_NS6detail17trampoline_kernelINS0_14default_configENS1_21merge_config_selectorINS0_5tupleIJiiEEENS0_10empty_typeEEEZNS1_10merge_implIS3_NS0_12zip_iteratorINS5_IJN6thrust23THRUST_200600_302600_NS6detail15normal_iteratorINSC_10device_ptrIKiEEEESI_EEEEESK_NSA_INS5_IJNSE_INSF_IiEEEESM_EEEEEPS7_SP_SP_NSC_11hip_rocprim7__merge17predicate_wrapperIiiNSC_4lessIiEEEEEE10hipError_tPvRmT0_T1_T2_T3_T4_T5_mmT6_P12ihipStream_tbEUlT_E_NS1_11comp_targetILNS1_3genE2ELNS1_11target_archE906ELNS1_3gpuE6ELNS1_3repE0EEENS1_30default_config_static_selectorELNS0_4arch9wavefront6targetE0EEEvS10_.has_recursion, 0
	.set _ZN7rocprim17ROCPRIM_400000_NS6detail17trampoline_kernelINS0_14default_configENS1_21merge_config_selectorINS0_5tupleIJiiEEENS0_10empty_typeEEEZNS1_10merge_implIS3_NS0_12zip_iteratorINS5_IJN6thrust23THRUST_200600_302600_NS6detail15normal_iteratorINSC_10device_ptrIKiEEEESI_EEEEESK_NSA_INS5_IJNSE_INSF_IiEEEESM_EEEEEPS7_SP_SP_NSC_11hip_rocprim7__merge17predicate_wrapperIiiNSC_4lessIiEEEEEE10hipError_tPvRmT0_T1_T2_T3_T4_T5_mmT6_P12ihipStream_tbEUlT_E_NS1_11comp_targetILNS1_3genE2ELNS1_11target_archE906ELNS1_3gpuE6ELNS1_3repE0EEENS1_30default_config_static_selectorELNS0_4arch9wavefront6targetE0EEEvS10_.has_indirect_call, 0
	.section	.AMDGPU.csdata,"",@progbits
; Kernel info:
; codeLenInByte = 0
; TotalNumSgprs: 0
; NumVgprs: 0
; ScratchSize: 0
; MemoryBound: 0
; FloatMode: 240
; IeeeMode: 1
; LDSByteSize: 0 bytes/workgroup (compile time only)
; SGPRBlocks: 0
; VGPRBlocks: 0
; NumSGPRsForWavesPerEU: 1
; NumVGPRsForWavesPerEU: 1
; Occupancy: 16
; WaveLimiterHint : 0
; COMPUTE_PGM_RSRC2:SCRATCH_EN: 0
; COMPUTE_PGM_RSRC2:USER_SGPR: 6
; COMPUTE_PGM_RSRC2:TRAP_HANDLER: 0
; COMPUTE_PGM_RSRC2:TGID_X_EN: 1
; COMPUTE_PGM_RSRC2:TGID_Y_EN: 0
; COMPUTE_PGM_RSRC2:TGID_Z_EN: 0
; COMPUTE_PGM_RSRC2:TIDIG_COMP_CNT: 0
	.section	.text._ZN7rocprim17ROCPRIM_400000_NS6detail17trampoline_kernelINS0_14default_configENS1_21merge_config_selectorINS0_5tupleIJiiEEENS0_10empty_typeEEEZNS1_10merge_implIS3_NS0_12zip_iteratorINS5_IJN6thrust23THRUST_200600_302600_NS6detail15normal_iteratorINSC_10device_ptrIKiEEEESI_EEEEESK_NSA_INS5_IJNSE_INSF_IiEEEESM_EEEEEPS7_SP_SP_NSC_11hip_rocprim7__merge17predicate_wrapperIiiNSC_4lessIiEEEEEE10hipError_tPvRmT0_T1_T2_T3_T4_T5_mmT6_P12ihipStream_tbEUlT_E_NS1_11comp_targetILNS1_3genE10ELNS1_11target_archE1201ELNS1_3gpuE5ELNS1_3repE0EEENS1_30default_config_static_selectorELNS0_4arch9wavefront6targetE0EEEvS10_,"axG",@progbits,_ZN7rocprim17ROCPRIM_400000_NS6detail17trampoline_kernelINS0_14default_configENS1_21merge_config_selectorINS0_5tupleIJiiEEENS0_10empty_typeEEEZNS1_10merge_implIS3_NS0_12zip_iteratorINS5_IJN6thrust23THRUST_200600_302600_NS6detail15normal_iteratorINSC_10device_ptrIKiEEEESI_EEEEESK_NSA_INS5_IJNSE_INSF_IiEEEESM_EEEEEPS7_SP_SP_NSC_11hip_rocprim7__merge17predicate_wrapperIiiNSC_4lessIiEEEEEE10hipError_tPvRmT0_T1_T2_T3_T4_T5_mmT6_P12ihipStream_tbEUlT_E_NS1_11comp_targetILNS1_3genE10ELNS1_11target_archE1201ELNS1_3gpuE5ELNS1_3repE0EEENS1_30default_config_static_selectorELNS0_4arch9wavefront6targetE0EEEvS10_,comdat
	.protected	_ZN7rocprim17ROCPRIM_400000_NS6detail17trampoline_kernelINS0_14default_configENS1_21merge_config_selectorINS0_5tupleIJiiEEENS0_10empty_typeEEEZNS1_10merge_implIS3_NS0_12zip_iteratorINS5_IJN6thrust23THRUST_200600_302600_NS6detail15normal_iteratorINSC_10device_ptrIKiEEEESI_EEEEESK_NSA_INS5_IJNSE_INSF_IiEEEESM_EEEEEPS7_SP_SP_NSC_11hip_rocprim7__merge17predicate_wrapperIiiNSC_4lessIiEEEEEE10hipError_tPvRmT0_T1_T2_T3_T4_T5_mmT6_P12ihipStream_tbEUlT_E_NS1_11comp_targetILNS1_3genE10ELNS1_11target_archE1201ELNS1_3gpuE5ELNS1_3repE0EEENS1_30default_config_static_selectorELNS0_4arch9wavefront6targetE0EEEvS10_ ; -- Begin function _ZN7rocprim17ROCPRIM_400000_NS6detail17trampoline_kernelINS0_14default_configENS1_21merge_config_selectorINS0_5tupleIJiiEEENS0_10empty_typeEEEZNS1_10merge_implIS3_NS0_12zip_iteratorINS5_IJN6thrust23THRUST_200600_302600_NS6detail15normal_iteratorINSC_10device_ptrIKiEEEESI_EEEEESK_NSA_INS5_IJNSE_INSF_IiEEEESM_EEEEEPS7_SP_SP_NSC_11hip_rocprim7__merge17predicate_wrapperIiiNSC_4lessIiEEEEEE10hipError_tPvRmT0_T1_T2_T3_T4_T5_mmT6_P12ihipStream_tbEUlT_E_NS1_11comp_targetILNS1_3genE10ELNS1_11target_archE1201ELNS1_3gpuE5ELNS1_3repE0EEENS1_30default_config_static_selectorELNS0_4arch9wavefront6targetE0EEEvS10_
	.globl	_ZN7rocprim17ROCPRIM_400000_NS6detail17trampoline_kernelINS0_14default_configENS1_21merge_config_selectorINS0_5tupleIJiiEEENS0_10empty_typeEEEZNS1_10merge_implIS3_NS0_12zip_iteratorINS5_IJN6thrust23THRUST_200600_302600_NS6detail15normal_iteratorINSC_10device_ptrIKiEEEESI_EEEEESK_NSA_INS5_IJNSE_INSF_IiEEEESM_EEEEEPS7_SP_SP_NSC_11hip_rocprim7__merge17predicate_wrapperIiiNSC_4lessIiEEEEEE10hipError_tPvRmT0_T1_T2_T3_T4_T5_mmT6_P12ihipStream_tbEUlT_E_NS1_11comp_targetILNS1_3genE10ELNS1_11target_archE1201ELNS1_3gpuE5ELNS1_3repE0EEENS1_30default_config_static_selectorELNS0_4arch9wavefront6targetE0EEEvS10_
	.p2align	8
	.type	_ZN7rocprim17ROCPRIM_400000_NS6detail17trampoline_kernelINS0_14default_configENS1_21merge_config_selectorINS0_5tupleIJiiEEENS0_10empty_typeEEEZNS1_10merge_implIS3_NS0_12zip_iteratorINS5_IJN6thrust23THRUST_200600_302600_NS6detail15normal_iteratorINSC_10device_ptrIKiEEEESI_EEEEESK_NSA_INS5_IJNSE_INSF_IiEEEESM_EEEEEPS7_SP_SP_NSC_11hip_rocprim7__merge17predicate_wrapperIiiNSC_4lessIiEEEEEE10hipError_tPvRmT0_T1_T2_T3_T4_T5_mmT6_P12ihipStream_tbEUlT_E_NS1_11comp_targetILNS1_3genE10ELNS1_11target_archE1201ELNS1_3gpuE5ELNS1_3repE0EEENS1_30default_config_static_selectorELNS0_4arch9wavefront6targetE0EEEvS10_,@function
_ZN7rocprim17ROCPRIM_400000_NS6detail17trampoline_kernelINS0_14default_configENS1_21merge_config_selectorINS0_5tupleIJiiEEENS0_10empty_typeEEEZNS1_10merge_implIS3_NS0_12zip_iteratorINS5_IJN6thrust23THRUST_200600_302600_NS6detail15normal_iteratorINSC_10device_ptrIKiEEEESI_EEEEESK_NSA_INS5_IJNSE_INSF_IiEEEESM_EEEEEPS7_SP_SP_NSC_11hip_rocprim7__merge17predicate_wrapperIiiNSC_4lessIiEEEEEE10hipError_tPvRmT0_T1_T2_T3_T4_T5_mmT6_P12ihipStream_tbEUlT_E_NS1_11comp_targetILNS1_3genE10ELNS1_11target_archE1201ELNS1_3gpuE5ELNS1_3repE0EEENS1_30default_config_static_selectorELNS0_4arch9wavefront6targetE0EEEvS10_: ; @_ZN7rocprim17ROCPRIM_400000_NS6detail17trampoline_kernelINS0_14default_configENS1_21merge_config_selectorINS0_5tupleIJiiEEENS0_10empty_typeEEEZNS1_10merge_implIS3_NS0_12zip_iteratorINS5_IJN6thrust23THRUST_200600_302600_NS6detail15normal_iteratorINSC_10device_ptrIKiEEEESI_EEEEESK_NSA_INS5_IJNSE_INSF_IiEEEESM_EEEEEPS7_SP_SP_NSC_11hip_rocprim7__merge17predicate_wrapperIiiNSC_4lessIiEEEEEE10hipError_tPvRmT0_T1_T2_T3_T4_T5_mmT6_P12ihipStream_tbEUlT_E_NS1_11comp_targetILNS1_3genE10ELNS1_11target_archE1201ELNS1_3gpuE5ELNS1_3repE0EEENS1_30default_config_static_selectorELNS0_4arch9wavefront6targetE0EEEvS10_
; %bb.0:
	.section	.rodata,"a",@progbits
	.p2align	6, 0x0
	.amdhsa_kernel _ZN7rocprim17ROCPRIM_400000_NS6detail17trampoline_kernelINS0_14default_configENS1_21merge_config_selectorINS0_5tupleIJiiEEENS0_10empty_typeEEEZNS1_10merge_implIS3_NS0_12zip_iteratorINS5_IJN6thrust23THRUST_200600_302600_NS6detail15normal_iteratorINSC_10device_ptrIKiEEEESI_EEEEESK_NSA_INS5_IJNSE_INSF_IiEEEESM_EEEEEPS7_SP_SP_NSC_11hip_rocprim7__merge17predicate_wrapperIiiNSC_4lessIiEEEEEE10hipError_tPvRmT0_T1_T2_T3_T4_T5_mmT6_P12ihipStream_tbEUlT_E_NS1_11comp_targetILNS1_3genE10ELNS1_11target_archE1201ELNS1_3gpuE5ELNS1_3repE0EEENS1_30default_config_static_selectorELNS0_4arch9wavefront6targetE0EEEvS10_
		.amdhsa_group_segment_fixed_size 0
		.amdhsa_private_segment_fixed_size 0
		.amdhsa_kernarg_size 64
		.amdhsa_user_sgpr_count 6
		.amdhsa_user_sgpr_private_segment_buffer 1
		.amdhsa_user_sgpr_dispatch_ptr 0
		.amdhsa_user_sgpr_queue_ptr 0
		.amdhsa_user_sgpr_kernarg_segment_ptr 1
		.amdhsa_user_sgpr_dispatch_id 0
		.amdhsa_user_sgpr_flat_scratch_init 0
		.amdhsa_user_sgpr_private_segment_size 0
		.amdhsa_wavefront_size32 1
		.amdhsa_uses_dynamic_stack 0
		.amdhsa_system_sgpr_private_segment_wavefront_offset 0
		.amdhsa_system_sgpr_workgroup_id_x 1
		.amdhsa_system_sgpr_workgroup_id_y 0
		.amdhsa_system_sgpr_workgroup_id_z 0
		.amdhsa_system_sgpr_workgroup_info 0
		.amdhsa_system_vgpr_workitem_id 0
		.amdhsa_next_free_vgpr 1
		.amdhsa_next_free_sgpr 1
		.amdhsa_reserve_vcc 0
		.amdhsa_reserve_flat_scratch 0
		.amdhsa_float_round_mode_32 0
		.amdhsa_float_round_mode_16_64 0
		.amdhsa_float_denorm_mode_32 3
		.amdhsa_float_denorm_mode_16_64 3
		.amdhsa_dx10_clamp 1
		.amdhsa_ieee_mode 1
		.amdhsa_fp16_overflow 0
		.amdhsa_workgroup_processor_mode 1
		.amdhsa_memory_ordered 1
		.amdhsa_forward_progress 1
		.amdhsa_shared_vgpr_count 0
		.amdhsa_exception_fp_ieee_invalid_op 0
		.amdhsa_exception_fp_denorm_src 0
		.amdhsa_exception_fp_ieee_div_zero 0
		.amdhsa_exception_fp_ieee_overflow 0
		.amdhsa_exception_fp_ieee_underflow 0
		.amdhsa_exception_fp_ieee_inexact 0
		.amdhsa_exception_int_div_zero 0
	.end_amdhsa_kernel
	.section	.text._ZN7rocprim17ROCPRIM_400000_NS6detail17trampoline_kernelINS0_14default_configENS1_21merge_config_selectorINS0_5tupleIJiiEEENS0_10empty_typeEEEZNS1_10merge_implIS3_NS0_12zip_iteratorINS5_IJN6thrust23THRUST_200600_302600_NS6detail15normal_iteratorINSC_10device_ptrIKiEEEESI_EEEEESK_NSA_INS5_IJNSE_INSF_IiEEEESM_EEEEEPS7_SP_SP_NSC_11hip_rocprim7__merge17predicate_wrapperIiiNSC_4lessIiEEEEEE10hipError_tPvRmT0_T1_T2_T3_T4_T5_mmT6_P12ihipStream_tbEUlT_E_NS1_11comp_targetILNS1_3genE10ELNS1_11target_archE1201ELNS1_3gpuE5ELNS1_3repE0EEENS1_30default_config_static_selectorELNS0_4arch9wavefront6targetE0EEEvS10_,"axG",@progbits,_ZN7rocprim17ROCPRIM_400000_NS6detail17trampoline_kernelINS0_14default_configENS1_21merge_config_selectorINS0_5tupleIJiiEEENS0_10empty_typeEEEZNS1_10merge_implIS3_NS0_12zip_iteratorINS5_IJN6thrust23THRUST_200600_302600_NS6detail15normal_iteratorINSC_10device_ptrIKiEEEESI_EEEEESK_NSA_INS5_IJNSE_INSF_IiEEEESM_EEEEEPS7_SP_SP_NSC_11hip_rocprim7__merge17predicate_wrapperIiiNSC_4lessIiEEEEEE10hipError_tPvRmT0_T1_T2_T3_T4_T5_mmT6_P12ihipStream_tbEUlT_E_NS1_11comp_targetILNS1_3genE10ELNS1_11target_archE1201ELNS1_3gpuE5ELNS1_3repE0EEENS1_30default_config_static_selectorELNS0_4arch9wavefront6targetE0EEEvS10_,comdat
.Lfunc_end248:
	.size	_ZN7rocprim17ROCPRIM_400000_NS6detail17trampoline_kernelINS0_14default_configENS1_21merge_config_selectorINS0_5tupleIJiiEEENS0_10empty_typeEEEZNS1_10merge_implIS3_NS0_12zip_iteratorINS5_IJN6thrust23THRUST_200600_302600_NS6detail15normal_iteratorINSC_10device_ptrIKiEEEESI_EEEEESK_NSA_INS5_IJNSE_INSF_IiEEEESM_EEEEEPS7_SP_SP_NSC_11hip_rocprim7__merge17predicate_wrapperIiiNSC_4lessIiEEEEEE10hipError_tPvRmT0_T1_T2_T3_T4_T5_mmT6_P12ihipStream_tbEUlT_E_NS1_11comp_targetILNS1_3genE10ELNS1_11target_archE1201ELNS1_3gpuE5ELNS1_3repE0EEENS1_30default_config_static_selectorELNS0_4arch9wavefront6targetE0EEEvS10_, .Lfunc_end248-_ZN7rocprim17ROCPRIM_400000_NS6detail17trampoline_kernelINS0_14default_configENS1_21merge_config_selectorINS0_5tupleIJiiEEENS0_10empty_typeEEEZNS1_10merge_implIS3_NS0_12zip_iteratorINS5_IJN6thrust23THRUST_200600_302600_NS6detail15normal_iteratorINSC_10device_ptrIKiEEEESI_EEEEESK_NSA_INS5_IJNSE_INSF_IiEEEESM_EEEEEPS7_SP_SP_NSC_11hip_rocprim7__merge17predicate_wrapperIiiNSC_4lessIiEEEEEE10hipError_tPvRmT0_T1_T2_T3_T4_T5_mmT6_P12ihipStream_tbEUlT_E_NS1_11comp_targetILNS1_3genE10ELNS1_11target_archE1201ELNS1_3gpuE5ELNS1_3repE0EEENS1_30default_config_static_selectorELNS0_4arch9wavefront6targetE0EEEvS10_
                                        ; -- End function
	.set _ZN7rocprim17ROCPRIM_400000_NS6detail17trampoline_kernelINS0_14default_configENS1_21merge_config_selectorINS0_5tupleIJiiEEENS0_10empty_typeEEEZNS1_10merge_implIS3_NS0_12zip_iteratorINS5_IJN6thrust23THRUST_200600_302600_NS6detail15normal_iteratorINSC_10device_ptrIKiEEEESI_EEEEESK_NSA_INS5_IJNSE_INSF_IiEEEESM_EEEEEPS7_SP_SP_NSC_11hip_rocprim7__merge17predicate_wrapperIiiNSC_4lessIiEEEEEE10hipError_tPvRmT0_T1_T2_T3_T4_T5_mmT6_P12ihipStream_tbEUlT_E_NS1_11comp_targetILNS1_3genE10ELNS1_11target_archE1201ELNS1_3gpuE5ELNS1_3repE0EEENS1_30default_config_static_selectorELNS0_4arch9wavefront6targetE0EEEvS10_.num_vgpr, 0
	.set _ZN7rocprim17ROCPRIM_400000_NS6detail17trampoline_kernelINS0_14default_configENS1_21merge_config_selectorINS0_5tupleIJiiEEENS0_10empty_typeEEEZNS1_10merge_implIS3_NS0_12zip_iteratorINS5_IJN6thrust23THRUST_200600_302600_NS6detail15normal_iteratorINSC_10device_ptrIKiEEEESI_EEEEESK_NSA_INS5_IJNSE_INSF_IiEEEESM_EEEEEPS7_SP_SP_NSC_11hip_rocprim7__merge17predicate_wrapperIiiNSC_4lessIiEEEEEE10hipError_tPvRmT0_T1_T2_T3_T4_T5_mmT6_P12ihipStream_tbEUlT_E_NS1_11comp_targetILNS1_3genE10ELNS1_11target_archE1201ELNS1_3gpuE5ELNS1_3repE0EEENS1_30default_config_static_selectorELNS0_4arch9wavefront6targetE0EEEvS10_.num_agpr, 0
	.set _ZN7rocprim17ROCPRIM_400000_NS6detail17trampoline_kernelINS0_14default_configENS1_21merge_config_selectorINS0_5tupleIJiiEEENS0_10empty_typeEEEZNS1_10merge_implIS3_NS0_12zip_iteratorINS5_IJN6thrust23THRUST_200600_302600_NS6detail15normal_iteratorINSC_10device_ptrIKiEEEESI_EEEEESK_NSA_INS5_IJNSE_INSF_IiEEEESM_EEEEEPS7_SP_SP_NSC_11hip_rocprim7__merge17predicate_wrapperIiiNSC_4lessIiEEEEEE10hipError_tPvRmT0_T1_T2_T3_T4_T5_mmT6_P12ihipStream_tbEUlT_E_NS1_11comp_targetILNS1_3genE10ELNS1_11target_archE1201ELNS1_3gpuE5ELNS1_3repE0EEENS1_30default_config_static_selectorELNS0_4arch9wavefront6targetE0EEEvS10_.numbered_sgpr, 0
	.set _ZN7rocprim17ROCPRIM_400000_NS6detail17trampoline_kernelINS0_14default_configENS1_21merge_config_selectorINS0_5tupleIJiiEEENS0_10empty_typeEEEZNS1_10merge_implIS3_NS0_12zip_iteratorINS5_IJN6thrust23THRUST_200600_302600_NS6detail15normal_iteratorINSC_10device_ptrIKiEEEESI_EEEEESK_NSA_INS5_IJNSE_INSF_IiEEEESM_EEEEEPS7_SP_SP_NSC_11hip_rocprim7__merge17predicate_wrapperIiiNSC_4lessIiEEEEEE10hipError_tPvRmT0_T1_T2_T3_T4_T5_mmT6_P12ihipStream_tbEUlT_E_NS1_11comp_targetILNS1_3genE10ELNS1_11target_archE1201ELNS1_3gpuE5ELNS1_3repE0EEENS1_30default_config_static_selectorELNS0_4arch9wavefront6targetE0EEEvS10_.num_named_barrier, 0
	.set _ZN7rocprim17ROCPRIM_400000_NS6detail17trampoline_kernelINS0_14default_configENS1_21merge_config_selectorINS0_5tupleIJiiEEENS0_10empty_typeEEEZNS1_10merge_implIS3_NS0_12zip_iteratorINS5_IJN6thrust23THRUST_200600_302600_NS6detail15normal_iteratorINSC_10device_ptrIKiEEEESI_EEEEESK_NSA_INS5_IJNSE_INSF_IiEEEESM_EEEEEPS7_SP_SP_NSC_11hip_rocprim7__merge17predicate_wrapperIiiNSC_4lessIiEEEEEE10hipError_tPvRmT0_T1_T2_T3_T4_T5_mmT6_P12ihipStream_tbEUlT_E_NS1_11comp_targetILNS1_3genE10ELNS1_11target_archE1201ELNS1_3gpuE5ELNS1_3repE0EEENS1_30default_config_static_selectorELNS0_4arch9wavefront6targetE0EEEvS10_.private_seg_size, 0
	.set _ZN7rocprim17ROCPRIM_400000_NS6detail17trampoline_kernelINS0_14default_configENS1_21merge_config_selectorINS0_5tupleIJiiEEENS0_10empty_typeEEEZNS1_10merge_implIS3_NS0_12zip_iteratorINS5_IJN6thrust23THRUST_200600_302600_NS6detail15normal_iteratorINSC_10device_ptrIKiEEEESI_EEEEESK_NSA_INS5_IJNSE_INSF_IiEEEESM_EEEEEPS7_SP_SP_NSC_11hip_rocprim7__merge17predicate_wrapperIiiNSC_4lessIiEEEEEE10hipError_tPvRmT0_T1_T2_T3_T4_T5_mmT6_P12ihipStream_tbEUlT_E_NS1_11comp_targetILNS1_3genE10ELNS1_11target_archE1201ELNS1_3gpuE5ELNS1_3repE0EEENS1_30default_config_static_selectorELNS0_4arch9wavefront6targetE0EEEvS10_.uses_vcc, 0
	.set _ZN7rocprim17ROCPRIM_400000_NS6detail17trampoline_kernelINS0_14default_configENS1_21merge_config_selectorINS0_5tupleIJiiEEENS0_10empty_typeEEEZNS1_10merge_implIS3_NS0_12zip_iteratorINS5_IJN6thrust23THRUST_200600_302600_NS6detail15normal_iteratorINSC_10device_ptrIKiEEEESI_EEEEESK_NSA_INS5_IJNSE_INSF_IiEEEESM_EEEEEPS7_SP_SP_NSC_11hip_rocprim7__merge17predicate_wrapperIiiNSC_4lessIiEEEEEE10hipError_tPvRmT0_T1_T2_T3_T4_T5_mmT6_P12ihipStream_tbEUlT_E_NS1_11comp_targetILNS1_3genE10ELNS1_11target_archE1201ELNS1_3gpuE5ELNS1_3repE0EEENS1_30default_config_static_selectorELNS0_4arch9wavefront6targetE0EEEvS10_.uses_flat_scratch, 0
	.set _ZN7rocprim17ROCPRIM_400000_NS6detail17trampoline_kernelINS0_14default_configENS1_21merge_config_selectorINS0_5tupleIJiiEEENS0_10empty_typeEEEZNS1_10merge_implIS3_NS0_12zip_iteratorINS5_IJN6thrust23THRUST_200600_302600_NS6detail15normal_iteratorINSC_10device_ptrIKiEEEESI_EEEEESK_NSA_INS5_IJNSE_INSF_IiEEEESM_EEEEEPS7_SP_SP_NSC_11hip_rocprim7__merge17predicate_wrapperIiiNSC_4lessIiEEEEEE10hipError_tPvRmT0_T1_T2_T3_T4_T5_mmT6_P12ihipStream_tbEUlT_E_NS1_11comp_targetILNS1_3genE10ELNS1_11target_archE1201ELNS1_3gpuE5ELNS1_3repE0EEENS1_30default_config_static_selectorELNS0_4arch9wavefront6targetE0EEEvS10_.has_dyn_sized_stack, 0
	.set _ZN7rocprim17ROCPRIM_400000_NS6detail17trampoline_kernelINS0_14default_configENS1_21merge_config_selectorINS0_5tupleIJiiEEENS0_10empty_typeEEEZNS1_10merge_implIS3_NS0_12zip_iteratorINS5_IJN6thrust23THRUST_200600_302600_NS6detail15normal_iteratorINSC_10device_ptrIKiEEEESI_EEEEESK_NSA_INS5_IJNSE_INSF_IiEEEESM_EEEEEPS7_SP_SP_NSC_11hip_rocprim7__merge17predicate_wrapperIiiNSC_4lessIiEEEEEE10hipError_tPvRmT0_T1_T2_T3_T4_T5_mmT6_P12ihipStream_tbEUlT_E_NS1_11comp_targetILNS1_3genE10ELNS1_11target_archE1201ELNS1_3gpuE5ELNS1_3repE0EEENS1_30default_config_static_selectorELNS0_4arch9wavefront6targetE0EEEvS10_.has_recursion, 0
	.set _ZN7rocprim17ROCPRIM_400000_NS6detail17trampoline_kernelINS0_14default_configENS1_21merge_config_selectorINS0_5tupleIJiiEEENS0_10empty_typeEEEZNS1_10merge_implIS3_NS0_12zip_iteratorINS5_IJN6thrust23THRUST_200600_302600_NS6detail15normal_iteratorINSC_10device_ptrIKiEEEESI_EEEEESK_NSA_INS5_IJNSE_INSF_IiEEEESM_EEEEEPS7_SP_SP_NSC_11hip_rocprim7__merge17predicate_wrapperIiiNSC_4lessIiEEEEEE10hipError_tPvRmT0_T1_T2_T3_T4_T5_mmT6_P12ihipStream_tbEUlT_E_NS1_11comp_targetILNS1_3genE10ELNS1_11target_archE1201ELNS1_3gpuE5ELNS1_3repE0EEENS1_30default_config_static_selectorELNS0_4arch9wavefront6targetE0EEEvS10_.has_indirect_call, 0
	.section	.AMDGPU.csdata,"",@progbits
; Kernel info:
; codeLenInByte = 0
; TotalNumSgprs: 0
; NumVgprs: 0
; ScratchSize: 0
; MemoryBound: 0
; FloatMode: 240
; IeeeMode: 1
; LDSByteSize: 0 bytes/workgroup (compile time only)
; SGPRBlocks: 0
; VGPRBlocks: 0
; NumSGPRsForWavesPerEU: 1
; NumVGPRsForWavesPerEU: 1
; Occupancy: 16
; WaveLimiterHint : 0
; COMPUTE_PGM_RSRC2:SCRATCH_EN: 0
; COMPUTE_PGM_RSRC2:USER_SGPR: 6
; COMPUTE_PGM_RSRC2:TRAP_HANDLER: 0
; COMPUTE_PGM_RSRC2:TGID_X_EN: 1
; COMPUTE_PGM_RSRC2:TGID_Y_EN: 0
; COMPUTE_PGM_RSRC2:TGID_Z_EN: 0
; COMPUTE_PGM_RSRC2:TIDIG_COMP_CNT: 0
	.section	.text._ZN7rocprim17ROCPRIM_400000_NS6detail17trampoline_kernelINS0_14default_configENS1_21merge_config_selectorINS0_5tupleIJiiEEENS0_10empty_typeEEEZNS1_10merge_implIS3_NS0_12zip_iteratorINS5_IJN6thrust23THRUST_200600_302600_NS6detail15normal_iteratorINSC_10device_ptrIKiEEEESI_EEEEESK_NSA_INS5_IJNSE_INSF_IiEEEESM_EEEEEPS7_SP_SP_NSC_11hip_rocprim7__merge17predicate_wrapperIiiNSC_4lessIiEEEEEE10hipError_tPvRmT0_T1_T2_T3_T4_T5_mmT6_P12ihipStream_tbEUlT_E_NS1_11comp_targetILNS1_3genE10ELNS1_11target_archE1200ELNS1_3gpuE4ELNS1_3repE0EEENS1_30default_config_static_selectorELNS0_4arch9wavefront6targetE0EEEvS10_,"axG",@progbits,_ZN7rocprim17ROCPRIM_400000_NS6detail17trampoline_kernelINS0_14default_configENS1_21merge_config_selectorINS0_5tupleIJiiEEENS0_10empty_typeEEEZNS1_10merge_implIS3_NS0_12zip_iteratorINS5_IJN6thrust23THRUST_200600_302600_NS6detail15normal_iteratorINSC_10device_ptrIKiEEEESI_EEEEESK_NSA_INS5_IJNSE_INSF_IiEEEESM_EEEEEPS7_SP_SP_NSC_11hip_rocprim7__merge17predicate_wrapperIiiNSC_4lessIiEEEEEE10hipError_tPvRmT0_T1_T2_T3_T4_T5_mmT6_P12ihipStream_tbEUlT_E_NS1_11comp_targetILNS1_3genE10ELNS1_11target_archE1200ELNS1_3gpuE4ELNS1_3repE0EEENS1_30default_config_static_selectorELNS0_4arch9wavefront6targetE0EEEvS10_,comdat
	.protected	_ZN7rocprim17ROCPRIM_400000_NS6detail17trampoline_kernelINS0_14default_configENS1_21merge_config_selectorINS0_5tupleIJiiEEENS0_10empty_typeEEEZNS1_10merge_implIS3_NS0_12zip_iteratorINS5_IJN6thrust23THRUST_200600_302600_NS6detail15normal_iteratorINSC_10device_ptrIKiEEEESI_EEEEESK_NSA_INS5_IJNSE_INSF_IiEEEESM_EEEEEPS7_SP_SP_NSC_11hip_rocprim7__merge17predicate_wrapperIiiNSC_4lessIiEEEEEE10hipError_tPvRmT0_T1_T2_T3_T4_T5_mmT6_P12ihipStream_tbEUlT_E_NS1_11comp_targetILNS1_3genE10ELNS1_11target_archE1200ELNS1_3gpuE4ELNS1_3repE0EEENS1_30default_config_static_selectorELNS0_4arch9wavefront6targetE0EEEvS10_ ; -- Begin function _ZN7rocprim17ROCPRIM_400000_NS6detail17trampoline_kernelINS0_14default_configENS1_21merge_config_selectorINS0_5tupleIJiiEEENS0_10empty_typeEEEZNS1_10merge_implIS3_NS0_12zip_iteratorINS5_IJN6thrust23THRUST_200600_302600_NS6detail15normal_iteratorINSC_10device_ptrIKiEEEESI_EEEEESK_NSA_INS5_IJNSE_INSF_IiEEEESM_EEEEEPS7_SP_SP_NSC_11hip_rocprim7__merge17predicate_wrapperIiiNSC_4lessIiEEEEEE10hipError_tPvRmT0_T1_T2_T3_T4_T5_mmT6_P12ihipStream_tbEUlT_E_NS1_11comp_targetILNS1_3genE10ELNS1_11target_archE1200ELNS1_3gpuE4ELNS1_3repE0EEENS1_30default_config_static_selectorELNS0_4arch9wavefront6targetE0EEEvS10_
	.globl	_ZN7rocprim17ROCPRIM_400000_NS6detail17trampoline_kernelINS0_14default_configENS1_21merge_config_selectorINS0_5tupleIJiiEEENS0_10empty_typeEEEZNS1_10merge_implIS3_NS0_12zip_iteratorINS5_IJN6thrust23THRUST_200600_302600_NS6detail15normal_iteratorINSC_10device_ptrIKiEEEESI_EEEEESK_NSA_INS5_IJNSE_INSF_IiEEEESM_EEEEEPS7_SP_SP_NSC_11hip_rocprim7__merge17predicate_wrapperIiiNSC_4lessIiEEEEEE10hipError_tPvRmT0_T1_T2_T3_T4_T5_mmT6_P12ihipStream_tbEUlT_E_NS1_11comp_targetILNS1_3genE10ELNS1_11target_archE1200ELNS1_3gpuE4ELNS1_3repE0EEENS1_30default_config_static_selectorELNS0_4arch9wavefront6targetE0EEEvS10_
	.p2align	8
	.type	_ZN7rocprim17ROCPRIM_400000_NS6detail17trampoline_kernelINS0_14default_configENS1_21merge_config_selectorINS0_5tupleIJiiEEENS0_10empty_typeEEEZNS1_10merge_implIS3_NS0_12zip_iteratorINS5_IJN6thrust23THRUST_200600_302600_NS6detail15normal_iteratorINSC_10device_ptrIKiEEEESI_EEEEESK_NSA_INS5_IJNSE_INSF_IiEEEESM_EEEEEPS7_SP_SP_NSC_11hip_rocprim7__merge17predicate_wrapperIiiNSC_4lessIiEEEEEE10hipError_tPvRmT0_T1_T2_T3_T4_T5_mmT6_P12ihipStream_tbEUlT_E_NS1_11comp_targetILNS1_3genE10ELNS1_11target_archE1200ELNS1_3gpuE4ELNS1_3repE0EEENS1_30default_config_static_selectorELNS0_4arch9wavefront6targetE0EEEvS10_,@function
_ZN7rocprim17ROCPRIM_400000_NS6detail17trampoline_kernelINS0_14default_configENS1_21merge_config_selectorINS0_5tupleIJiiEEENS0_10empty_typeEEEZNS1_10merge_implIS3_NS0_12zip_iteratorINS5_IJN6thrust23THRUST_200600_302600_NS6detail15normal_iteratorINSC_10device_ptrIKiEEEESI_EEEEESK_NSA_INS5_IJNSE_INSF_IiEEEESM_EEEEEPS7_SP_SP_NSC_11hip_rocprim7__merge17predicate_wrapperIiiNSC_4lessIiEEEEEE10hipError_tPvRmT0_T1_T2_T3_T4_T5_mmT6_P12ihipStream_tbEUlT_E_NS1_11comp_targetILNS1_3genE10ELNS1_11target_archE1200ELNS1_3gpuE4ELNS1_3repE0EEENS1_30default_config_static_selectorELNS0_4arch9wavefront6targetE0EEEvS10_: ; @_ZN7rocprim17ROCPRIM_400000_NS6detail17trampoline_kernelINS0_14default_configENS1_21merge_config_selectorINS0_5tupleIJiiEEENS0_10empty_typeEEEZNS1_10merge_implIS3_NS0_12zip_iteratorINS5_IJN6thrust23THRUST_200600_302600_NS6detail15normal_iteratorINSC_10device_ptrIKiEEEESI_EEEEESK_NSA_INS5_IJNSE_INSF_IiEEEESM_EEEEEPS7_SP_SP_NSC_11hip_rocprim7__merge17predicate_wrapperIiiNSC_4lessIiEEEEEE10hipError_tPvRmT0_T1_T2_T3_T4_T5_mmT6_P12ihipStream_tbEUlT_E_NS1_11comp_targetILNS1_3genE10ELNS1_11target_archE1200ELNS1_3gpuE4ELNS1_3repE0EEENS1_30default_config_static_selectorELNS0_4arch9wavefront6targetE0EEEvS10_
; %bb.0:
	.section	.rodata,"a",@progbits
	.p2align	6, 0x0
	.amdhsa_kernel _ZN7rocprim17ROCPRIM_400000_NS6detail17trampoline_kernelINS0_14default_configENS1_21merge_config_selectorINS0_5tupleIJiiEEENS0_10empty_typeEEEZNS1_10merge_implIS3_NS0_12zip_iteratorINS5_IJN6thrust23THRUST_200600_302600_NS6detail15normal_iteratorINSC_10device_ptrIKiEEEESI_EEEEESK_NSA_INS5_IJNSE_INSF_IiEEEESM_EEEEEPS7_SP_SP_NSC_11hip_rocprim7__merge17predicate_wrapperIiiNSC_4lessIiEEEEEE10hipError_tPvRmT0_T1_T2_T3_T4_T5_mmT6_P12ihipStream_tbEUlT_E_NS1_11comp_targetILNS1_3genE10ELNS1_11target_archE1200ELNS1_3gpuE4ELNS1_3repE0EEENS1_30default_config_static_selectorELNS0_4arch9wavefront6targetE0EEEvS10_
		.amdhsa_group_segment_fixed_size 0
		.amdhsa_private_segment_fixed_size 0
		.amdhsa_kernarg_size 64
		.amdhsa_user_sgpr_count 6
		.amdhsa_user_sgpr_private_segment_buffer 1
		.amdhsa_user_sgpr_dispatch_ptr 0
		.amdhsa_user_sgpr_queue_ptr 0
		.amdhsa_user_sgpr_kernarg_segment_ptr 1
		.amdhsa_user_sgpr_dispatch_id 0
		.amdhsa_user_sgpr_flat_scratch_init 0
		.amdhsa_user_sgpr_private_segment_size 0
		.amdhsa_wavefront_size32 1
		.amdhsa_uses_dynamic_stack 0
		.amdhsa_system_sgpr_private_segment_wavefront_offset 0
		.amdhsa_system_sgpr_workgroup_id_x 1
		.amdhsa_system_sgpr_workgroup_id_y 0
		.amdhsa_system_sgpr_workgroup_id_z 0
		.amdhsa_system_sgpr_workgroup_info 0
		.amdhsa_system_vgpr_workitem_id 0
		.amdhsa_next_free_vgpr 1
		.amdhsa_next_free_sgpr 1
		.amdhsa_reserve_vcc 0
		.amdhsa_reserve_flat_scratch 0
		.amdhsa_float_round_mode_32 0
		.amdhsa_float_round_mode_16_64 0
		.amdhsa_float_denorm_mode_32 3
		.amdhsa_float_denorm_mode_16_64 3
		.amdhsa_dx10_clamp 1
		.amdhsa_ieee_mode 1
		.amdhsa_fp16_overflow 0
		.amdhsa_workgroup_processor_mode 1
		.amdhsa_memory_ordered 1
		.amdhsa_forward_progress 1
		.amdhsa_shared_vgpr_count 0
		.amdhsa_exception_fp_ieee_invalid_op 0
		.amdhsa_exception_fp_denorm_src 0
		.amdhsa_exception_fp_ieee_div_zero 0
		.amdhsa_exception_fp_ieee_overflow 0
		.amdhsa_exception_fp_ieee_underflow 0
		.amdhsa_exception_fp_ieee_inexact 0
		.amdhsa_exception_int_div_zero 0
	.end_amdhsa_kernel
	.section	.text._ZN7rocprim17ROCPRIM_400000_NS6detail17trampoline_kernelINS0_14default_configENS1_21merge_config_selectorINS0_5tupleIJiiEEENS0_10empty_typeEEEZNS1_10merge_implIS3_NS0_12zip_iteratorINS5_IJN6thrust23THRUST_200600_302600_NS6detail15normal_iteratorINSC_10device_ptrIKiEEEESI_EEEEESK_NSA_INS5_IJNSE_INSF_IiEEEESM_EEEEEPS7_SP_SP_NSC_11hip_rocprim7__merge17predicate_wrapperIiiNSC_4lessIiEEEEEE10hipError_tPvRmT0_T1_T2_T3_T4_T5_mmT6_P12ihipStream_tbEUlT_E_NS1_11comp_targetILNS1_3genE10ELNS1_11target_archE1200ELNS1_3gpuE4ELNS1_3repE0EEENS1_30default_config_static_selectorELNS0_4arch9wavefront6targetE0EEEvS10_,"axG",@progbits,_ZN7rocprim17ROCPRIM_400000_NS6detail17trampoline_kernelINS0_14default_configENS1_21merge_config_selectorINS0_5tupleIJiiEEENS0_10empty_typeEEEZNS1_10merge_implIS3_NS0_12zip_iteratorINS5_IJN6thrust23THRUST_200600_302600_NS6detail15normal_iteratorINSC_10device_ptrIKiEEEESI_EEEEESK_NSA_INS5_IJNSE_INSF_IiEEEESM_EEEEEPS7_SP_SP_NSC_11hip_rocprim7__merge17predicate_wrapperIiiNSC_4lessIiEEEEEE10hipError_tPvRmT0_T1_T2_T3_T4_T5_mmT6_P12ihipStream_tbEUlT_E_NS1_11comp_targetILNS1_3genE10ELNS1_11target_archE1200ELNS1_3gpuE4ELNS1_3repE0EEENS1_30default_config_static_selectorELNS0_4arch9wavefront6targetE0EEEvS10_,comdat
.Lfunc_end249:
	.size	_ZN7rocprim17ROCPRIM_400000_NS6detail17trampoline_kernelINS0_14default_configENS1_21merge_config_selectorINS0_5tupleIJiiEEENS0_10empty_typeEEEZNS1_10merge_implIS3_NS0_12zip_iteratorINS5_IJN6thrust23THRUST_200600_302600_NS6detail15normal_iteratorINSC_10device_ptrIKiEEEESI_EEEEESK_NSA_INS5_IJNSE_INSF_IiEEEESM_EEEEEPS7_SP_SP_NSC_11hip_rocprim7__merge17predicate_wrapperIiiNSC_4lessIiEEEEEE10hipError_tPvRmT0_T1_T2_T3_T4_T5_mmT6_P12ihipStream_tbEUlT_E_NS1_11comp_targetILNS1_3genE10ELNS1_11target_archE1200ELNS1_3gpuE4ELNS1_3repE0EEENS1_30default_config_static_selectorELNS0_4arch9wavefront6targetE0EEEvS10_, .Lfunc_end249-_ZN7rocprim17ROCPRIM_400000_NS6detail17trampoline_kernelINS0_14default_configENS1_21merge_config_selectorINS0_5tupleIJiiEEENS0_10empty_typeEEEZNS1_10merge_implIS3_NS0_12zip_iteratorINS5_IJN6thrust23THRUST_200600_302600_NS6detail15normal_iteratorINSC_10device_ptrIKiEEEESI_EEEEESK_NSA_INS5_IJNSE_INSF_IiEEEESM_EEEEEPS7_SP_SP_NSC_11hip_rocprim7__merge17predicate_wrapperIiiNSC_4lessIiEEEEEE10hipError_tPvRmT0_T1_T2_T3_T4_T5_mmT6_P12ihipStream_tbEUlT_E_NS1_11comp_targetILNS1_3genE10ELNS1_11target_archE1200ELNS1_3gpuE4ELNS1_3repE0EEENS1_30default_config_static_selectorELNS0_4arch9wavefront6targetE0EEEvS10_
                                        ; -- End function
	.set _ZN7rocprim17ROCPRIM_400000_NS6detail17trampoline_kernelINS0_14default_configENS1_21merge_config_selectorINS0_5tupleIJiiEEENS0_10empty_typeEEEZNS1_10merge_implIS3_NS0_12zip_iteratorINS5_IJN6thrust23THRUST_200600_302600_NS6detail15normal_iteratorINSC_10device_ptrIKiEEEESI_EEEEESK_NSA_INS5_IJNSE_INSF_IiEEEESM_EEEEEPS7_SP_SP_NSC_11hip_rocprim7__merge17predicate_wrapperIiiNSC_4lessIiEEEEEE10hipError_tPvRmT0_T1_T2_T3_T4_T5_mmT6_P12ihipStream_tbEUlT_E_NS1_11comp_targetILNS1_3genE10ELNS1_11target_archE1200ELNS1_3gpuE4ELNS1_3repE0EEENS1_30default_config_static_selectorELNS0_4arch9wavefront6targetE0EEEvS10_.num_vgpr, 0
	.set _ZN7rocprim17ROCPRIM_400000_NS6detail17trampoline_kernelINS0_14default_configENS1_21merge_config_selectorINS0_5tupleIJiiEEENS0_10empty_typeEEEZNS1_10merge_implIS3_NS0_12zip_iteratorINS5_IJN6thrust23THRUST_200600_302600_NS6detail15normal_iteratorINSC_10device_ptrIKiEEEESI_EEEEESK_NSA_INS5_IJNSE_INSF_IiEEEESM_EEEEEPS7_SP_SP_NSC_11hip_rocprim7__merge17predicate_wrapperIiiNSC_4lessIiEEEEEE10hipError_tPvRmT0_T1_T2_T3_T4_T5_mmT6_P12ihipStream_tbEUlT_E_NS1_11comp_targetILNS1_3genE10ELNS1_11target_archE1200ELNS1_3gpuE4ELNS1_3repE0EEENS1_30default_config_static_selectorELNS0_4arch9wavefront6targetE0EEEvS10_.num_agpr, 0
	.set _ZN7rocprim17ROCPRIM_400000_NS6detail17trampoline_kernelINS0_14default_configENS1_21merge_config_selectorINS0_5tupleIJiiEEENS0_10empty_typeEEEZNS1_10merge_implIS3_NS0_12zip_iteratorINS5_IJN6thrust23THRUST_200600_302600_NS6detail15normal_iteratorINSC_10device_ptrIKiEEEESI_EEEEESK_NSA_INS5_IJNSE_INSF_IiEEEESM_EEEEEPS7_SP_SP_NSC_11hip_rocprim7__merge17predicate_wrapperIiiNSC_4lessIiEEEEEE10hipError_tPvRmT0_T1_T2_T3_T4_T5_mmT6_P12ihipStream_tbEUlT_E_NS1_11comp_targetILNS1_3genE10ELNS1_11target_archE1200ELNS1_3gpuE4ELNS1_3repE0EEENS1_30default_config_static_selectorELNS0_4arch9wavefront6targetE0EEEvS10_.numbered_sgpr, 0
	.set _ZN7rocprim17ROCPRIM_400000_NS6detail17trampoline_kernelINS0_14default_configENS1_21merge_config_selectorINS0_5tupleIJiiEEENS0_10empty_typeEEEZNS1_10merge_implIS3_NS0_12zip_iteratorINS5_IJN6thrust23THRUST_200600_302600_NS6detail15normal_iteratorINSC_10device_ptrIKiEEEESI_EEEEESK_NSA_INS5_IJNSE_INSF_IiEEEESM_EEEEEPS7_SP_SP_NSC_11hip_rocprim7__merge17predicate_wrapperIiiNSC_4lessIiEEEEEE10hipError_tPvRmT0_T1_T2_T3_T4_T5_mmT6_P12ihipStream_tbEUlT_E_NS1_11comp_targetILNS1_3genE10ELNS1_11target_archE1200ELNS1_3gpuE4ELNS1_3repE0EEENS1_30default_config_static_selectorELNS0_4arch9wavefront6targetE0EEEvS10_.num_named_barrier, 0
	.set _ZN7rocprim17ROCPRIM_400000_NS6detail17trampoline_kernelINS0_14default_configENS1_21merge_config_selectorINS0_5tupleIJiiEEENS0_10empty_typeEEEZNS1_10merge_implIS3_NS0_12zip_iteratorINS5_IJN6thrust23THRUST_200600_302600_NS6detail15normal_iteratorINSC_10device_ptrIKiEEEESI_EEEEESK_NSA_INS5_IJNSE_INSF_IiEEEESM_EEEEEPS7_SP_SP_NSC_11hip_rocprim7__merge17predicate_wrapperIiiNSC_4lessIiEEEEEE10hipError_tPvRmT0_T1_T2_T3_T4_T5_mmT6_P12ihipStream_tbEUlT_E_NS1_11comp_targetILNS1_3genE10ELNS1_11target_archE1200ELNS1_3gpuE4ELNS1_3repE0EEENS1_30default_config_static_selectorELNS0_4arch9wavefront6targetE0EEEvS10_.private_seg_size, 0
	.set _ZN7rocprim17ROCPRIM_400000_NS6detail17trampoline_kernelINS0_14default_configENS1_21merge_config_selectorINS0_5tupleIJiiEEENS0_10empty_typeEEEZNS1_10merge_implIS3_NS0_12zip_iteratorINS5_IJN6thrust23THRUST_200600_302600_NS6detail15normal_iteratorINSC_10device_ptrIKiEEEESI_EEEEESK_NSA_INS5_IJNSE_INSF_IiEEEESM_EEEEEPS7_SP_SP_NSC_11hip_rocprim7__merge17predicate_wrapperIiiNSC_4lessIiEEEEEE10hipError_tPvRmT0_T1_T2_T3_T4_T5_mmT6_P12ihipStream_tbEUlT_E_NS1_11comp_targetILNS1_3genE10ELNS1_11target_archE1200ELNS1_3gpuE4ELNS1_3repE0EEENS1_30default_config_static_selectorELNS0_4arch9wavefront6targetE0EEEvS10_.uses_vcc, 0
	.set _ZN7rocprim17ROCPRIM_400000_NS6detail17trampoline_kernelINS0_14default_configENS1_21merge_config_selectorINS0_5tupleIJiiEEENS0_10empty_typeEEEZNS1_10merge_implIS3_NS0_12zip_iteratorINS5_IJN6thrust23THRUST_200600_302600_NS6detail15normal_iteratorINSC_10device_ptrIKiEEEESI_EEEEESK_NSA_INS5_IJNSE_INSF_IiEEEESM_EEEEEPS7_SP_SP_NSC_11hip_rocprim7__merge17predicate_wrapperIiiNSC_4lessIiEEEEEE10hipError_tPvRmT0_T1_T2_T3_T4_T5_mmT6_P12ihipStream_tbEUlT_E_NS1_11comp_targetILNS1_3genE10ELNS1_11target_archE1200ELNS1_3gpuE4ELNS1_3repE0EEENS1_30default_config_static_selectorELNS0_4arch9wavefront6targetE0EEEvS10_.uses_flat_scratch, 0
	.set _ZN7rocprim17ROCPRIM_400000_NS6detail17trampoline_kernelINS0_14default_configENS1_21merge_config_selectorINS0_5tupleIJiiEEENS0_10empty_typeEEEZNS1_10merge_implIS3_NS0_12zip_iteratorINS5_IJN6thrust23THRUST_200600_302600_NS6detail15normal_iteratorINSC_10device_ptrIKiEEEESI_EEEEESK_NSA_INS5_IJNSE_INSF_IiEEEESM_EEEEEPS7_SP_SP_NSC_11hip_rocprim7__merge17predicate_wrapperIiiNSC_4lessIiEEEEEE10hipError_tPvRmT0_T1_T2_T3_T4_T5_mmT6_P12ihipStream_tbEUlT_E_NS1_11comp_targetILNS1_3genE10ELNS1_11target_archE1200ELNS1_3gpuE4ELNS1_3repE0EEENS1_30default_config_static_selectorELNS0_4arch9wavefront6targetE0EEEvS10_.has_dyn_sized_stack, 0
	.set _ZN7rocprim17ROCPRIM_400000_NS6detail17trampoline_kernelINS0_14default_configENS1_21merge_config_selectorINS0_5tupleIJiiEEENS0_10empty_typeEEEZNS1_10merge_implIS3_NS0_12zip_iteratorINS5_IJN6thrust23THRUST_200600_302600_NS6detail15normal_iteratorINSC_10device_ptrIKiEEEESI_EEEEESK_NSA_INS5_IJNSE_INSF_IiEEEESM_EEEEEPS7_SP_SP_NSC_11hip_rocprim7__merge17predicate_wrapperIiiNSC_4lessIiEEEEEE10hipError_tPvRmT0_T1_T2_T3_T4_T5_mmT6_P12ihipStream_tbEUlT_E_NS1_11comp_targetILNS1_3genE10ELNS1_11target_archE1200ELNS1_3gpuE4ELNS1_3repE0EEENS1_30default_config_static_selectorELNS0_4arch9wavefront6targetE0EEEvS10_.has_recursion, 0
	.set _ZN7rocprim17ROCPRIM_400000_NS6detail17trampoline_kernelINS0_14default_configENS1_21merge_config_selectorINS0_5tupleIJiiEEENS0_10empty_typeEEEZNS1_10merge_implIS3_NS0_12zip_iteratorINS5_IJN6thrust23THRUST_200600_302600_NS6detail15normal_iteratorINSC_10device_ptrIKiEEEESI_EEEEESK_NSA_INS5_IJNSE_INSF_IiEEEESM_EEEEEPS7_SP_SP_NSC_11hip_rocprim7__merge17predicate_wrapperIiiNSC_4lessIiEEEEEE10hipError_tPvRmT0_T1_T2_T3_T4_T5_mmT6_P12ihipStream_tbEUlT_E_NS1_11comp_targetILNS1_3genE10ELNS1_11target_archE1200ELNS1_3gpuE4ELNS1_3repE0EEENS1_30default_config_static_selectorELNS0_4arch9wavefront6targetE0EEEvS10_.has_indirect_call, 0
	.section	.AMDGPU.csdata,"",@progbits
; Kernel info:
; codeLenInByte = 0
; TotalNumSgprs: 0
; NumVgprs: 0
; ScratchSize: 0
; MemoryBound: 0
; FloatMode: 240
; IeeeMode: 1
; LDSByteSize: 0 bytes/workgroup (compile time only)
; SGPRBlocks: 0
; VGPRBlocks: 0
; NumSGPRsForWavesPerEU: 1
; NumVGPRsForWavesPerEU: 1
; Occupancy: 16
; WaveLimiterHint : 0
; COMPUTE_PGM_RSRC2:SCRATCH_EN: 0
; COMPUTE_PGM_RSRC2:USER_SGPR: 6
; COMPUTE_PGM_RSRC2:TRAP_HANDLER: 0
; COMPUTE_PGM_RSRC2:TGID_X_EN: 1
; COMPUTE_PGM_RSRC2:TGID_Y_EN: 0
; COMPUTE_PGM_RSRC2:TGID_Z_EN: 0
; COMPUTE_PGM_RSRC2:TIDIG_COMP_CNT: 0
	.section	.text._ZN7rocprim17ROCPRIM_400000_NS6detail17trampoline_kernelINS0_14default_configENS1_21merge_config_selectorINS0_5tupleIJiiEEENS0_10empty_typeEEEZNS1_10merge_implIS3_NS0_12zip_iteratorINS5_IJN6thrust23THRUST_200600_302600_NS6detail15normal_iteratorINSC_10device_ptrIKiEEEESI_EEEEESK_NSA_INS5_IJNSE_INSF_IiEEEESM_EEEEEPS7_SP_SP_NSC_11hip_rocprim7__merge17predicate_wrapperIiiNSC_4lessIiEEEEEE10hipError_tPvRmT0_T1_T2_T3_T4_T5_mmT6_P12ihipStream_tbEUlT_E_NS1_11comp_targetILNS1_3genE9ELNS1_11target_archE1100ELNS1_3gpuE3ELNS1_3repE0EEENS1_30default_config_static_selectorELNS0_4arch9wavefront6targetE0EEEvS10_,"axG",@progbits,_ZN7rocprim17ROCPRIM_400000_NS6detail17trampoline_kernelINS0_14default_configENS1_21merge_config_selectorINS0_5tupleIJiiEEENS0_10empty_typeEEEZNS1_10merge_implIS3_NS0_12zip_iteratorINS5_IJN6thrust23THRUST_200600_302600_NS6detail15normal_iteratorINSC_10device_ptrIKiEEEESI_EEEEESK_NSA_INS5_IJNSE_INSF_IiEEEESM_EEEEEPS7_SP_SP_NSC_11hip_rocprim7__merge17predicate_wrapperIiiNSC_4lessIiEEEEEE10hipError_tPvRmT0_T1_T2_T3_T4_T5_mmT6_P12ihipStream_tbEUlT_E_NS1_11comp_targetILNS1_3genE9ELNS1_11target_archE1100ELNS1_3gpuE3ELNS1_3repE0EEENS1_30default_config_static_selectorELNS0_4arch9wavefront6targetE0EEEvS10_,comdat
	.protected	_ZN7rocprim17ROCPRIM_400000_NS6detail17trampoline_kernelINS0_14default_configENS1_21merge_config_selectorINS0_5tupleIJiiEEENS0_10empty_typeEEEZNS1_10merge_implIS3_NS0_12zip_iteratorINS5_IJN6thrust23THRUST_200600_302600_NS6detail15normal_iteratorINSC_10device_ptrIKiEEEESI_EEEEESK_NSA_INS5_IJNSE_INSF_IiEEEESM_EEEEEPS7_SP_SP_NSC_11hip_rocprim7__merge17predicate_wrapperIiiNSC_4lessIiEEEEEE10hipError_tPvRmT0_T1_T2_T3_T4_T5_mmT6_P12ihipStream_tbEUlT_E_NS1_11comp_targetILNS1_3genE9ELNS1_11target_archE1100ELNS1_3gpuE3ELNS1_3repE0EEENS1_30default_config_static_selectorELNS0_4arch9wavefront6targetE0EEEvS10_ ; -- Begin function _ZN7rocprim17ROCPRIM_400000_NS6detail17trampoline_kernelINS0_14default_configENS1_21merge_config_selectorINS0_5tupleIJiiEEENS0_10empty_typeEEEZNS1_10merge_implIS3_NS0_12zip_iteratorINS5_IJN6thrust23THRUST_200600_302600_NS6detail15normal_iteratorINSC_10device_ptrIKiEEEESI_EEEEESK_NSA_INS5_IJNSE_INSF_IiEEEESM_EEEEEPS7_SP_SP_NSC_11hip_rocprim7__merge17predicate_wrapperIiiNSC_4lessIiEEEEEE10hipError_tPvRmT0_T1_T2_T3_T4_T5_mmT6_P12ihipStream_tbEUlT_E_NS1_11comp_targetILNS1_3genE9ELNS1_11target_archE1100ELNS1_3gpuE3ELNS1_3repE0EEENS1_30default_config_static_selectorELNS0_4arch9wavefront6targetE0EEEvS10_
	.globl	_ZN7rocprim17ROCPRIM_400000_NS6detail17trampoline_kernelINS0_14default_configENS1_21merge_config_selectorINS0_5tupleIJiiEEENS0_10empty_typeEEEZNS1_10merge_implIS3_NS0_12zip_iteratorINS5_IJN6thrust23THRUST_200600_302600_NS6detail15normal_iteratorINSC_10device_ptrIKiEEEESI_EEEEESK_NSA_INS5_IJNSE_INSF_IiEEEESM_EEEEEPS7_SP_SP_NSC_11hip_rocprim7__merge17predicate_wrapperIiiNSC_4lessIiEEEEEE10hipError_tPvRmT0_T1_T2_T3_T4_T5_mmT6_P12ihipStream_tbEUlT_E_NS1_11comp_targetILNS1_3genE9ELNS1_11target_archE1100ELNS1_3gpuE3ELNS1_3repE0EEENS1_30default_config_static_selectorELNS0_4arch9wavefront6targetE0EEEvS10_
	.p2align	8
	.type	_ZN7rocprim17ROCPRIM_400000_NS6detail17trampoline_kernelINS0_14default_configENS1_21merge_config_selectorINS0_5tupleIJiiEEENS0_10empty_typeEEEZNS1_10merge_implIS3_NS0_12zip_iteratorINS5_IJN6thrust23THRUST_200600_302600_NS6detail15normal_iteratorINSC_10device_ptrIKiEEEESI_EEEEESK_NSA_INS5_IJNSE_INSF_IiEEEESM_EEEEEPS7_SP_SP_NSC_11hip_rocprim7__merge17predicate_wrapperIiiNSC_4lessIiEEEEEE10hipError_tPvRmT0_T1_T2_T3_T4_T5_mmT6_P12ihipStream_tbEUlT_E_NS1_11comp_targetILNS1_3genE9ELNS1_11target_archE1100ELNS1_3gpuE3ELNS1_3repE0EEENS1_30default_config_static_selectorELNS0_4arch9wavefront6targetE0EEEvS10_,@function
_ZN7rocprim17ROCPRIM_400000_NS6detail17trampoline_kernelINS0_14default_configENS1_21merge_config_selectorINS0_5tupleIJiiEEENS0_10empty_typeEEEZNS1_10merge_implIS3_NS0_12zip_iteratorINS5_IJN6thrust23THRUST_200600_302600_NS6detail15normal_iteratorINSC_10device_ptrIKiEEEESI_EEEEESK_NSA_INS5_IJNSE_INSF_IiEEEESM_EEEEEPS7_SP_SP_NSC_11hip_rocprim7__merge17predicate_wrapperIiiNSC_4lessIiEEEEEE10hipError_tPvRmT0_T1_T2_T3_T4_T5_mmT6_P12ihipStream_tbEUlT_E_NS1_11comp_targetILNS1_3genE9ELNS1_11target_archE1100ELNS1_3gpuE3ELNS1_3repE0EEENS1_30default_config_static_selectorELNS0_4arch9wavefront6targetE0EEEvS10_: ; @_ZN7rocprim17ROCPRIM_400000_NS6detail17trampoline_kernelINS0_14default_configENS1_21merge_config_selectorINS0_5tupleIJiiEEENS0_10empty_typeEEEZNS1_10merge_implIS3_NS0_12zip_iteratorINS5_IJN6thrust23THRUST_200600_302600_NS6detail15normal_iteratorINSC_10device_ptrIKiEEEESI_EEEEESK_NSA_INS5_IJNSE_INSF_IiEEEESM_EEEEEPS7_SP_SP_NSC_11hip_rocprim7__merge17predicate_wrapperIiiNSC_4lessIiEEEEEE10hipError_tPvRmT0_T1_T2_T3_T4_T5_mmT6_P12ihipStream_tbEUlT_E_NS1_11comp_targetILNS1_3genE9ELNS1_11target_archE1100ELNS1_3gpuE3ELNS1_3repE0EEENS1_30default_config_static_selectorELNS0_4arch9wavefront6targetE0EEEvS10_
; %bb.0:
	.section	.rodata,"a",@progbits
	.p2align	6, 0x0
	.amdhsa_kernel _ZN7rocprim17ROCPRIM_400000_NS6detail17trampoline_kernelINS0_14default_configENS1_21merge_config_selectorINS0_5tupleIJiiEEENS0_10empty_typeEEEZNS1_10merge_implIS3_NS0_12zip_iteratorINS5_IJN6thrust23THRUST_200600_302600_NS6detail15normal_iteratorINSC_10device_ptrIKiEEEESI_EEEEESK_NSA_INS5_IJNSE_INSF_IiEEEESM_EEEEEPS7_SP_SP_NSC_11hip_rocprim7__merge17predicate_wrapperIiiNSC_4lessIiEEEEEE10hipError_tPvRmT0_T1_T2_T3_T4_T5_mmT6_P12ihipStream_tbEUlT_E_NS1_11comp_targetILNS1_3genE9ELNS1_11target_archE1100ELNS1_3gpuE3ELNS1_3repE0EEENS1_30default_config_static_selectorELNS0_4arch9wavefront6targetE0EEEvS10_
		.amdhsa_group_segment_fixed_size 0
		.amdhsa_private_segment_fixed_size 0
		.amdhsa_kernarg_size 64
		.amdhsa_user_sgpr_count 6
		.amdhsa_user_sgpr_private_segment_buffer 1
		.amdhsa_user_sgpr_dispatch_ptr 0
		.amdhsa_user_sgpr_queue_ptr 0
		.amdhsa_user_sgpr_kernarg_segment_ptr 1
		.amdhsa_user_sgpr_dispatch_id 0
		.amdhsa_user_sgpr_flat_scratch_init 0
		.amdhsa_user_sgpr_private_segment_size 0
		.amdhsa_wavefront_size32 1
		.amdhsa_uses_dynamic_stack 0
		.amdhsa_system_sgpr_private_segment_wavefront_offset 0
		.amdhsa_system_sgpr_workgroup_id_x 1
		.amdhsa_system_sgpr_workgroup_id_y 0
		.amdhsa_system_sgpr_workgroup_id_z 0
		.amdhsa_system_sgpr_workgroup_info 0
		.amdhsa_system_vgpr_workitem_id 0
		.amdhsa_next_free_vgpr 1
		.amdhsa_next_free_sgpr 1
		.amdhsa_reserve_vcc 0
		.amdhsa_reserve_flat_scratch 0
		.amdhsa_float_round_mode_32 0
		.amdhsa_float_round_mode_16_64 0
		.amdhsa_float_denorm_mode_32 3
		.amdhsa_float_denorm_mode_16_64 3
		.amdhsa_dx10_clamp 1
		.amdhsa_ieee_mode 1
		.amdhsa_fp16_overflow 0
		.amdhsa_workgroup_processor_mode 1
		.amdhsa_memory_ordered 1
		.amdhsa_forward_progress 1
		.amdhsa_shared_vgpr_count 0
		.amdhsa_exception_fp_ieee_invalid_op 0
		.amdhsa_exception_fp_denorm_src 0
		.amdhsa_exception_fp_ieee_div_zero 0
		.amdhsa_exception_fp_ieee_overflow 0
		.amdhsa_exception_fp_ieee_underflow 0
		.amdhsa_exception_fp_ieee_inexact 0
		.amdhsa_exception_int_div_zero 0
	.end_amdhsa_kernel
	.section	.text._ZN7rocprim17ROCPRIM_400000_NS6detail17trampoline_kernelINS0_14default_configENS1_21merge_config_selectorINS0_5tupleIJiiEEENS0_10empty_typeEEEZNS1_10merge_implIS3_NS0_12zip_iteratorINS5_IJN6thrust23THRUST_200600_302600_NS6detail15normal_iteratorINSC_10device_ptrIKiEEEESI_EEEEESK_NSA_INS5_IJNSE_INSF_IiEEEESM_EEEEEPS7_SP_SP_NSC_11hip_rocprim7__merge17predicate_wrapperIiiNSC_4lessIiEEEEEE10hipError_tPvRmT0_T1_T2_T3_T4_T5_mmT6_P12ihipStream_tbEUlT_E_NS1_11comp_targetILNS1_3genE9ELNS1_11target_archE1100ELNS1_3gpuE3ELNS1_3repE0EEENS1_30default_config_static_selectorELNS0_4arch9wavefront6targetE0EEEvS10_,"axG",@progbits,_ZN7rocprim17ROCPRIM_400000_NS6detail17trampoline_kernelINS0_14default_configENS1_21merge_config_selectorINS0_5tupleIJiiEEENS0_10empty_typeEEEZNS1_10merge_implIS3_NS0_12zip_iteratorINS5_IJN6thrust23THRUST_200600_302600_NS6detail15normal_iteratorINSC_10device_ptrIKiEEEESI_EEEEESK_NSA_INS5_IJNSE_INSF_IiEEEESM_EEEEEPS7_SP_SP_NSC_11hip_rocprim7__merge17predicate_wrapperIiiNSC_4lessIiEEEEEE10hipError_tPvRmT0_T1_T2_T3_T4_T5_mmT6_P12ihipStream_tbEUlT_E_NS1_11comp_targetILNS1_3genE9ELNS1_11target_archE1100ELNS1_3gpuE3ELNS1_3repE0EEENS1_30default_config_static_selectorELNS0_4arch9wavefront6targetE0EEEvS10_,comdat
.Lfunc_end250:
	.size	_ZN7rocprim17ROCPRIM_400000_NS6detail17trampoline_kernelINS0_14default_configENS1_21merge_config_selectorINS0_5tupleIJiiEEENS0_10empty_typeEEEZNS1_10merge_implIS3_NS0_12zip_iteratorINS5_IJN6thrust23THRUST_200600_302600_NS6detail15normal_iteratorINSC_10device_ptrIKiEEEESI_EEEEESK_NSA_INS5_IJNSE_INSF_IiEEEESM_EEEEEPS7_SP_SP_NSC_11hip_rocprim7__merge17predicate_wrapperIiiNSC_4lessIiEEEEEE10hipError_tPvRmT0_T1_T2_T3_T4_T5_mmT6_P12ihipStream_tbEUlT_E_NS1_11comp_targetILNS1_3genE9ELNS1_11target_archE1100ELNS1_3gpuE3ELNS1_3repE0EEENS1_30default_config_static_selectorELNS0_4arch9wavefront6targetE0EEEvS10_, .Lfunc_end250-_ZN7rocprim17ROCPRIM_400000_NS6detail17trampoline_kernelINS0_14default_configENS1_21merge_config_selectorINS0_5tupleIJiiEEENS0_10empty_typeEEEZNS1_10merge_implIS3_NS0_12zip_iteratorINS5_IJN6thrust23THRUST_200600_302600_NS6detail15normal_iteratorINSC_10device_ptrIKiEEEESI_EEEEESK_NSA_INS5_IJNSE_INSF_IiEEEESM_EEEEEPS7_SP_SP_NSC_11hip_rocprim7__merge17predicate_wrapperIiiNSC_4lessIiEEEEEE10hipError_tPvRmT0_T1_T2_T3_T4_T5_mmT6_P12ihipStream_tbEUlT_E_NS1_11comp_targetILNS1_3genE9ELNS1_11target_archE1100ELNS1_3gpuE3ELNS1_3repE0EEENS1_30default_config_static_selectorELNS0_4arch9wavefront6targetE0EEEvS10_
                                        ; -- End function
	.set _ZN7rocprim17ROCPRIM_400000_NS6detail17trampoline_kernelINS0_14default_configENS1_21merge_config_selectorINS0_5tupleIJiiEEENS0_10empty_typeEEEZNS1_10merge_implIS3_NS0_12zip_iteratorINS5_IJN6thrust23THRUST_200600_302600_NS6detail15normal_iteratorINSC_10device_ptrIKiEEEESI_EEEEESK_NSA_INS5_IJNSE_INSF_IiEEEESM_EEEEEPS7_SP_SP_NSC_11hip_rocprim7__merge17predicate_wrapperIiiNSC_4lessIiEEEEEE10hipError_tPvRmT0_T1_T2_T3_T4_T5_mmT6_P12ihipStream_tbEUlT_E_NS1_11comp_targetILNS1_3genE9ELNS1_11target_archE1100ELNS1_3gpuE3ELNS1_3repE0EEENS1_30default_config_static_selectorELNS0_4arch9wavefront6targetE0EEEvS10_.num_vgpr, 0
	.set _ZN7rocprim17ROCPRIM_400000_NS6detail17trampoline_kernelINS0_14default_configENS1_21merge_config_selectorINS0_5tupleIJiiEEENS0_10empty_typeEEEZNS1_10merge_implIS3_NS0_12zip_iteratorINS5_IJN6thrust23THRUST_200600_302600_NS6detail15normal_iteratorINSC_10device_ptrIKiEEEESI_EEEEESK_NSA_INS5_IJNSE_INSF_IiEEEESM_EEEEEPS7_SP_SP_NSC_11hip_rocprim7__merge17predicate_wrapperIiiNSC_4lessIiEEEEEE10hipError_tPvRmT0_T1_T2_T3_T4_T5_mmT6_P12ihipStream_tbEUlT_E_NS1_11comp_targetILNS1_3genE9ELNS1_11target_archE1100ELNS1_3gpuE3ELNS1_3repE0EEENS1_30default_config_static_selectorELNS0_4arch9wavefront6targetE0EEEvS10_.num_agpr, 0
	.set _ZN7rocprim17ROCPRIM_400000_NS6detail17trampoline_kernelINS0_14default_configENS1_21merge_config_selectorINS0_5tupleIJiiEEENS0_10empty_typeEEEZNS1_10merge_implIS3_NS0_12zip_iteratorINS5_IJN6thrust23THRUST_200600_302600_NS6detail15normal_iteratorINSC_10device_ptrIKiEEEESI_EEEEESK_NSA_INS5_IJNSE_INSF_IiEEEESM_EEEEEPS7_SP_SP_NSC_11hip_rocprim7__merge17predicate_wrapperIiiNSC_4lessIiEEEEEE10hipError_tPvRmT0_T1_T2_T3_T4_T5_mmT6_P12ihipStream_tbEUlT_E_NS1_11comp_targetILNS1_3genE9ELNS1_11target_archE1100ELNS1_3gpuE3ELNS1_3repE0EEENS1_30default_config_static_selectorELNS0_4arch9wavefront6targetE0EEEvS10_.numbered_sgpr, 0
	.set _ZN7rocprim17ROCPRIM_400000_NS6detail17trampoline_kernelINS0_14default_configENS1_21merge_config_selectorINS0_5tupleIJiiEEENS0_10empty_typeEEEZNS1_10merge_implIS3_NS0_12zip_iteratorINS5_IJN6thrust23THRUST_200600_302600_NS6detail15normal_iteratorINSC_10device_ptrIKiEEEESI_EEEEESK_NSA_INS5_IJNSE_INSF_IiEEEESM_EEEEEPS7_SP_SP_NSC_11hip_rocprim7__merge17predicate_wrapperIiiNSC_4lessIiEEEEEE10hipError_tPvRmT0_T1_T2_T3_T4_T5_mmT6_P12ihipStream_tbEUlT_E_NS1_11comp_targetILNS1_3genE9ELNS1_11target_archE1100ELNS1_3gpuE3ELNS1_3repE0EEENS1_30default_config_static_selectorELNS0_4arch9wavefront6targetE0EEEvS10_.num_named_barrier, 0
	.set _ZN7rocprim17ROCPRIM_400000_NS6detail17trampoline_kernelINS0_14default_configENS1_21merge_config_selectorINS0_5tupleIJiiEEENS0_10empty_typeEEEZNS1_10merge_implIS3_NS0_12zip_iteratorINS5_IJN6thrust23THRUST_200600_302600_NS6detail15normal_iteratorINSC_10device_ptrIKiEEEESI_EEEEESK_NSA_INS5_IJNSE_INSF_IiEEEESM_EEEEEPS7_SP_SP_NSC_11hip_rocprim7__merge17predicate_wrapperIiiNSC_4lessIiEEEEEE10hipError_tPvRmT0_T1_T2_T3_T4_T5_mmT6_P12ihipStream_tbEUlT_E_NS1_11comp_targetILNS1_3genE9ELNS1_11target_archE1100ELNS1_3gpuE3ELNS1_3repE0EEENS1_30default_config_static_selectorELNS0_4arch9wavefront6targetE0EEEvS10_.private_seg_size, 0
	.set _ZN7rocprim17ROCPRIM_400000_NS6detail17trampoline_kernelINS0_14default_configENS1_21merge_config_selectorINS0_5tupleIJiiEEENS0_10empty_typeEEEZNS1_10merge_implIS3_NS0_12zip_iteratorINS5_IJN6thrust23THRUST_200600_302600_NS6detail15normal_iteratorINSC_10device_ptrIKiEEEESI_EEEEESK_NSA_INS5_IJNSE_INSF_IiEEEESM_EEEEEPS7_SP_SP_NSC_11hip_rocprim7__merge17predicate_wrapperIiiNSC_4lessIiEEEEEE10hipError_tPvRmT0_T1_T2_T3_T4_T5_mmT6_P12ihipStream_tbEUlT_E_NS1_11comp_targetILNS1_3genE9ELNS1_11target_archE1100ELNS1_3gpuE3ELNS1_3repE0EEENS1_30default_config_static_selectorELNS0_4arch9wavefront6targetE0EEEvS10_.uses_vcc, 0
	.set _ZN7rocprim17ROCPRIM_400000_NS6detail17trampoline_kernelINS0_14default_configENS1_21merge_config_selectorINS0_5tupleIJiiEEENS0_10empty_typeEEEZNS1_10merge_implIS3_NS0_12zip_iteratorINS5_IJN6thrust23THRUST_200600_302600_NS6detail15normal_iteratorINSC_10device_ptrIKiEEEESI_EEEEESK_NSA_INS5_IJNSE_INSF_IiEEEESM_EEEEEPS7_SP_SP_NSC_11hip_rocprim7__merge17predicate_wrapperIiiNSC_4lessIiEEEEEE10hipError_tPvRmT0_T1_T2_T3_T4_T5_mmT6_P12ihipStream_tbEUlT_E_NS1_11comp_targetILNS1_3genE9ELNS1_11target_archE1100ELNS1_3gpuE3ELNS1_3repE0EEENS1_30default_config_static_selectorELNS0_4arch9wavefront6targetE0EEEvS10_.uses_flat_scratch, 0
	.set _ZN7rocprim17ROCPRIM_400000_NS6detail17trampoline_kernelINS0_14default_configENS1_21merge_config_selectorINS0_5tupleIJiiEEENS0_10empty_typeEEEZNS1_10merge_implIS3_NS0_12zip_iteratorINS5_IJN6thrust23THRUST_200600_302600_NS6detail15normal_iteratorINSC_10device_ptrIKiEEEESI_EEEEESK_NSA_INS5_IJNSE_INSF_IiEEEESM_EEEEEPS7_SP_SP_NSC_11hip_rocprim7__merge17predicate_wrapperIiiNSC_4lessIiEEEEEE10hipError_tPvRmT0_T1_T2_T3_T4_T5_mmT6_P12ihipStream_tbEUlT_E_NS1_11comp_targetILNS1_3genE9ELNS1_11target_archE1100ELNS1_3gpuE3ELNS1_3repE0EEENS1_30default_config_static_selectorELNS0_4arch9wavefront6targetE0EEEvS10_.has_dyn_sized_stack, 0
	.set _ZN7rocprim17ROCPRIM_400000_NS6detail17trampoline_kernelINS0_14default_configENS1_21merge_config_selectorINS0_5tupleIJiiEEENS0_10empty_typeEEEZNS1_10merge_implIS3_NS0_12zip_iteratorINS5_IJN6thrust23THRUST_200600_302600_NS6detail15normal_iteratorINSC_10device_ptrIKiEEEESI_EEEEESK_NSA_INS5_IJNSE_INSF_IiEEEESM_EEEEEPS7_SP_SP_NSC_11hip_rocprim7__merge17predicate_wrapperIiiNSC_4lessIiEEEEEE10hipError_tPvRmT0_T1_T2_T3_T4_T5_mmT6_P12ihipStream_tbEUlT_E_NS1_11comp_targetILNS1_3genE9ELNS1_11target_archE1100ELNS1_3gpuE3ELNS1_3repE0EEENS1_30default_config_static_selectorELNS0_4arch9wavefront6targetE0EEEvS10_.has_recursion, 0
	.set _ZN7rocprim17ROCPRIM_400000_NS6detail17trampoline_kernelINS0_14default_configENS1_21merge_config_selectorINS0_5tupleIJiiEEENS0_10empty_typeEEEZNS1_10merge_implIS3_NS0_12zip_iteratorINS5_IJN6thrust23THRUST_200600_302600_NS6detail15normal_iteratorINSC_10device_ptrIKiEEEESI_EEEEESK_NSA_INS5_IJNSE_INSF_IiEEEESM_EEEEEPS7_SP_SP_NSC_11hip_rocprim7__merge17predicate_wrapperIiiNSC_4lessIiEEEEEE10hipError_tPvRmT0_T1_T2_T3_T4_T5_mmT6_P12ihipStream_tbEUlT_E_NS1_11comp_targetILNS1_3genE9ELNS1_11target_archE1100ELNS1_3gpuE3ELNS1_3repE0EEENS1_30default_config_static_selectorELNS0_4arch9wavefront6targetE0EEEvS10_.has_indirect_call, 0
	.section	.AMDGPU.csdata,"",@progbits
; Kernel info:
; codeLenInByte = 0
; TotalNumSgprs: 0
; NumVgprs: 0
; ScratchSize: 0
; MemoryBound: 0
; FloatMode: 240
; IeeeMode: 1
; LDSByteSize: 0 bytes/workgroup (compile time only)
; SGPRBlocks: 0
; VGPRBlocks: 0
; NumSGPRsForWavesPerEU: 1
; NumVGPRsForWavesPerEU: 1
; Occupancy: 16
; WaveLimiterHint : 0
; COMPUTE_PGM_RSRC2:SCRATCH_EN: 0
; COMPUTE_PGM_RSRC2:USER_SGPR: 6
; COMPUTE_PGM_RSRC2:TRAP_HANDLER: 0
; COMPUTE_PGM_RSRC2:TGID_X_EN: 1
; COMPUTE_PGM_RSRC2:TGID_Y_EN: 0
; COMPUTE_PGM_RSRC2:TGID_Z_EN: 0
; COMPUTE_PGM_RSRC2:TIDIG_COMP_CNT: 0
	.section	.text._ZN7rocprim17ROCPRIM_400000_NS6detail17trampoline_kernelINS0_14default_configENS1_21merge_config_selectorINS0_5tupleIJiiEEENS0_10empty_typeEEEZNS1_10merge_implIS3_NS0_12zip_iteratorINS5_IJN6thrust23THRUST_200600_302600_NS6detail15normal_iteratorINSC_10device_ptrIKiEEEESI_EEEEESK_NSA_INS5_IJNSE_INSF_IiEEEESM_EEEEEPS7_SP_SP_NSC_11hip_rocprim7__merge17predicate_wrapperIiiNSC_4lessIiEEEEEE10hipError_tPvRmT0_T1_T2_T3_T4_T5_mmT6_P12ihipStream_tbEUlT_E_NS1_11comp_targetILNS1_3genE8ELNS1_11target_archE1030ELNS1_3gpuE2ELNS1_3repE0EEENS1_30default_config_static_selectorELNS0_4arch9wavefront6targetE0EEEvS10_,"axG",@progbits,_ZN7rocprim17ROCPRIM_400000_NS6detail17trampoline_kernelINS0_14default_configENS1_21merge_config_selectorINS0_5tupleIJiiEEENS0_10empty_typeEEEZNS1_10merge_implIS3_NS0_12zip_iteratorINS5_IJN6thrust23THRUST_200600_302600_NS6detail15normal_iteratorINSC_10device_ptrIKiEEEESI_EEEEESK_NSA_INS5_IJNSE_INSF_IiEEEESM_EEEEEPS7_SP_SP_NSC_11hip_rocprim7__merge17predicate_wrapperIiiNSC_4lessIiEEEEEE10hipError_tPvRmT0_T1_T2_T3_T4_T5_mmT6_P12ihipStream_tbEUlT_E_NS1_11comp_targetILNS1_3genE8ELNS1_11target_archE1030ELNS1_3gpuE2ELNS1_3repE0EEENS1_30default_config_static_selectorELNS0_4arch9wavefront6targetE0EEEvS10_,comdat
	.protected	_ZN7rocprim17ROCPRIM_400000_NS6detail17trampoline_kernelINS0_14default_configENS1_21merge_config_selectorINS0_5tupleIJiiEEENS0_10empty_typeEEEZNS1_10merge_implIS3_NS0_12zip_iteratorINS5_IJN6thrust23THRUST_200600_302600_NS6detail15normal_iteratorINSC_10device_ptrIKiEEEESI_EEEEESK_NSA_INS5_IJNSE_INSF_IiEEEESM_EEEEEPS7_SP_SP_NSC_11hip_rocprim7__merge17predicate_wrapperIiiNSC_4lessIiEEEEEE10hipError_tPvRmT0_T1_T2_T3_T4_T5_mmT6_P12ihipStream_tbEUlT_E_NS1_11comp_targetILNS1_3genE8ELNS1_11target_archE1030ELNS1_3gpuE2ELNS1_3repE0EEENS1_30default_config_static_selectorELNS0_4arch9wavefront6targetE0EEEvS10_ ; -- Begin function _ZN7rocprim17ROCPRIM_400000_NS6detail17trampoline_kernelINS0_14default_configENS1_21merge_config_selectorINS0_5tupleIJiiEEENS0_10empty_typeEEEZNS1_10merge_implIS3_NS0_12zip_iteratorINS5_IJN6thrust23THRUST_200600_302600_NS6detail15normal_iteratorINSC_10device_ptrIKiEEEESI_EEEEESK_NSA_INS5_IJNSE_INSF_IiEEEESM_EEEEEPS7_SP_SP_NSC_11hip_rocprim7__merge17predicate_wrapperIiiNSC_4lessIiEEEEEE10hipError_tPvRmT0_T1_T2_T3_T4_T5_mmT6_P12ihipStream_tbEUlT_E_NS1_11comp_targetILNS1_3genE8ELNS1_11target_archE1030ELNS1_3gpuE2ELNS1_3repE0EEENS1_30default_config_static_selectorELNS0_4arch9wavefront6targetE0EEEvS10_
	.globl	_ZN7rocprim17ROCPRIM_400000_NS6detail17trampoline_kernelINS0_14default_configENS1_21merge_config_selectorINS0_5tupleIJiiEEENS0_10empty_typeEEEZNS1_10merge_implIS3_NS0_12zip_iteratorINS5_IJN6thrust23THRUST_200600_302600_NS6detail15normal_iteratorINSC_10device_ptrIKiEEEESI_EEEEESK_NSA_INS5_IJNSE_INSF_IiEEEESM_EEEEEPS7_SP_SP_NSC_11hip_rocprim7__merge17predicate_wrapperIiiNSC_4lessIiEEEEEE10hipError_tPvRmT0_T1_T2_T3_T4_T5_mmT6_P12ihipStream_tbEUlT_E_NS1_11comp_targetILNS1_3genE8ELNS1_11target_archE1030ELNS1_3gpuE2ELNS1_3repE0EEENS1_30default_config_static_selectorELNS0_4arch9wavefront6targetE0EEEvS10_
	.p2align	8
	.type	_ZN7rocprim17ROCPRIM_400000_NS6detail17trampoline_kernelINS0_14default_configENS1_21merge_config_selectorINS0_5tupleIJiiEEENS0_10empty_typeEEEZNS1_10merge_implIS3_NS0_12zip_iteratorINS5_IJN6thrust23THRUST_200600_302600_NS6detail15normal_iteratorINSC_10device_ptrIKiEEEESI_EEEEESK_NSA_INS5_IJNSE_INSF_IiEEEESM_EEEEEPS7_SP_SP_NSC_11hip_rocprim7__merge17predicate_wrapperIiiNSC_4lessIiEEEEEE10hipError_tPvRmT0_T1_T2_T3_T4_T5_mmT6_P12ihipStream_tbEUlT_E_NS1_11comp_targetILNS1_3genE8ELNS1_11target_archE1030ELNS1_3gpuE2ELNS1_3repE0EEENS1_30default_config_static_selectorELNS0_4arch9wavefront6targetE0EEEvS10_,@function
_ZN7rocprim17ROCPRIM_400000_NS6detail17trampoline_kernelINS0_14default_configENS1_21merge_config_selectorINS0_5tupleIJiiEEENS0_10empty_typeEEEZNS1_10merge_implIS3_NS0_12zip_iteratorINS5_IJN6thrust23THRUST_200600_302600_NS6detail15normal_iteratorINSC_10device_ptrIKiEEEESI_EEEEESK_NSA_INS5_IJNSE_INSF_IiEEEESM_EEEEEPS7_SP_SP_NSC_11hip_rocprim7__merge17predicate_wrapperIiiNSC_4lessIiEEEEEE10hipError_tPvRmT0_T1_T2_T3_T4_T5_mmT6_P12ihipStream_tbEUlT_E_NS1_11comp_targetILNS1_3genE8ELNS1_11target_archE1030ELNS1_3gpuE2ELNS1_3repE0EEENS1_30default_config_static_selectorELNS0_4arch9wavefront6targetE0EEEvS10_: ; @_ZN7rocprim17ROCPRIM_400000_NS6detail17trampoline_kernelINS0_14default_configENS1_21merge_config_selectorINS0_5tupleIJiiEEENS0_10empty_typeEEEZNS1_10merge_implIS3_NS0_12zip_iteratorINS5_IJN6thrust23THRUST_200600_302600_NS6detail15normal_iteratorINSC_10device_ptrIKiEEEESI_EEEEESK_NSA_INS5_IJNSE_INSF_IiEEEESM_EEEEEPS7_SP_SP_NSC_11hip_rocprim7__merge17predicate_wrapperIiiNSC_4lessIiEEEEEE10hipError_tPvRmT0_T1_T2_T3_T4_T5_mmT6_P12ihipStream_tbEUlT_E_NS1_11comp_targetILNS1_3genE8ELNS1_11target_archE1030ELNS1_3gpuE2ELNS1_3repE0EEENS1_30default_config_static_selectorELNS0_4arch9wavefront6targetE0EEEvS10_
; %bb.0:
	s_clause 0x2
	s_load_dword s2, s[4:5], 0x38
	s_load_dword s0, s[4:5], 0x4c
	s_load_dwordx4 s[12:15], s[4:5], 0x28
	s_waitcnt lgkmcnt(0)
	v_cvt_f32_u32_e32 v1, s2
	s_and_b32 s3, s0, 0xffff
	s_add_u32 s0, s14, s12
	s_addc_u32 s1, s15, s13
	s_sub_i32 s8, 0, s2
	v_rcp_iflag_f32_e32 v1, v1
	s_add_i32 s9, s2, s0
	s_add_i32 s9, s9, -1
	v_mul_f32_e32 v1, 0x4f7ffffe, v1
	v_cvt_u32_f32_e32 v1, v1
	v_readfirstlane_b32 s7, v1
	v_mad_u64_u32 v[0:1], null, s6, s3, v[0:1]
	s_mul_i32 s8, s8, s7
	s_mul_hi_u32 s8, s7, s8
	s_add_i32 s7, s7, s8
	s_mul_hi_u32 s7, s9, s7
	s_mul_i32 s8, s7, s2
	s_sub_i32 s8, s9, s8
	s_add_i32 s9, s7, 1
	s_sub_i32 s10, s8, s2
	s_cmp_ge_u32 s8, s2
	s_cselect_b32 s3, s9, s7
	s_cselect_b32 s6, s10, s8
	s_add_i32 s7, s3, 1
	s_cmp_ge_u32 s6, s2
	s_cselect_b32 s3, s7, s3
	v_cmp_ge_u32_e32 vcc_lo, s3, v0
	s_and_saveexec_b32 s3, vcc_lo
	s_cbranch_execz .LBB251_6
; %bb.1:
	v_mul_lo_u32 v1, v0, s2
	v_mov_b32_e32 v2, 0
	s_load_dwordx4 s[8:11], s[4:5], 0x0
	v_cmp_gt_u64_e32 vcc_lo, s[0:1], v[1:2]
	v_cndmask_b32_e32 v6, s0, v1, vcc_lo
	v_cndmask_b32_e64 v7, s1, 0, vcc_lo
	v_sub_co_u32 v1, vcc_lo, v6, s14
	v_subrev_co_ci_u32_e64 v2, null, s15, v7, vcc_lo
	v_cmp_gt_u64_e64 s0, s[12:13], v[6:7]
	v_cmp_gt_u64_e32 vcc_lo, v[1:2], v[6:7]
	v_cndmask_b32_e64 v5, s13, v7, s0
	v_cndmask_b32_e64 v4, s12, v6, s0
	s_mov_b32 s0, exec_lo
	v_cndmask_b32_e64 v3, v2, 0, vcc_lo
	v_cndmask_b32_e64 v2, v1, 0, vcc_lo
	v_cmpx_lt_u64_e64 v[2:3], v[4:5]
	s_cbranch_execz .LBB251_5
; %bb.2:
	s_load_dwordx2 s[2:3], s[4:5], 0x18
	v_lshlrev_b64 v[6:7], 2, v[6:7]
	s_mov_b32 s1, 0
	s_waitcnt lgkmcnt(0)
	v_add_co_u32 v1, vcc_lo, s2, v6
	v_add_co_ci_u32_e64 v6, null, s3, v7, vcc_lo
	s_inst_prefetch 0x1
	.p2align	6
.LBB251_3:                              ; =>This Inner Loop Header: Depth=1
	v_add_co_u32 v7, vcc_lo, v4, v2
	v_add_co_ci_u32_e64 v8, null, v5, v3, vcc_lo
	v_lshrrev_b64 v[7:8], 1, v[7:8]
	v_lshlrev_b64 v[9:10], 2, v[7:8]
	v_xor_b32_e32 v11, -4, v9
	v_xor_b32_e32 v12, -1, v10
	v_add_co_u32 v9, vcc_lo, s10, v9
	v_add_co_ci_u32_e64 v10, null, s11, v10, vcc_lo
	v_add_co_u32 v11, vcc_lo, v1, v11
	v_add_co_ci_u32_e64 v12, null, v6, v12, vcc_lo
	global_load_dword v9, v[9:10], off
	global_load_dword v10, v[11:12], off
	v_add_co_u32 v11, vcc_lo, v7, 1
	v_add_co_ci_u32_e64 v12, null, 0, v8, vcc_lo
	s_waitcnt vmcnt(0)
	v_cmp_lt_i32_e32 vcc_lo, v10, v9
	v_cndmask_b32_e32 v5, v5, v8, vcc_lo
	v_cndmask_b32_e32 v4, v4, v7, vcc_lo
	;; [unrolled: 1-line block ×4, first 2 shown]
	v_cmp_ge_u64_e32 vcc_lo, v[2:3], v[4:5]
	s_or_b32 s1, vcc_lo, s1
	s_andn2_b32 exec_lo, exec_lo, s1
	s_cbranch_execnz .LBB251_3
; %bb.4:
	s_inst_prefetch 0x2
	s_or_b32 exec_lo, exec_lo, s1
.LBB251_5:
	s_or_b32 exec_lo, exec_lo, s0
	v_mov_b32_e32 v1, 0
	v_lshlrev_b64 v[0:1], 2, v[0:1]
	s_waitcnt lgkmcnt(0)
	v_add_co_u32 v0, vcc_lo, s8, v0
	v_add_co_ci_u32_e64 v1, null, s9, v1, vcc_lo
	global_store_dword v[0:1], v2, off
.LBB251_6:
	s_endpgm
	.section	.rodata,"a",@progbits
	.p2align	6, 0x0
	.amdhsa_kernel _ZN7rocprim17ROCPRIM_400000_NS6detail17trampoline_kernelINS0_14default_configENS1_21merge_config_selectorINS0_5tupleIJiiEEENS0_10empty_typeEEEZNS1_10merge_implIS3_NS0_12zip_iteratorINS5_IJN6thrust23THRUST_200600_302600_NS6detail15normal_iteratorINSC_10device_ptrIKiEEEESI_EEEEESK_NSA_INS5_IJNSE_INSF_IiEEEESM_EEEEEPS7_SP_SP_NSC_11hip_rocprim7__merge17predicate_wrapperIiiNSC_4lessIiEEEEEE10hipError_tPvRmT0_T1_T2_T3_T4_T5_mmT6_P12ihipStream_tbEUlT_E_NS1_11comp_targetILNS1_3genE8ELNS1_11target_archE1030ELNS1_3gpuE2ELNS1_3repE0EEENS1_30default_config_static_selectorELNS0_4arch9wavefront6targetE0EEEvS10_
		.amdhsa_group_segment_fixed_size 0
		.amdhsa_private_segment_fixed_size 0
		.amdhsa_kernarg_size 320
		.amdhsa_user_sgpr_count 6
		.amdhsa_user_sgpr_private_segment_buffer 1
		.amdhsa_user_sgpr_dispatch_ptr 0
		.amdhsa_user_sgpr_queue_ptr 0
		.amdhsa_user_sgpr_kernarg_segment_ptr 1
		.amdhsa_user_sgpr_dispatch_id 0
		.amdhsa_user_sgpr_flat_scratch_init 0
		.amdhsa_user_sgpr_private_segment_size 0
		.amdhsa_wavefront_size32 1
		.amdhsa_uses_dynamic_stack 0
		.amdhsa_system_sgpr_private_segment_wavefront_offset 0
		.amdhsa_system_sgpr_workgroup_id_x 1
		.amdhsa_system_sgpr_workgroup_id_y 0
		.amdhsa_system_sgpr_workgroup_id_z 0
		.amdhsa_system_sgpr_workgroup_info 0
		.amdhsa_system_vgpr_workitem_id 0
		.amdhsa_next_free_vgpr 13
		.amdhsa_next_free_sgpr 16
		.amdhsa_reserve_vcc 1
		.amdhsa_reserve_flat_scratch 0
		.amdhsa_float_round_mode_32 0
		.amdhsa_float_round_mode_16_64 0
		.amdhsa_float_denorm_mode_32 3
		.amdhsa_float_denorm_mode_16_64 3
		.amdhsa_dx10_clamp 1
		.amdhsa_ieee_mode 1
		.amdhsa_fp16_overflow 0
		.amdhsa_workgroup_processor_mode 1
		.amdhsa_memory_ordered 1
		.amdhsa_forward_progress 1
		.amdhsa_shared_vgpr_count 0
		.amdhsa_exception_fp_ieee_invalid_op 0
		.amdhsa_exception_fp_denorm_src 0
		.amdhsa_exception_fp_ieee_div_zero 0
		.amdhsa_exception_fp_ieee_overflow 0
		.amdhsa_exception_fp_ieee_underflow 0
		.amdhsa_exception_fp_ieee_inexact 0
		.amdhsa_exception_int_div_zero 0
	.end_amdhsa_kernel
	.section	.text._ZN7rocprim17ROCPRIM_400000_NS6detail17trampoline_kernelINS0_14default_configENS1_21merge_config_selectorINS0_5tupleIJiiEEENS0_10empty_typeEEEZNS1_10merge_implIS3_NS0_12zip_iteratorINS5_IJN6thrust23THRUST_200600_302600_NS6detail15normal_iteratorINSC_10device_ptrIKiEEEESI_EEEEESK_NSA_INS5_IJNSE_INSF_IiEEEESM_EEEEEPS7_SP_SP_NSC_11hip_rocprim7__merge17predicate_wrapperIiiNSC_4lessIiEEEEEE10hipError_tPvRmT0_T1_T2_T3_T4_T5_mmT6_P12ihipStream_tbEUlT_E_NS1_11comp_targetILNS1_3genE8ELNS1_11target_archE1030ELNS1_3gpuE2ELNS1_3repE0EEENS1_30default_config_static_selectorELNS0_4arch9wavefront6targetE0EEEvS10_,"axG",@progbits,_ZN7rocprim17ROCPRIM_400000_NS6detail17trampoline_kernelINS0_14default_configENS1_21merge_config_selectorINS0_5tupleIJiiEEENS0_10empty_typeEEEZNS1_10merge_implIS3_NS0_12zip_iteratorINS5_IJN6thrust23THRUST_200600_302600_NS6detail15normal_iteratorINSC_10device_ptrIKiEEEESI_EEEEESK_NSA_INS5_IJNSE_INSF_IiEEEESM_EEEEEPS7_SP_SP_NSC_11hip_rocprim7__merge17predicate_wrapperIiiNSC_4lessIiEEEEEE10hipError_tPvRmT0_T1_T2_T3_T4_T5_mmT6_P12ihipStream_tbEUlT_E_NS1_11comp_targetILNS1_3genE8ELNS1_11target_archE1030ELNS1_3gpuE2ELNS1_3repE0EEENS1_30default_config_static_selectorELNS0_4arch9wavefront6targetE0EEEvS10_,comdat
.Lfunc_end251:
	.size	_ZN7rocprim17ROCPRIM_400000_NS6detail17trampoline_kernelINS0_14default_configENS1_21merge_config_selectorINS0_5tupleIJiiEEENS0_10empty_typeEEEZNS1_10merge_implIS3_NS0_12zip_iteratorINS5_IJN6thrust23THRUST_200600_302600_NS6detail15normal_iteratorINSC_10device_ptrIKiEEEESI_EEEEESK_NSA_INS5_IJNSE_INSF_IiEEEESM_EEEEEPS7_SP_SP_NSC_11hip_rocprim7__merge17predicate_wrapperIiiNSC_4lessIiEEEEEE10hipError_tPvRmT0_T1_T2_T3_T4_T5_mmT6_P12ihipStream_tbEUlT_E_NS1_11comp_targetILNS1_3genE8ELNS1_11target_archE1030ELNS1_3gpuE2ELNS1_3repE0EEENS1_30default_config_static_selectorELNS0_4arch9wavefront6targetE0EEEvS10_, .Lfunc_end251-_ZN7rocprim17ROCPRIM_400000_NS6detail17trampoline_kernelINS0_14default_configENS1_21merge_config_selectorINS0_5tupleIJiiEEENS0_10empty_typeEEEZNS1_10merge_implIS3_NS0_12zip_iteratorINS5_IJN6thrust23THRUST_200600_302600_NS6detail15normal_iteratorINSC_10device_ptrIKiEEEESI_EEEEESK_NSA_INS5_IJNSE_INSF_IiEEEESM_EEEEEPS7_SP_SP_NSC_11hip_rocprim7__merge17predicate_wrapperIiiNSC_4lessIiEEEEEE10hipError_tPvRmT0_T1_T2_T3_T4_T5_mmT6_P12ihipStream_tbEUlT_E_NS1_11comp_targetILNS1_3genE8ELNS1_11target_archE1030ELNS1_3gpuE2ELNS1_3repE0EEENS1_30default_config_static_selectorELNS0_4arch9wavefront6targetE0EEEvS10_
                                        ; -- End function
	.set _ZN7rocprim17ROCPRIM_400000_NS6detail17trampoline_kernelINS0_14default_configENS1_21merge_config_selectorINS0_5tupleIJiiEEENS0_10empty_typeEEEZNS1_10merge_implIS3_NS0_12zip_iteratorINS5_IJN6thrust23THRUST_200600_302600_NS6detail15normal_iteratorINSC_10device_ptrIKiEEEESI_EEEEESK_NSA_INS5_IJNSE_INSF_IiEEEESM_EEEEEPS7_SP_SP_NSC_11hip_rocprim7__merge17predicate_wrapperIiiNSC_4lessIiEEEEEE10hipError_tPvRmT0_T1_T2_T3_T4_T5_mmT6_P12ihipStream_tbEUlT_E_NS1_11comp_targetILNS1_3genE8ELNS1_11target_archE1030ELNS1_3gpuE2ELNS1_3repE0EEENS1_30default_config_static_selectorELNS0_4arch9wavefront6targetE0EEEvS10_.num_vgpr, 13
	.set _ZN7rocprim17ROCPRIM_400000_NS6detail17trampoline_kernelINS0_14default_configENS1_21merge_config_selectorINS0_5tupleIJiiEEENS0_10empty_typeEEEZNS1_10merge_implIS3_NS0_12zip_iteratorINS5_IJN6thrust23THRUST_200600_302600_NS6detail15normal_iteratorINSC_10device_ptrIKiEEEESI_EEEEESK_NSA_INS5_IJNSE_INSF_IiEEEESM_EEEEEPS7_SP_SP_NSC_11hip_rocprim7__merge17predicate_wrapperIiiNSC_4lessIiEEEEEE10hipError_tPvRmT0_T1_T2_T3_T4_T5_mmT6_P12ihipStream_tbEUlT_E_NS1_11comp_targetILNS1_3genE8ELNS1_11target_archE1030ELNS1_3gpuE2ELNS1_3repE0EEENS1_30default_config_static_selectorELNS0_4arch9wavefront6targetE0EEEvS10_.num_agpr, 0
	.set _ZN7rocprim17ROCPRIM_400000_NS6detail17trampoline_kernelINS0_14default_configENS1_21merge_config_selectorINS0_5tupleIJiiEEENS0_10empty_typeEEEZNS1_10merge_implIS3_NS0_12zip_iteratorINS5_IJN6thrust23THRUST_200600_302600_NS6detail15normal_iteratorINSC_10device_ptrIKiEEEESI_EEEEESK_NSA_INS5_IJNSE_INSF_IiEEEESM_EEEEEPS7_SP_SP_NSC_11hip_rocprim7__merge17predicate_wrapperIiiNSC_4lessIiEEEEEE10hipError_tPvRmT0_T1_T2_T3_T4_T5_mmT6_P12ihipStream_tbEUlT_E_NS1_11comp_targetILNS1_3genE8ELNS1_11target_archE1030ELNS1_3gpuE2ELNS1_3repE0EEENS1_30default_config_static_selectorELNS0_4arch9wavefront6targetE0EEEvS10_.numbered_sgpr, 16
	.set _ZN7rocprim17ROCPRIM_400000_NS6detail17trampoline_kernelINS0_14default_configENS1_21merge_config_selectorINS0_5tupleIJiiEEENS0_10empty_typeEEEZNS1_10merge_implIS3_NS0_12zip_iteratorINS5_IJN6thrust23THRUST_200600_302600_NS6detail15normal_iteratorINSC_10device_ptrIKiEEEESI_EEEEESK_NSA_INS5_IJNSE_INSF_IiEEEESM_EEEEEPS7_SP_SP_NSC_11hip_rocprim7__merge17predicate_wrapperIiiNSC_4lessIiEEEEEE10hipError_tPvRmT0_T1_T2_T3_T4_T5_mmT6_P12ihipStream_tbEUlT_E_NS1_11comp_targetILNS1_3genE8ELNS1_11target_archE1030ELNS1_3gpuE2ELNS1_3repE0EEENS1_30default_config_static_selectorELNS0_4arch9wavefront6targetE0EEEvS10_.num_named_barrier, 0
	.set _ZN7rocprim17ROCPRIM_400000_NS6detail17trampoline_kernelINS0_14default_configENS1_21merge_config_selectorINS0_5tupleIJiiEEENS0_10empty_typeEEEZNS1_10merge_implIS3_NS0_12zip_iteratorINS5_IJN6thrust23THRUST_200600_302600_NS6detail15normal_iteratorINSC_10device_ptrIKiEEEESI_EEEEESK_NSA_INS5_IJNSE_INSF_IiEEEESM_EEEEEPS7_SP_SP_NSC_11hip_rocprim7__merge17predicate_wrapperIiiNSC_4lessIiEEEEEE10hipError_tPvRmT0_T1_T2_T3_T4_T5_mmT6_P12ihipStream_tbEUlT_E_NS1_11comp_targetILNS1_3genE8ELNS1_11target_archE1030ELNS1_3gpuE2ELNS1_3repE0EEENS1_30default_config_static_selectorELNS0_4arch9wavefront6targetE0EEEvS10_.private_seg_size, 0
	.set _ZN7rocprim17ROCPRIM_400000_NS6detail17trampoline_kernelINS0_14default_configENS1_21merge_config_selectorINS0_5tupleIJiiEEENS0_10empty_typeEEEZNS1_10merge_implIS3_NS0_12zip_iteratorINS5_IJN6thrust23THRUST_200600_302600_NS6detail15normal_iteratorINSC_10device_ptrIKiEEEESI_EEEEESK_NSA_INS5_IJNSE_INSF_IiEEEESM_EEEEEPS7_SP_SP_NSC_11hip_rocprim7__merge17predicate_wrapperIiiNSC_4lessIiEEEEEE10hipError_tPvRmT0_T1_T2_T3_T4_T5_mmT6_P12ihipStream_tbEUlT_E_NS1_11comp_targetILNS1_3genE8ELNS1_11target_archE1030ELNS1_3gpuE2ELNS1_3repE0EEENS1_30default_config_static_selectorELNS0_4arch9wavefront6targetE0EEEvS10_.uses_vcc, 1
	.set _ZN7rocprim17ROCPRIM_400000_NS6detail17trampoline_kernelINS0_14default_configENS1_21merge_config_selectorINS0_5tupleIJiiEEENS0_10empty_typeEEEZNS1_10merge_implIS3_NS0_12zip_iteratorINS5_IJN6thrust23THRUST_200600_302600_NS6detail15normal_iteratorINSC_10device_ptrIKiEEEESI_EEEEESK_NSA_INS5_IJNSE_INSF_IiEEEESM_EEEEEPS7_SP_SP_NSC_11hip_rocprim7__merge17predicate_wrapperIiiNSC_4lessIiEEEEEE10hipError_tPvRmT0_T1_T2_T3_T4_T5_mmT6_P12ihipStream_tbEUlT_E_NS1_11comp_targetILNS1_3genE8ELNS1_11target_archE1030ELNS1_3gpuE2ELNS1_3repE0EEENS1_30default_config_static_selectorELNS0_4arch9wavefront6targetE0EEEvS10_.uses_flat_scratch, 0
	.set _ZN7rocprim17ROCPRIM_400000_NS6detail17trampoline_kernelINS0_14default_configENS1_21merge_config_selectorINS0_5tupleIJiiEEENS0_10empty_typeEEEZNS1_10merge_implIS3_NS0_12zip_iteratorINS5_IJN6thrust23THRUST_200600_302600_NS6detail15normal_iteratorINSC_10device_ptrIKiEEEESI_EEEEESK_NSA_INS5_IJNSE_INSF_IiEEEESM_EEEEEPS7_SP_SP_NSC_11hip_rocprim7__merge17predicate_wrapperIiiNSC_4lessIiEEEEEE10hipError_tPvRmT0_T1_T2_T3_T4_T5_mmT6_P12ihipStream_tbEUlT_E_NS1_11comp_targetILNS1_3genE8ELNS1_11target_archE1030ELNS1_3gpuE2ELNS1_3repE0EEENS1_30default_config_static_selectorELNS0_4arch9wavefront6targetE0EEEvS10_.has_dyn_sized_stack, 0
	.set _ZN7rocprim17ROCPRIM_400000_NS6detail17trampoline_kernelINS0_14default_configENS1_21merge_config_selectorINS0_5tupleIJiiEEENS0_10empty_typeEEEZNS1_10merge_implIS3_NS0_12zip_iteratorINS5_IJN6thrust23THRUST_200600_302600_NS6detail15normal_iteratorINSC_10device_ptrIKiEEEESI_EEEEESK_NSA_INS5_IJNSE_INSF_IiEEEESM_EEEEEPS7_SP_SP_NSC_11hip_rocprim7__merge17predicate_wrapperIiiNSC_4lessIiEEEEEE10hipError_tPvRmT0_T1_T2_T3_T4_T5_mmT6_P12ihipStream_tbEUlT_E_NS1_11comp_targetILNS1_3genE8ELNS1_11target_archE1030ELNS1_3gpuE2ELNS1_3repE0EEENS1_30default_config_static_selectorELNS0_4arch9wavefront6targetE0EEEvS10_.has_recursion, 0
	.set _ZN7rocprim17ROCPRIM_400000_NS6detail17trampoline_kernelINS0_14default_configENS1_21merge_config_selectorINS0_5tupleIJiiEEENS0_10empty_typeEEEZNS1_10merge_implIS3_NS0_12zip_iteratorINS5_IJN6thrust23THRUST_200600_302600_NS6detail15normal_iteratorINSC_10device_ptrIKiEEEESI_EEEEESK_NSA_INS5_IJNSE_INSF_IiEEEESM_EEEEEPS7_SP_SP_NSC_11hip_rocprim7__merge17predicate_wrapperIiiNSC_4lessIiEEEEEE10hipError_tPvRmT0_T1_T2_T3_T4_T5_mmT6_P12ihipStream_tbEUlT_E_NS1_11comp_targetILNS1_3genE8ELNS1_11target_archE1030ELNS1_3gpuE2ELNS1_3repE0EEENS1_30default_config_static_selectorELNS0_4arch9wavefront6targetE0EEEvS10_.has_indirect_call, 0
	.section	.AMDGPU.csdata,"",@progbits
; Kernel info:
; codeLenInByte = 520
; TotalNumSgprs: 18
; NumVgprs: 13
; ScratchSize: 0
; MemoryBound: 0
; FloatMode: 240
; IeeeMode: 1
; LDSByteSize: 0 bytes/workgroup (compile time only)
; SGPRBlocks: 0
; VGPRBlocks: 1
; NumSGPRsForWavesPerEU: 18
; NumVGPRsForWavesPerEU: 13
; Occupancy: 16
; WaveLimiterHint : 0
; COMPUTE_PGM_RSRC2:SCRATCH_EN: 0
; COMPUTE_PGM_RSRC2:USER_SGPR: 6
; COMPUTE_PGM_RSRC2:TRAP_HANDLER: 0
; COMPUTE_PGM_RSRC2:TGID_X_EN: 1
; COMPUTE_PGM_RSRC2:TGID_Y_EN: 0
; COMPUTE_PGM_RSRC2:TGID_Z_EN: 0
; COMPUTE_PGM_RSRC2:TIDIG_COMP_CNT: 0
	.section	.text._ZN7rocprim17ROCPRIM_400000_NS6detail17trampoline_kernelINS0_14default_configENS1_21merge_config_selectorINS0_5tupleIJiiEEENS0_10empty_typeEEEZNS1_10merge_implIS3_NS0_12zip_iteratorINS5_IJN6thrust23THRUST_200600_302600_NS6detail15normal_iteratorINSC_10device_ptrIKiEEEESI_EEEEESK_NSA_INS5_IJNSE_INSF_IiEEEESM_EEEEEPS7_SP_SP_NSC_11hip_rocprim7__merge17predicate_wrapperIiiNSC_4lessIiEEEEEE10hipError_tPvRmT0_T1_T2_T3_T4_T5_mmT6_P12ihipStream_tbEUlT_E0_NS1_11comp_targetILNS1_3genE0ELNS1_11target_archE4294967295ELNS1_3gpuE0ELNS1_3repE0EEENS1_30default_config_static_selectorELNS0_4arch9wavefront6targetE0EEEvS10_,"axG",@progbits,_ZN7rocprim17ROCPRIM_400000_NS6detail17trampoline_kernelINS0_14default_configENS1_21merge_config_selectorINS0_5tupleIJiiEEENS0_10empty_typeEEEZNS1_10merge_implIS3_NS0_12zip_iteratorINS5_IJN6thrust23THRUST_200600_302600_NS6detail15normal_iteratorINSC_10device_ptrIKiEEEESI_EEEEESK_NSA_INS5_IJNSE_INSF_IiEEEESM_EEEEEPS7_SP_SP_NSC_11hip_rocprim7__merge17predicate_wrapperIiiNSC_4lessIiEEEEEE10hipError_tPvRmT0_T1_T2_T3_T4_T5_mmT6_P12ihipStream_tbEUlT_E0_NS1_11comp_targetILNS1_3genE0ELNS1_11target_archE4294967295ELNS1_3gpuE0ELNS1_3repE0EEENS1_30default_config_static_selectorELNS0_4arch9wavefront6targetE0EEEvS10_,comdat
	.protected	_ZN7rocprim17ROCPRIM_400000_NS6detail17trampoline_kernelINS0_14default_configENS1_21merge_config_selectorINS0_5tupleIJiiEEENS0_10empty_typeEEEZNS1_10merge_implIS3_NS0_12zip_iteratorINS5_IJN6thrust23THRUST_200600_302600_NS6detail15normal_iteratorINSC_10device_ptrIKiEEEESI_EEEEESK_NSA_INS5_IJNSE_INSF_IiEEEESM_EEEEEPS7_SP_SP_NSC_11hip_rocprim7__merge17predicate_wrapperIiiNSC_4lessIiEEEEEE10hipError_tPvRmT0_T1_T2_T3_T4_T5_mmT6_P12ihipStream_tbEUlT_E0_NS1_11comp_targetILNS1_3genE0ELNS1_11target_archE4294967295ELNS1_3gpuE0ELNS1_3repE0EEENS1_30default_config_static_selectorELNS0_4arch9wavefront6targetE0EEEvS10_ ; -- Begin function _ZN7rocprim17ROCPRIM_400000_NS6detail17trampoline_kernelINS0_14default_configENS1_21merge_config_selectorINS0_5tupleIJiiEEENS0_10empty_typeEEEZNS1_10merge_implIS3_NS0_12zip_iteratorINS5_IJN6thrust23THRUST_200600_302600_NS6detail15normal_iteratorINSC_10device_ptrIKiEEEESI_EEEEESK_NSA_INS5_IJNSE_INSF_IiEEEESM_EEEEEPS7_SP_SP_NSC_11hip_rocprim7__merge17predicate_wrapperIiiNSC_4lessIiEEEEEE10hipError_tPvRmT0_T1_T2_T3_T4_T5_mmT6_P12ihipStream_tbEUlT_E0_NS1_11comp_targetILNS1_3genE0ELNS1_11target_archE4294967295ELNS1_3gpuE0ELNS1_3repE0EEENS1_30default_config_static_selectorELNS0_4arch9wavefront6targetE0EEEvS10_
	.globl	_ZN7rocprim17ROCPRIM_400000_NS6detail17trampoline_kernelINS0_14default_configENS1_21merge_config_selectorINS0_5tupleIJiiEEENS0_10empty_typeEEEZNS1_10merge_implIS3_NS0_12zip_iteratorINS5_IJN6thrust23THRUST_200600_302600_NS6detail15normal_iteratorINSC_10device_ptrIKiEEEESI_EEEEESK_NSA_INS5_IJNSE_INSF_IiEEEESM_EEEEEPS7_SP_SP_NSC_11hip_rocprim7__merge17predicate_wrapperIiiNSC_4lessIiEEEEEE10hipError_tPvRmT0_T1_T2_T3_T4_T5_mmT6_P12ihipStream_tbEUlT_E0_NS1_11comp_targetILNS1_3genE0ELNS1_11target_archE4294967295ELNS1_3gpuE0ELNS1_3repE0EEENS1_30default_config_static_selectorELNS0_4arch9wavefront6targetE0EEEvS10_
	.p2align	8
	.type	_ZN7rocprim17ROCPRIM_400000_NS6detail17trampoline_kernelINS0_14default_configENS1_21merge_config_selectorINS0_5tupleIJiiEEENS0_10empty_typeEEEZNS1_10merge_implIS3_NS0_12zip_iteratorINS5_IJN6thrust23THRUST_200600_302600_NS6detail15normal_iteratorINSC_10device_ptrIKiEEEESI_EEEEESK_NSA_INS5_IJNSE_INSF_IiEEEESM_EEEEEPS7_SP_SP_NSC_11hip_rocprim7__merge17predicate_wrapperIiiNSC_4lessIiEEEEEE10hipError_tPvRmT0_T1_T2_T3_T4_T5_mmT6_P12ihipStream_tbEUlT_E0_NS1_11comp_targetILNS1_3genE0ELNS1_11target_archE4294967295ELNS1_3gpuE0ELNS1_3repE0EEENS1_30default_config_static_selectorELNS0_4arch9wavefront6targetE0EEEvS10_,@function
_ZN7rocprim17ROCPRIM_400000_NS6detail17trampoline_kernelINS0_14default_configENS1_21merge_config_selectorINS0_5tupleIJiiEEENS0_10empty_typeEEEZNS1_10merge_implIS3_NS0_12zip_iteratorINS5_IJN6thrust23THRUST_200600_302600_NS6detail15normal_iteratorINSC_10device_ptrIKiEEEESI_EEEEESK_NSA_INS5_IJNSE_INSF_IiEEEESM_EEEEEPS7_SP_SP_NSC_11hip_rocprim7__merge17predicate_wrapperIiiNSC_4lessIiEEEEEE10hipError_tPvRmT0_T1_T2_T3_T4_T5_mmT6_P12ihipStream_tbEUlT_E0_NS1_11comp_targetILNS1_3genE0ELNS1_11target_archE4294967295ELNS1_3gpuE0ELNS1_3repE0EEENS1_30default_config_static_selectorELNS0_4arch9wavefront6targetE0EEEvS10_: ; @_ZN7rocprim17ROCPRIM_400000_NS6detail17trampoline_kernelINS0_14default_configENS1_21merge_config_selectorINS0_5tupleIJiiEEENS0_10empty_typeEEEZNS1_10merge_implIS3_NS0_12zip_iteratorINS5_IJN6thrust23THRUST_200600_302600_NS6detail15normal_iteratorINSC_10device_ptrIKiEEEESI_EEEEESK_NSA_INS5_IJNSE_INSF_IiEEEESM_EEEEEPS7_SP_SP_NSC_11hip_rocprim7__merge17predicate_wrapperIiiNSC_4lessIiEEEEEE10hipError_tPvRmT0_T1_T2_T3_T4_T5_mmT6_P12ihipStream_tbEUlT_E0_NS1_11comp_targetILNS1_3genE0ELNS1_11target_archE4294967295ELNS1_3gpuE0ELNS1_3repE0EEENS1_30default_config_static_selectorELNS0_4arch9wavefront6targetE0EEEvS10_
; %bb.0:
	.section	.rodata,"a",@progbits
	.p2align	6, 0x0
	.amdhsa_kernel _ZN7rocprim17ROCPRIM_400000_NS6detail17trampoline_kernelINS0_14default_configENS1_21merge_config_selectorINS0_5tupleIJiiEEENS0_10empty_typeEEEZNS1_10merge_implIS3_NS0_12zip_iteratorINS5_IJN6thrust23THRUST_200600_302600_NS6detail15normal_iteratorINSC_10device_ptrIKiEEEESI_EEEEESK_NSA_INS5_IJNSE_INSF_IiEEEESM_EEEEEPS7_SP_SP_NSC_11hip_rocprim7__merge17predicate_wrapperIiiNSC_4lessIiEEEEEE10hipError_tPvRmT0_T1_T2_T3_T4_T5_mmT6_P12ihipStream_tbEUlT_E0_NS1_11comp_targetILNS1_3genE0ELNS1_11target_archE4294967295ELNS1_3gpuE0ELNS1_3repE0EEENS1_30default_config_static_selectorELNS0_4arch9wavefront6targetE0EEEvS10_
		.amdhsa_group_segment_fixed_size 0
		.amdhsa_private_segment_fixed_size 0
		.amdhsa_kernarg_size 112
		.amdhsa_user_sgpr_count 6
		.amdhsa_user_sgpr_private_segment_buffer 1
		.amdhsa_user_sgpr_dispatch_ptr 0
		.amdhsa_user_sgpr_queue_ptr 0
		.amdhsa_user_sgpr_kernarg_segment_ptr 1
		.amdhsa_user_sgpr_dispatch_id 0
		.amdhsa_user_sgpr_flat_scratch_init 0
		.amdhsa_user_sgpr_private_segment_size 0
		.amdhsa_wavefront_size32 1
		.amdhsa_uses_dynamic_stack 0
		.amdhsa_system_sgpr_private_segment_wavefront_offset 0
		.amdhsa_system_sgpr_workgroup_id_x 1
		.amdhsa_system_sgpr_workgroup_id_y 0
		.amdhsa_system_sgpr_workgroup_id_z 0
		.amdhsa_system_sgpr_workgroup_info 0
		.amdhsa_system_vgpr_workitem_id 0
		.amdhsa_next_free_vgpr 1
		.amdhsa_next_free_sgpr 1
		.amdhsa_reserve_vcc 0
		.amdhsa_reserve_flat_scratch 0
		.amdhsa_float_round_mode_32 0
		.amdhsa_float_round_mode_16_64 0
		.amdhsa_float_denorm_mode_32 3
		.amdhsa_float_denorm_mode_16_64 3
		.amdhsa_dx10_clamp 1
		.amdhsa_ieee_mode 1
		.amdhsa_fp16_overflow 0
		.amdhsa_workgroup_processor_mode 1
		.amdhsa_memory_ordered 1
		.amdhsa_forward_progress 1
		.amdhsa_shared_vgpr_count 0
		.amdhsa_exception_fp_ieee_invalid_op 0
		.amdhsa_exception_fp_denorm_src 0
		.amdhsa_exception_fp_ieee_div_zero 0
		.amdhsa_exception_fp_ieee_overflow 0
		.amdhsa_exception_fp_ieee_underflow 0
		.amdhsa_exception_fp_ieee_inexact 0
		.amdhsa_exception_int_div_zero 0
	.end_amdhsa_kernel
	.section	.text._ZN7rocprim17ROCPRIM_400000_NS6detail17trampoline_kernelINS0_14default_configENS1_21merge_config_selectorINS0_5tupleIJiiEEENS0_10empty_typeEEEZNS1_10merge_implIS3_NS0_12zip_iteratorINS5_IJN6thrust23THRUST_200600_302600_NS6detail15normal_iteratorINSC_10device_ptrIKiEEEESI_EEEEESK_NSA_INS5_IJNSE_INSF_IiEEEESM_EEEEEPS7_SP_SP_NSC_11hip_rocprim7__merge17predicate_wrapperIiiNSC_4lessIiEEEEEE10hipError_tPvRmT0_T1_T2_T3_T4_T5_mmT6_P12ihipStream_tbEUlT_E0_NS1_11comp_targetILNS1_3genE0ELNS1_11target_archE4294967295ELNS1_3gpuE0ELNS1_3repE0EEENS1_30default_config_static_selectorELNS0_4arch9wavefront6targetE0EEEvS10_,"axG",@progbits,_ZN7rocprim17ROCPRIM_400000_NS6detail17trampoline_kernelINS0_14default_configENS1_21merge_config_selectorINS0_5tupleIJiiEEENS0_10empty_typeEEEZNS1_10merge_implIS3_NS0_12zip_iteratorINS5_IJN6thrust23THRUST_200600_302600_NS6detail15normal_iteratorINSC_10device_ptrIKiEEEESI_EEEEESK_NSA_INS5_IJNSE_INSF_IiEEEESM_EEEEEPS7_SP_SP_NSC_11hip_rocprim7__merge17predicate_wrapperIiiNSC_4lessIiEEEEEE10hipError_tPvRmT0_T1_T2_T3_T4_T5_mmT6_P12ihipStream_tbEUlT_E0_NS1_11comp_targetILNS1_3genE0ELNS1_11target_archE4294967295ELNS1_3gpuE0ELNS1_3repE0EEENS1_30default_config_static_selectorELNS0_4arch9wavefront6targetE0EEEvS10_,comdat
.Lfunc_end252:
	.size	_ZN7rocprim17ROCPRIM_400000_NS6detail17trampoline_kernelINS0_14default_configENS1_21merge_config_selectorINS0_5tupleIJiiEEENS0_10empty_typeEEEZNS1_10merge_implIS3_NS0_12zip_iteratorINS5_IJN6thrust23THRUST_200600_302600_NS6detail15normal_iteratorINSC_10device_ptrIKiEEEESI_EEEEESK_NSA_INS5_IJNSE_INSF_IiEEEESM_EEEEEPS7_SP_SP_NSC_11hip_rocprim7__merge17predicate_wrapperIiiNSC_4lessIiEEEEEE10hipError_tPvRmT0_T1_T2_T3_T4_T5_mmT6_P12ihipStream_tbEUlT_E0_NS1_11comp_targetILNS1_3genE0ELNS1_11target_archE4294967295ELNS1_3gpuE0ELNS1_3repE0EEENS1_30default_config_static_selectorELNS0_4arch9wavefront6targetE0EEEvS10_, .Lfunc_end252-_ZN7rocprim17ROCPRIM_400000_NS6detail17trampoline_kernelINS0_14default_configENS1_21merge_config_selectorINS0_5tupleIJiiEEENS0_10empty_typeEEEZNS1_10merge_implIS3_NS0_12zip_iteratorINS5_IJN6thrust23THRUST_200600_302600_NS6detail15normal_iteratorINSC_10device_ptrIKiEEEESI_EEEEESK_NSA_INS5_IJNSE_INSF_IiEEEESM_EEEEEPS7_SP_SP_NSC_11hip_rocprim7__merge17predicate_wrapperIiiNSC_4lessIiEEEEEE10hipError_tPvRmT0_T1_T2_T3_T4_T5_mmT6_P12ihipStream_tbEUlT_E0_NS1_11comp_targetILNS1_3genE0ELNS1_11target_archE4294967295ELNS1_3gpuE0ELNS1_3repE0EEENS1_30default_config_static_selectorELNS0_4arch9wavefront6targetE0EEEvS10_
                                        ; -- End function
	.set _ZN7rocprim17ROCPRIM_400000_NS6detail17trampoline_kernelINS0_14default_configENS1_21merge_config_selectorINS0_5tupleIJiiEEENS0_10empty_typeEEEZNS1_10merge_implIS3_NS0_12zip_iteratorINS5_IJN6thrust23THRUST_200600_302600_NS6detail15normal_iteratorINSC_10device_ptrIKiEEEESI_EEEEESK_NSA_INS5_IJNSE_INSF_IiEEEESM_EEEEEPS7_SP_SP_NSC_11hip_rocprim7__merge17predicate_wrapperIiiNSC_4lessIiEEEEEE10hipError_tPvRmT0_T1_T2_T3_T4_T5_mmT6_P12ihipStream_tbEUlT_E0_NS1_11comp_targetILNS1_3genE0ELNS1_11target_archE4294967295ELNS1_3gpuE0ELNS1_3repE0EEENS1_30default_config_static_selectorELNS0_4arch9wavefront6targetE0EEEvS10_.num_vgpr, 0
	.set _ZN7rocprim17ROCPRIM_400000_NS6detail17trampoline_kernelINS0_14default_configENS1_21merge_config_selectorINS0_5tupleIJiiEEENS0_10empty_typeEEEZNS1_10merge_implIS3_NS0_12zip_iteratorINS5_IJN6thrust23THRUST_200600_302600_NS6detail15normal_iteratorINSC_10device_ptrIKiEEEESI_EEEEESK_NSA_INS5_IJNSE_INSF_IiEEEESM_EEEEEPS7_SP_SP_NSC_11hip_rocprim7__merge17predicate_wrapperIiiNSC_4lessIiEEEEEE10hipError_tPvRmT0_T1_T2_T3_T4_T5_mmT6_P12ihipStream_tbEUlT_E0_NS1_11comp_targetILNS1_3genE0ELNS1_11target_archE4294967295ELNS1_3gpuE0ELNS1_3repE0EEENS1_30default_config_static_selectorELNS0_4arch9wavefront6targetE0EEEvS10_.num_agpr, 0
	.set _ZN7rocprim17ROCPRIM_400000_NS6detail17trampoline_kernelINS0_14default_configENS1_21merge_config_selectorINS0_5tupleIJiiEEENS0_10empty_typeEEEZNS1_10merge_implIS3_NS0_12zip_iteratorINS5_IJN6thrust23THRUST_200600_302600_NS6detail15normal_iteratorINSC_10device_ptrIKiEEEESI_EEEEESK_NSA_INS5_IJNSE_INSF_IiEEEESM_EEEEEPS7_SP_SP_NSC_11hip_rocprim7__merge17predicate_wrapperIiiNSC_4lessIiEEEEEE10hipError_tPvRmT0_T1_T2_T3_T4_T5_mmT6_P12ihipStream_tbEUlT_E0_NS1_11comp_targetILNS1_3genE0ELNS1_11target_archE4294967295ELNS1_3gpuE0ELNS1_3repE0EEENS1_30default_config_static_selectorELNS0_4arch9wavefront6targetE0EEEvS10_.numbered_sgpr, 0
	.set _ZN7rocprim17ROCPRIM_400000_NS6detail17trampoline_kernelINS0_14default_configENS1_21merge_config_selectorINS0_5tupleIJiiEEENS0_10empty_typeEEEZNS1_10merge_implIS3_NS0_12zip_iteratorINS5_IJN6thrust23THRUST_200600_302600_NS6detail15normal_iteratorINSC_10device_ptrIKiEEEESI_EEEEESK_NSA_INS5_IJNSE_INSF_IiEEEESM_EEEEEPS7_SP_SP_NSC_11hip_rocprim7__merge17predicate_wrapperIiiNSC_4lessIiEEEEEE10hipError_tPvRmT0_T1_T2_T3_T4_T5_mmT6_P12ihipStream_tbEUlT_E0_NS1_11comp_targetILNS1_3genE0ELNS1_11target_archE4294967295ELNS1_3gpuE0ELNS1_3repE0EEENS1_30default_config_static_selectorELNS0_4arch9wavefront6targetE0EEEvS10_.num_named_barrier, 0
	.set _ZN7rocprim17ROCPRIM_400000_NS6detail17trampoline_kernelINS0_14default_configENS1_21merge_config_selectorINS0_5tupleIJiiEEENS0_10empty_typeEEEZNS1_10merge_implIS3_NS0_12zip_iteratorINS5_IJN6thrust23THRUST_200600_302600_NS6detail15normal_iteratorINSC_10device_ptrIKiEEEESI_EEEEESK_NSA_INS5_IJNSE_INSF_IiEEEESM_EEEEEPS7_SP_SP_NSC_11hip_rocprim7__merge17predicate_wrapperIiiNSC_4lessIiEEEEEE10hipError_tPvRmT0_T1_T2_T3_T4_T5_mmT6_P12ihipStream_tbEUlT_E0_NS1_11comp_targetILNS1_3genE0ELNS1_11target_archE4294967295ELNS1_3gpuE0ELNS1_3repE0EEENS1_30default_config_static_selectorELNS0_4arch9wavefront6targetE0EEEvS10_.private_seg_size, 0
	.set _ZN7rocprim17ROCPRIM_400000_NS6detail17trampoline_kernelINS0_14default_configENS1_21merge_config_selectorINS0_5tupleIJiiEEENS0_10empty_typeEEEZNS1_10merge_implIS3_NS0_12zip_iteratorINS5_IJN6thrust23THRUST_200600_302600_NS6detail15normal_iteratorINSC_10device_ptrIKiEEEESI_EEEEESK_NSA_INS5_IJNSE_INSF_IiEEEESM_EEEEEPS7_SP_SP_NSC_11hip_rocprim7__merge17predicate_wrapperIiiNSC_4lessIiEEEEEE10hipError_tPvRmT0_T1_T2_T3_T4_T5_mmT6_P12ihipStream_tbEUlT_E0_NS1_11comp_targetILNS1_3genE0ELNS1_11target_archE4294967295ELNS1_3gpuE0ELNS1_3repE0EEENS1_30default_config_static_selectorELNS0_4arch9wavefront6targetE0EEEvS10_.uses_vcc, 0
	.set _ZN7rocprim17ROCPRIM_400000_NS6detail17trampoline_kernelINS0_14default_configENS1_21merge_config_selectorINS0_5tupleIJiiEEENS0_10empty_typeEEEZNS1_10merge_implIS3_NS0_12zip_iteratorINS5_IJN6thrust23THRUST_200600_302600_NS6detail15normal_iteratorINSC_10device_ptrIKiEEEESI_EEEEESK_NSA_INS5_IJNSE_INSF_IiEEEESM_EEEEEPS7_SP_SP_NSC_11hip_rocprim7__merge17predicate_wrapperIiiNSC_4lessIiEEEEEE10hipError_tPvRmT0_T1_T2_T3_T4_T5_mmT6_P12ihipStream_tbEUlT_E0_NS1_11comp_targetILNS1_3genE0ELNS1_11target_archE4294967295ELNS1_3gpuE0ELNS1_3repE0EEENS1_30default_config_static_selectorELNS0_4arch9wavefront6targetE0EEEvS10_.uses_flat_scratch, 0
	.set _ZN7rocprim17ROCPRIM_400000_NS6detail17trampoline_kernelINS0_14default_configENS1_21merge_config_selectorINS0_5tupleIJiiEEENS0_10empty_typeEEEZNS1_10merge_implIS3_NS0_12zip_iteratorINS5_IJN6thrust23THRUST_200600_302600_NS6detail15normal_iteratorINSC_10device_ptrIKiEEEESI_EEEEESK_NSA_INS5_IJNSE_INSF_IiEEEESM_EEEEEPS7_SP_SP_NSC_11hip_rocprim7__merge17predicate_wrapperIiiNSC_4lessIiEEEEEE10hipError_tPvRmT0_T1_T2_T3_T4_T5_mmT6_P12ihipStream_tbEUlT_E0_NS1_11comp_targetILNS1_3genE0ELNS1_11target_archE4294967295ELNS1_3gpuE0ELNS1_3repE0EEENS1_30default_config_static_selectorELNS0_4arch9wavefront6targetE0EEEvS10_.has_dyn_sized_stack, 0
	.set _ZN7rocprim17ROCPRIM_400000_NS6detail17trampoline_kernelINS0_14default_configENS1_21merge_config_selectorINS0_5tupleIJiiEEENS0_10empty_typeEEEZNS1_10merge_implIS3_NS0_12zip_iteratorINS5_IJN6thrust23THRUST_200600_302600_NS6detail15normal_iteratorINSC_10device_ptrIKiEEEESI_EEEEESK_NSA_INS5_IJNSE_INSF_IiEEEESM_EEEEEPS7_SP_SP_NSC_11hip_rocprim7__merge17predicate_wrapperIiiNSC_4lessIiEEEEEE10hipError_tPvRmT0_T1_T2_T3_T4_T5_mmT6_P12ihipStream_tbEUlT_E0_NS1_11comp_targetILNS1_3genE0ELNS1_11target_archE4294967295ELNS1_3gpuE0ELNS1_3repE0EEENS1_30default_config_static_selectorELNS0_4arch9wavefront6targetE0EEEvS10_.has_recursion, 0
	.set _ZN7rocprim17ROCPRIM_400000_NS6detail17trampoline_kernelINS0_14default_configENS1_21merge_config_selectorINS0_5tupleIJiiEEENS0_10empty_typeEEEZNS1_10merge_implIS3_NS0_12zip_iteratorINS5_IJN6thrust23THRUST_200600_302600_NS6detail15normal_iteratorINSC_10device_ptrIKiEEEESI_EEEEESK_NSA_INS5_IJNSE_INSF_IiEEEESM_EEEEEPS7_SP_SP_NSC_11hip_rocprim7__merge17predicate_wrapperIiiNSC_4lessIiEEEEEE10hipError_tPvRmT0_T1_T2_T3_T4_T5_mmT6_P12ihipStream_tbEUlT_E0_NS1_11comp_targetILNS1_3genE0ELNS1_11target_archE4294967295ELNS1_3gpuE0ELNS1_3repE0EEENS1_30default_config_static_selectorELNS0_4arch9wavefront6targetE0EEEvS10_.has_indirect_call, 0
	.section	.AMDGPU.csdata,"",@progbits
; Kernel info:
; codeLenInByte = 0
; TotalNumSgprs: 0
; NumVgprs: 0
; ScratchSize: 0
; MemoryBound: 0
; FloatMode: 240
; IeeeMode: 1
; LDSByteSize: 0 bytes/workgroup (compile time only)
; SGPRBlocks: 0
; VGPRBlocks: 0
; NumSGPRsForWavesPerEU: 1
; NumVGPRsForWavesPerEU: 1
; Occupancy: 16
; WaveLimiterHint : 0
; COMPUTE_PGM_RSRC2:SCRATCH_EN: 0
; COMPUTE_PGM_RSRC2:USER_SGPR: 6
; COMPUTE_PGM_RSRC2:TRAP_HANDLER: 0
; COMPUTE_PGM_RSRC2:TGID_X_EN: 1
; COMPUTE_PGM_RSRC2:TGID_Y_EN: 0
; COMPUTE_PGM_RSRC2:TGID_Z_EN: 0
; COMPUTE_PGM_RSRC2:TIDIG_COMP_CNT: 0
	.section	.text._ZN7rocprim17ROCPRIM_400000_NS6detail17trampoline_kernelINS0_14default_configENS1_21merge_config_selectorINS0_5tupleIJiiEEENS0_10empty_typeEEEZNS1_10merge_implIS3_NS0_12zip_iteratorINS5_IJN6thrust23THRUST_200600_302600_NS6detail15normal_iteratorINSC_10device_ptrIKiEEEESI_EEEEESK_NSA_INS5_IJNSE_INSF_IiEEEESM_EEEEEPS7_SP_SP_NSC_11hip_rocprim7__merge17predicate_wrapperIiiNSC_4lessIiEEEEEE10hipError_tPvRmT0_T1_T2_T3_T4_T5_mmT6_P12ihipStream_tbEUlT_E0_NS1_11comp_targetILNS1_3genE5ELNS1_11target_archE942ELNS1_3gpuE9ELNS1_3repE0EEENS1_30default_config_static_selectorELNS0_4arch9wavefront6targetE0EEEvS10_,"axG",@progbits,_ZN7rocprim17ROCPRIM_400000_NS6detail17trampoline_kernelINS0_14default_configENS1_21merge_config_selectorINS0_5tupleIJiiEEENS0_10empty_typeEEEZNS1_10merge_implIS3_NS0_12zip_iteratorINS5_IJN6thrust23THRUST_200600_302600_NS6detail15normal_iteratorINSC_10device_ptrIKiEEEESI_EEEEESK_NSA_INS5_IJNSE_INSF_IiEEEESM_EEEEEPS7_SP_SP_NSC_11hip_rocprim7__merge17predicate_wrapperIiiNSC_4lessIiEEEEEE10hipError_tPvRmT0_T1_T2_T3_T4_T5_mmT6_P12ihipStream_tbEUlT_E0_NS1_11comp_targetILNS1_3genE5ELNS1_11target_archE942ELNS1_3gpuE9ELNS1_3repE0EEENS1_30default_config_static_selectorELNS0_4arch9wavefront6targetE0EEEvS10_,comdat
	.protected	_ZN7rocprim17ROCPRIM_400000_NS6detail17trampoline_kernelINS0_14default_configENS1_21merge_config_selectorINS0_5tupleIJiiEEENS0_10empty_typeEEEZNS1_10merge_implIS3_NS0_12zip_iteratorINS5_IJN6thrust23THRUST_200600_302600_NS6detail15normal_iteratorINSC_10device_ptrIKiEEEESI_EEEEESK_NSA_INS5_IJNSE_INSF_IiEEEESM_EEEEEPS7_SP_SP_NSC_11hip_rocprim7__merge17predicate_wrapperIiiNSC_4lessIiEEEEEE10hipError_tPvRmT0_T1_T2_T3_T4_T5_mmT6_P12ihipStream_tbEUlT_E0_NS1_11comp_targetILNS1_3genE5ELNS1_11target_archE942ELNS1_3gpuE9ELNS1_3repE0EEENS1_30default_config_static_selectorELNS0_4arch9wavefront6targetE0EEEvS10_ ; -- Begin function _ZN7rocprim17ROCPRIM_400000_NS6detail17trampoline_kernelINS0_14default_configENS1_21merge_config_selectorINS0_5tupleIJiiEEENS0_10empty_typeEEEZNS1_10merge_implIS3_NS0_12zip_iteratorINS5_IJN6thrust23THRUST_200600_302600_NS6detail15normal_iteratorINSC_10device_ptrIKiEEEESI_EEEEESK_NSA_INS5_IJNSE_INSF_IiEEEESM_EEEEEPS7_SP_SP_NSC_11hip_rocprim7__merge17predicate_wrapperIiiNSC_4lessIiEEEEEE10hipError_tPvRmT0_T1_T2_T3_T4_T5_mmT6_P12ihipStream_tbEUlT_E0_NS1_11comp_targetILNS1_3genE5ELNS1_11target_archE942ELNS1_3gpuE9ELNS1_3repE0EEENS1_30default_config_static_selectorELNS0_4arch9wavefront6targetE0EEEvS10_
	.globl	_ZN7rocprim17ROCPRIM_400000_NS6detail17trampoline_kernelINS0_14default_configENS1_21merge_config_selectorINS0_5tupleIJiiEEENS0_10empty_typeEEEZNS1_10merge_implIS3_NS0_12zip_iteratorINS5_IJN6thrust23THRUST_200600_302600_NS6detail15normal_iteratorINSC_10device_ptrIKiEEEESI_EEEEESK_NSA_INS5_IJNSE_INSF_IiEEEESM_EEEEEPS7_SP_SP_NSC_11hip_rocprim7__merge17predicate_wrapperIiiNSC_4lessIiEEEEEE10hipError_tPvRmT0_T1_T2_T3_T4_T5_mmT6_P12ihipStream_tbEUlT_E0_NS1_11comp_targetILNS1_3genE5ELNS1_11target_archE942ELNS1_3gpuE9ELNS1_3repE0EEENS1_30default_config_static_selectorELNS0_4arch9wavefront6targetE0EEEvS10_
	.p2align	8
	.type	_ZN7rocprim17ROCPRIM_400000_NS6detail17trampoline_kernelINS0_14default_configENS1_21merge_config_selectorINS0_5tupleIJiiEEENS0_10empty_typeEEEZNS1_10merge_implIS3_NS0_12zip_iteratorINS5_IJN6thrust23THRUST_200600_302600_NS6detail15normal_iteratorINSC_10device_ptrIKiEEEESI_EEEEESK_NSA_INS5_IJNSE_INSF_IiEEEESM_EEEEEPS7_SP_SP_NSC_11hip_rocprim7__merge17predicate_wrapperIiiNSC_4lessIiEEEEEE10hipError_tPvRmT0_T1_T2_T3_T4_T5_mmT6_P12ihipStream_tbEUlT_E0_NS1_11comp_targetILNS1_3genE5ELNS1_11target_archE942ELNS1_3gpuE9ELNS1_3repE0EEENS1_30default_config_static_selectorELNS0_4arch9wavefront6targetE0EEEvS10_,@function
_ZN7rocprim17ROCPRIM_400000_NS6detail17trampoline_kernelINS0_14default_configENS1_21merge_config_selectorINS0_5tupleIJiiEEENS0_10empty_typeEEEZNS1_10merge_implIS3_NS0_12zip_iteratorINS5_IJN6thrust23THRUST_200600_302600_NS6detail15normal_iteratorINSC_10device_ptrIKiEEEESI_EEEEESK_NSA_INS5_IJNSE_INSF_IiEEEESM_EEEEEPS7_SP_SP_NSC_11hip_rocprim7__merge17predicate_wrapperIiiNSC_4lessIiEEEEEE10hipError_tPvRmT0_T1_T2_T3_T4_T5_mmT6_P12ihipStream_tbEUlT_E0_NS1_11comp_targetILNS1_3genE5ELNS1_11target_archE942ELNS1_3gpuE9ELNS1_3repE0EEENS1_30default_config_static_selectorELNS0_4arch9wavefront6targetE0EEEvS10_: ; @_ZN7rocprim17ROCPRIM_400000_NS6detail17trampoline_kernelINS0_14default_configENS1_21merge_config_selectorINS0_5tupleIJiiEEENS0_10empty_typeEEEZNS1_10merge_implIS3_NS0_12zip_iteratorINS5_IJN6thrust23THRUST_200600_302600_NS6detail15normal_iteratorINSC_10device_ptrIKiEEEESI_EEEEESK_NSA_INS5_IJNSE_INSF_IiEEEESM_EEEEEPS7_SP_SP_NSC_11hip_rocprim7__merge17predicate_wrapperIiiNSC_4lessIiEEEEEE10hipError_tPvRmT0_T1_T2_T3_T4_T5_mmT6_P12ihipStream_tbEUlT_E0_NS1_11comp_targetILNS1_3genE5ELNS1_11target_archE942ELNS1_3gpuE9ELNS1_3repE0EEENS1_30default_config_static_selectorELNS0_4arch9wavefront6targetE0EEEvS10_
; %bb.0:
	.section	.rodata,"a",@progbits
	.p2align	6, 0x0
	.amdhsa_kernel _ZN7rocprim17ROCPRIM_400000_NS6detail17trampoline_kernelINS0_14default_configENS1_21merge_config_selectorINS0_5tupleIJiiEEENS0_10empty_typeEEEZNS1_10merge_implIS3_NS0_12zip_iteratorINS5_IJN6thrust23THRUST_200600_302600_NS6detail15normal_iteratorINSC_10device_ptrIKiEEEESI_EEEEESK_NSA_INS5_IJNSE_INSF_IiEEEESM_EEEEEPS7_SP_SP_NSC_11hip_rocprim7__merge17predicate_wrapperIiiNSC_4lessIiEEEEEE10hipError_tPvRmT0_T1_T2_T3_T4_T5_mmT6_P12ihipStream_tbEUlT_E0_NS1_11comp_targetILNS1_3genE5ELNS1_11target_archE942ELNS1_3gpuE9ELNS1_3repE0EEENS1_30default_config_static_selectorELNS0_4arch9wavefront6targetE0EEEvS10_
		.amdhsa_group_segment_fixed_size 0
		.amdhsa_private_segment_fixed_size 0
		.amdhsa_kernarg_size 112
		.amdhsa_user_sgpr_count 6
		.amdhsa_user_sgpr_private_segment_buffer 1
		.amdhsa_user_sgpr_dispatch_ptr 0
		.amdhsa_user_sgpr_queue_ptr 0
		.amdhsa_user_sgpr_kernarg_segment_ptr 1
		.amdhsa_user_sgpr_dispatch_id 0
		.amdhsa_user_sgpr_flat_scratch_init 0
		.amdhsa_user_sgpr_private_segment_size 0
		.amdhsa_wavefront_size32 1
		.amdhsa_uses_dynamic_stack 0
		.amdhsa_system_sgpr_private_segment_wavefront_offset 0
		.amdhsa_system_sgpr_workgroup_id_x 1
		.amdhsa_system_sgpr_workgroup_id_y 0
		.amdhsa_system_sgpr_workgroup_id_z 0
		.amdhsa_system_sgpr_workgroup_info 0
		.amdhsa_system_vgpr_workitem_id 0
		.amdhsa_next_free_vgpr 1
		.amdhsa_next_free_sgpr 1
		.amdhsa_reserve_vcc 0
		.amdhsa_reserve_flat_scratch 0
		.amdhsa_float_round_mode_32 0
		.amdhsa_float_round_mode_16_64 0
		.amdhsa_float_denorm_mode_32 3
		.amdhsa_float_denorm_mode_16_64 3
		.amdhsa_dx10_clamp 1
		.amdhsa_ieee_mode 1
		.amdhsa_fp16_overflow 0
		.amdhsa_workgroup_processor_mode 1
		.amdhsa_memory_ordered 1
		.amdhsa_forward_progress 1
		.amdhsa_shared_vgpr_count 0
		.amdhsa_exception_fp_ieee_invalid_op 0
		.amdhsa_exception_fp_denorm_src 0
		.amdhsa_exception_fp_ieee_div_zero 0
		.amdhsa_exception_fp_ieee_overflow 0
		.amdhsa_exception_fp_ieee_underflow 0
		.amdhsa_exception_fp_ieee_inexact 0
		.amdhsa_exception_int_div_zero 0
	.end_amdhsa_kernel
	.section	.text._ZN7rocprim17ROCPRIM_400000_NS6detail17trampoline_kernelINS0_14default_configENS1_21merge_config_selectorINS0_5tupleIJiiEEENS0_10empty_typeEEEZNS1_10merge_implIS3_NS0_12zip_iteratorINS5_IJN6thrust23THRUST_200600_302600_NS6detail15normal_iteratorINSC_10device_ptrIKiEEEESI_EEEEESK_NSA_INS5_IJNSE_INSF_IiEEEESM_EEEEEPS7_SP_SP_NSC_11hip_rocprim7__merge17predicate_wrapperIiiNSC_4lessIiEEEEEE10hipError_tPvRmT0_T1_T2_T3_T4_T5_mmT6_P12ihipStream_tbEUlT_E0_NS1_11comp_targetILNS1_3genE5ELNS1_11target_archE942ELNS1_3gpuE9ELNS1_3repE0EEENS1_30default_config_static_selectorELNS0_4arch9wavefront6targetE0EEEvS10_,"axG",@progbits,_ZN7rocprim17ROCPRIM_400000_NS6detail17trampoline_kernelINS0_14default_configENS1_21merge_config_selectorINS0_5tupleIJiiEEENS0_10empty_typeEEEZNS1_10merge_implIS3_NS0_12zip_iteratorINS5_IJN6thrust23THRUST_200600_302600_NS6detail15normal_iteratorINSC_10device_ptrIKiEEEESI_EEEEESK_NSA_INS5_IJNSE_INSF_IiEEEESM_EEEEEPS7_SP_SP_NSC_11hip_rocprim7__merge17predicate_wrapperIiiNSC_4lessIiEEEEEE10hipError_tPvRmT0_T1_T2_T3_T4_T5_mmT6_P12ihipStream_tbEUlT_E0_NS1_11comp_targetILNS1_3genE5ELNS1_11target_archE942ELNS1_3gpuE9ELNS1_3repE0EEENS1_30default_config_static_selectorELNS0_4arch9wavefront6targetE0EEEvS10_,comdat
.Lfunc_end253:
	.size	_ZN7rocprim17ROCPRIM_400000_NS6detail17trampoline_kernelINS0_14default_configENS1_21merge_config_selectorINS0_5tupleIJiiEEENS0_10empty_typeEEEZNS1_10merge_implIS3_NS0_12zip_iteratorINS5_IJN6thrust23THRUST_200600_302600_NS6detail15normal_iteratorINSC_10device_ptrIKiEEEESI_EEEEESK_NSA_INS5_IJNSE_INSF_IiEEEESM_EEEEEPS7_SP_SP_NSC_11hip_rocprim7__merge17predicate_wrapperIiiNSC_4lessIiEEEEEE10hipError_tPvRmT0_T1_T2_T3_T4_T5_mmT6_P12ihipStream_tbEUlT_E0_NS1_11comp_targetILNS1_3genE5ELNS1_11target_archE942ELNS1_3gpuE9ELNS1_3repE0EEENS1_30default_config_static_selectorELNS0_4arch9wavefront6targetE0EEEvS10_, .Lfunc_end253-_ZN7rocprim17ROCPRIM_400000_NS6detail17trampoline_kernelINS0_14default_configENS1_21merge_config_selectorINS0_5tupleIJiiEEENS0_10empty_typeEEEZNS1_10merge_implIS3_NS0_12zip_iteratorINS5_IJN6thrust23THRUST_200600_302600_NS6detail15normal_iteratorINSC_10device_ptrIKiEEEESI_EEEEESK_NSA_INS5_IJNSE_INSF_IiEEEESM_EEEEEPS7_SP_SP_NSC_11hip_rocprim7__merge17predicate_wrapperIiiNSC_4lessIiEEEEEE10hipError_tPvRmT0_T1_T2_T3_T4_T5_mmT6_P12ihipStream_tbEUlT_E0_NS1_11comp_targetILNS1_3genE5ELNS1_11target_archE942ELNS1_3gpuE9ELNS1_3repE0EEENS1_30default_config_static_selectorELNS0_4arch9wavefront6targetE0EEEvS10_
                                        ; -- End function
	.set _ZN7rocprim17ROCPRIM_400000_NS6detail17trampoline_kernelINS0_14default_configENS1_21merge_config_selectorINS0_5tupleIJiiEEENS0_10empty_typeEEEZNS1_10merge_implIS3_NS0_12zip_iteratorINS5_IJN6thrust23THRUST_200600_302600_NS6detail15normal_iteratorINSC_10device_ptrIKiEEEESI_EEEEESK_NSA_INS5_IJNSE_INSF_IiEEEESM_EEEEEPS7_SP_SP_NSC_11hip_rocprim7__merge17predicate_wrapperIiiNSC_4lessIiEEEEEE10hipError_tPvRmT0_T1_T2_T3_T4_T5_mmT6_P12ihipStream_tbEUlT_E0_NS1_11comp_targetILNS1_3genE5ELNS1_11target_archE942ELNS1_3gpuE9ELNS1_3repE0EEENS1_30default_config_static_selectorELNS0_4arch9wavefront6targetE0EEEvS10_.num_vgpr, 0
	.set _ZN7rocprim17ROCPRIM_400000_NS6detail17trampoline_kernelINS0_14default_configENS1_21merge_config_selectorINS0_5tupleIJiiEEENS0_10empty_typeEEEZNS1_10merge_implIS3_NS0_12zip_iteratorINS5_IJN6thrust23THRUST_200600_302600_NS6detail15normal_iteratorINSC_10device_ptrIKiEEEESI_EEEEESK_NSA_INS5_IJNSE_INSF_IiEEEESM_EEEEEPS7_SP_SP_NSC_11hip_rocprim7__merge17predicate_wrapperIiiNSC_4lessIiEEEEEE10hipError_tPvRmT0_T1_T2_T3_T4_T5_mmT6_P12ihipStream_tbEUlT_E0_NS1_11comp_targetILNS1_3genE5ELNS1_11target_archE942ELNS1_3gpuE9ELNS1_3repE0EEENS1_30default_config_static_selectorELNS0_4arch9wavefront6targetE0EEEvS10_.num_agpr, 0
	.set _ZN7rocprim17ROCPRIM_400000_NS6detail17trampoline_kernelINS0_14default_configENS1_21merge_config_selectorINS0_5tupleIJiiEEENS0_10empty_typeEEEZNS1_10merge_implIS3_NS0_12zip_iteratorINS5_IJN6thrust23THRUST_200600_302600_NS6detail15normal_iteratorINSC_10device_ptrIKiEEEESI_EEEEESK_NSA_INS5_IJNSE_INSF_IiEEEESM_EEEEEPS7_SP_SP_NSC_11hip_rocprim7__merge17predicate_wrapperIiiNSC_4lessIiEEEEEE10hipError_tPvRmT0_T1_T2_T3_T4_T5_mmT6_P12ihipStream_tbEUlT_E0_NS1_11comp_targetILNS1_3genE5ELNS1_11target_archE942ELNS1_3gpuE9ELNS1_3repE0EEENS1_30default_config_static_selectorELNS0_4arch9wavefront6targetE0EEEvS10_.numbered_sgpr, 0
	.set _ZN7rocprim17ROCPRIM_400000_NS6detail17trampoline_kernelINS0_14default_configENS1_21merge_config_selectorINS0_5tupleIJiiEEENS0_10empty_typeEEEZNS1_10merge_implIS3_NS0_12zip_iteratorINS5_IJN6thrust23THRUST_200600_302600_NS6detail15normal_iteratorINSC_10device_ptrIKiEEEESI_EEEEESK_NSA_INS5_IJNSE_INSF_IiEEEESM_EEEEEPS7_SP_SP_NSC_11hip_rocprim7__merge17predicate_wrapperIiiNSC_4lessIiEEEEEE10hipError_tPvRmT0_T1_T2_T3_T4_T5_mmT6_P12ihipStream_tbEUlT_E0_NS1_11comp_targetILNS1_3genE5ELNS1_11target_archE942ELNS1_3gpuE9ELNS1_3repE0EEENS1_30default_config_static_selectorELNS0_4arch9wavefront6targetE0EEEvS10_.num_named_barrier, 0
	.set _ZN7rocprim17ROCPRIM_400000_NS6detail17trampoline_kernelINS0_14default_configENS1_21merge_config_selectorINS0_5tupleIJiiEEENS0_10empty_typeEEEZNS1_10merge_implIS3_NS0_12zip_iteratorINS5_IJN6thrust23THRUST_200600_302600_NS6detail15normal_iteratorINSC_10device_ptrIKiEEEESI_EEEEESK_NSA_INS5_IJNSE_INSF_IiEEEESM_EEEEEPS7_SP_SP_NSC_11hip_rocprim7__merge17predicate_wrapperIiiNSC_4lessIiEEEEEE10hipError_tPvRmT0_T1_T2_T3_T4_T5_mmT6_P12ihipStream_tbEUlT_E0_NS1_11comp_targetILNS1_3genE5ELNS1_11target_archE942ELNS1_3gpuE9ELNS1_3repE0EEENS1_30default_config_static_selectorELNS0_4arch9wavefront6targetE0EEEvS10_.private_seg_size, 0
	.set _ZN7rocprim17ROCPRIM_400000_NS6detail17trampoline_kernelINS0_14default_configENS1_21merge_config_selectorINS0_5tupleIJiiEEENS0_10empty_typeEEEZNS1_10merge_implIS3_NS0_12zip_iteratorINS5_IJN6thrust23THRUST_200600_302600_NS6detail15normal_iteratorINSC_10device_ptrIKiEEEESI_EEEEESK_NSA_INS5_IJNSE_INSF_IiEEEESM_EEEEEPS7_SP_SP_NSC_11hip_rocprim7__merge17predicate_wrapperIiiNSC_4lessIiEEEEEE10hipError_tPvRmT0_T1_T2_T3_T4_T5_mmT6_P12ihipStream_tbEUlT_E0_NS1_11comp_targetILNS1_3genE5ELNS1_11target_archE942ELNS1_3gpuE9ELNS1_3repE0EEENS1_30default_config_static_selectorELNS0_4arch9wavefront6targetE0EEEvS10_.uses_vcc, 0
	.set _ZN7rocprim17ROCPRIM_400000_NS6detail17trampoline_kernelINS0_14default_configENS1_21merge_config_selectorINS0_5tupleIJiiEEENS0_10empty_typeEEEZNS1_10merge_implIS3_NS0_12zip_iteratorINS5_IJN6thrust23THRUST_200600_302600_NS6detail15normal_iteratorINSC_10device_ptrIKiEEEESI_EEEEESK_NSA_INS5_IJNSE_INSF_IiEEEESM_EEEEEPS7_SP_SP_NSC_11hip_rocprim7__merge17predicate_wrapperIiiNSC_4lessIiEEEEEE10hipError_tPvRmT0_T1_T2_T3_T4_T5_mmT6_P12ihipStream_tbEUlT_E0_NS1_11comp_targetILNS1_3genE5ELNS1_11target_archE942ELNS1_3gpuE9ELNS1_3repE0EEENS1_30default_config_static_selectorELNS0_4arch9wavefront6targetE0EEEvS10_.uses_flat_scratch, 0
	.set _ZN7rocprim17ROCPRIM_400000_NS6detail17trampoline_kernelINS0_14default_configENS1_21merge_config_selectorINS0_5tupleIJiiEEENS0_10empty_typeEEEZNS1_10merge_implIS3_NS0_12zip_iteratorINS5_IJN6thrust23THRUST_200600_302600_NS6detail15normal_iteratorINSC_10device_ptrIKiEEEESI_EEEEESK_NSA_INS5_IJNSE_INSF_IiEEEESM_EEEEEPS7_SP_SP_NSC_11hip_rocprim7__merge17predicate_wrapperIiiNSC_4lessIiEEEEEE10hipError_tPvRmT0_T1_T2_T3_T4_T5_mmT6_P12ihipStream_tbEUlT_E0_NS1_11comp_targetILNS1_3genE5ELNS1_11target_archE942ELNS1_3gpuE9ELNS1_3repE0EEENS1_30default_config_static_selectorELNS0_4arch9wavefront6targetE0EEEvS10_.has_dyn_sized_stack, 0
	.set _ZN7rocprim17ROCPRIM_400000_NS6detail17trampoline_kernelINS0_14default_configENS1_21merge_config_selectorINS0_5tupleIJiiEEENS0_10empty_typeEEEZNS1_10merge_implIS3_NS0_12zip_iteratorINS5_IJN6thrust23THRUST_200600_302600_NS6detail15normal_iteratorINSC_10device_ptrIKiEEEESI_EEEEESK_NSA_INS5_IJNSE_INSF_IiEEEESM_EEEEEPS7_SP_SP_NSC_11hip_rocprim7__merge17predicate_wrapperIiiNSC_4lessIiEEEEEE10hipError_tPvRmT0_T1_T2_T3_T4_T5_mmT6_P12ihipStream_tbEUlT_E0_NS1_11comp_targetILNS1_3genE5ELNS1_11target_archE942ELNS1_3gpuE9ELNS1_3repE0EEENS1_30default_config_static_selectorELNS0_4arch9wavefront6targetE0EEEvS10_.has_recursion, 0
	.set _ZN7rocprim17ROCPRIM_400000_NS6detail17trampoline_kernelINS0_14default_configENS1_21merge_config_selectorINS0_5tupleIJiiEEENS0_10empty_typeEEEZNS1_10merge_implIS3_NS0_12zip_iteratorINS5_IJN6thrust23THRUST_200600_302600_NS6detail15normal_iteratorINSC_10device_ptrIKiEEEESI_EEEEESK_NSA_INS5_IJNSE_INSF_IiEEEESM_EEEEEPS7_SP_SP_NSC_11hip_rocprim7__merge17predicate_wrapperIiiNSC_4lessIiEEEEEE10hipError_tPvRmT0_T1_T2_T3_T4_T5_mmT6_P12ihipStream_tbEUlT_E0_NS1_11comp_targetILNS1_3genE5ELNS1_11target_archE942ELNS1_3gpuE9ELNS1_3repE0EEENS1_30default_config_static_selectorELNS0_4arch9wavefront6targetE0EEEvS10_.has_indirect_call, 0
	.section	.AMDGPU.csdata,"",@progbits
; Kernel info:
; codeLenInByte = 0
; TotalNumSgprs: 0
; NumVgprs: 0
; ScratchSize: 0
; MemoryBound: 0
; FloatMode: 240
; IeeeMode: 1
; LDSByteSize: 0 bytes/workgroup (compile time only)
; SGPRBlocks: 0
; VGPRBlocks: 0
; NumSGPRsForWavesPerEU: 1
; NumVGPRsForWavesPerEU: 1
; Occupancy: 16
; WaveLimiterHint : 0
; COMPUTE_PGM_RSRC2:SCRATCH_EN: 0
; COMPUTE_PGM_RSRC2:USER_SGPR: 6
; COMPUTE_PGM_RSRC2:TRAP_HANDLER: 0
; COMPUTE_PGM_RSRC2:TGID_X_EN: 1
; COMPUTE_PGM_RSRC2:TGID_Y_EN: 0
; COMPUTE_PGM_RSRC2:TGID_Z_EN: 0
; COMPUTE_PGM_RSRC2:TIDIG_COMP_CNT: 0
	.section	.text._ZN7rocprim17ROCPRIM_400000_NS6detail17trampoline_kernelINS0_14default_configENS1_21merge_config_selectorINS0_5tupleIJiiEEENS0_10empty_typeEEEZNS1_10merge_implIS3_NS0_12zip_iteratorINS5_IJN6thrust23THRUST_200600_302600_NS6detail15normal_iteratorINSC_10device_ptrIKiEEEESI_EEEEESK_NSA_INS5_IJNSE_INSF_IiEEEESM_EEEEEPS7_SP_SP_NSC_11hip_rocprim7__merge17predicate_wrapperIiiNSC_4lessIiEEEEEE10hipError_tPvRmT0_T1_T2_T3_T4_T5_mmT6_P12ihipStream_tbEUlT_E0_NS1_11comp_targetILNS1_3genE4ELNS1_11target_archE910ELNS1_3gpuE8ELNS1_3repE0EEENS1_30default_config_static_selectorELNS0_4arch9wavefront6targetE0EEEvS10_,"axG",@progbits,_ZN7rocprim17ROCPRIM_400000_NS6detail17trampoline_kernelINS0_14default_configENS1_21merge_config_selectorINS0_5tupleIJiiEEENS0_10empty_typeEEEZNS1_10merge_implIS3_NS0_12zip_iteratorINS5_IJN6thrust23THRUST_200600_302600_NS6detail15normal_iteratorINSC_10device_ptrIKiEEEESI_EEEEESK_NSA_INS5_IJNSE_INSF_IiEEEESM_EEEEEPS7_SP_SP_NSC_11hip_rocprim7__merge17predicate_wrapperIiiNSC_4lessIiEEEEEE10hipError_tPvRmT0_T1_T2_T3_T4_T5_mmT6_P12ihipStream_tbEUlT_E0_NS1_11comp_targetILNS1_3genE4ELNS1_11target_archE910ELNS1_3gpuE8ELNS1_3repE0EEENS1_30default_config_static_selectorELNS0_4arch9wavefront6targetE0EEEvS10_,comdat
	.protected	_ZN7rocprim17ROCPRIM_400000_NS6detail17trampoline_kernelINS0_14default_configENS1_21merge_config_selectorINS0_5tupleIJiiEEENS0_10empty_typeEEEZNS1_10merge_implIS3_NS0_12zip_iteratorINS5_IJN6thrust23THRUST_200600_302600_NS6detail15normal_iteratorINSC_10device_ptrIKiEEEESI_EEEEESK_NSA_INS5_IJNSE_INSF_IiEEEESM_EEEEEPS7_SP_SP_NSC_11hip_rocprim7__merge17predicate_wrapperIiiNSC_4lessIiEEEEEE10hipError_tPvRmT0_T1_T2_T3_T4_T5_mmT6_P12ihipStream_tbEUlT_E0_NS1_11comp_targetILNS1_3genE4ELNS1_11target_archE910ELNS1_3gpuE8ELNS1_3repE0EEENS1_30default_config_static_selectorELNS0_4arch9wavefront6targetE0EEEvS10_ ; -- Begin function _ZN7rocprim17ROCPRIM_400000_NS6detail17trampoline_kernelINS0_14default_configENS1_21merge_config_selectorINS0_5tupleIJiiEEENS0_10empty_typeEEEZNS1_10merge_implIS3_NS0_12zip_iteratorINS5_IJN6thrust23THRUST_200600_302600_NS6detail15normal_iteratorINSC_10device_ptrIKiEEEESI_EEEEESK_NSA_INS5_IJNSE_INSF_IiEEEESM_EEEEEPS7_SP_SP_NSC_11hip_rocprim7__merge17predicate_wrapperIiiNSC_4lessIiEEEEEE10hipError_tPvRmT0_T1_T2_T3_T4_T5_mmT6_P12ihipStream_tbEUlT_E0_NS1_11comp_targetILNS1_3genE4ELNS1_11target_archE910ELNS1_3gpuE8ELNS1_3repE0EEENS1_30default_config_static_selectorELNS0_4arch9wavefront6targetE0EEEvS10_
	.globl	_ZN7rocprim17ROCPRIM_400000_NS6detail17trampoline_kernelINS0_14default_configENS1_21merge_config_selectorINS0_5tupleIJiiEEENS0_10empty_typeEEEZNS1_10merge_implIS3_NS0_12zip_iteratorINS5_IJN6thrust23THRUST_200600_302600_NS6detail15normal_iteratorINSC_10device_ptrIKiEEEESI_EEEEESK_NSA_INS5_IJNSE_INSF_IiEEEESM_EEEEEPS7_SP_SP_NSC_11hip_rocprim7__merge17predicate_wrapperIiiNSC_4lessIiEEEEEE10hipError_tPvRmT0_T1_T2_T3_T4_T5_mmT6_P12ihipStream_tbEUlT_E0_NS1_11comp_targetILNS1_3genE4ELNS1_11target_archE910ELNS1_3gpuE8ELNS1_3repE0EEENS1_30default_config_static_selectorELNS0_4arch9wavefront6targetE0EEEvS10_
	.p2align	8
	.type	_ZN7rocprim17ROCPRIM_400000_NS6detail17trampoline_kernelINS0_14default_configENS1_21merge_config_selectorINS0_5tupleIJiiEEENS0_10empty_typeEEEZNS1_10merge_implIS3_NS0_12zip_iteratorINS5_IJN6thrust23THRUST_200600_302600_NS6detail15normal_iteratorINSC_10device_ptrIKiEEEESI_EEEEESK_NSA_INS5_IJNSE_INSF_IiEEEESM_EEEEEPS7_SP_SP_NSC_11hip_rocprim7__merge17predicate_wrapperIiiNSC_4lessIiEEEEEE10hipError_tPvRmT0_T1_T2_T3_T4_T5_mmT6_P12ihipStream_tbEUlT_E0_NS1_11comp_targetILNS1_3genE4ELNS1_11target_archE910ELNS1_3gpuE8ELNS1_3repE0EEENS1_30default_config_static_selectorELNS0_4arch9wavefront6targetE0EEEvS10_,@function
_ZN7rocprim17ROCPRIM_400000_NS6detail17trampoline_kernelINS0_14default_configENS1_21merge_config_selectorINS0_5tupleIJiiEEENS0_10empty_typeEEEZNS1_10merge_implIS3_NS0_12zip_iteratorINS5_IJN6thrust23THRUST_200600_302600_NS6detail15normal_iteratorINSC_10device_ptrIKiEEEESI_EEEEESK_NSA_INS5_IJNSE_INSF_IiEEEESM_EEEEEPS7_SP_SP_NSC_11hip_rocprim7__merge17predicate_wrapperIiiNSC_4lessIiEEEEEE10hipError_tPvRmT0_T1_T2_T3_T4_T5_mmT6_P12ihipStream_tbEUlT_E0_NS1_11comp_targetILNS1_3genE4ELNS1_11target_archE910ELNS1_3gpuE8ELNS1_3repE0EEENS1_30default_config_static_selectorELNS0_4arch9wavefront6targetE0EEEvS10_: ; @_ZN7rocprim17ROCPRIM_400000_NS6detail17trampoline_kernelINS0_14default_configENS1_21merge_config_selectorINS0_5tupleIJiiEEENS0_10empty_typeEEEZNS1_10merge_implIS3_NS0_12zip_iteratorINS5_IJN6thrust23THRUST_200600_302600_NS6detail15normal_iteratorINSC_10device_ptrIKiEEEESI_EEEEESK_NSA_INS5_IJNSE_INSF_IiEEEESM_EEEEEPS7_SP_SP_NSC_11hip_rocprim7__merge17predicate_wrapperIiiNSC_4lessIiEEEEEE10hipError_tPvRmT0_T1_T2_T3_T4_T5_mmT6_P12ihipStream_tbEUlT_E0_NS1_11comp_targetILNS1_3genE4ELNS1_11target_archE910ELNS1_3gpuE8ELNS1_3repE0EEENS1_30default_config_static_selectorELNS0_4arch9wavefront6targetE0EEEvS10_
; %bb.0:
	.section	.rodata,"a",@progbits
	.p2align	6, 0x0
	.amdhsa_kernel _ZN7rocprim17ROCPRIM_400000_NS6detail17trampoline_kernelINS0_14default_configENS1_21merge_config_selectorINS0_5tupleIJiiEEENS0_10empty_typeEEEZNS1_10merge_implIS3_NS0_12zip_iteratorINS5_IJN6thrust23THRUST_200600_302600_NS6detail15normal_iteratorINSC_10device_ptrIKiEEEESI_EEEEESK_NSA_INS5_IJNSE_INSF_IiEEEESM_EEEEEPS7_SP_SP_NSC_11hip_rocprim7__merge17predicate_wrapperIiiNSC_4lessIiEEEEEE10hipError_tPvRmT0_T1_T2_T3_T4_T5_mmT6_P12ihipStream_tbEUlT_E0_NS1_11comp_targetILNS1_3genE4ELNS1_11target_archE910ELNS1_3gpuE8ELNS1_3repE0EEENS1_30default_config_static_selectorELNS0_4arch9wavefront6targetE0EEEvS10_
		.amdhsa_group_segment_fixed_size 0
		.amdhsa_private_segment_fixed_size 0
		.amdhsa_kernarg_size 112
		.amdhsa_user_sgpr_count 6
		.amdhsa_user_sgpr_private_segment_buffer 1
		.amdhsa_user_sgpr_dispatch_ptr 0
		.amdhsa_user_sgpr_queue_ptr 0
		.amdhsa_user_sgpr_kernarg_segment_ptr 1
		.amdhsa_user_sgpr_dispatch_id 0
		.amdhsa_user_sgpr_flat_scratch_init 0
		.amdhsa_user_sgpr_private_segment_size 0
		.amdhsa_wavefront_size32 1
		.amdhsa_uses_dynamic_stack 0
		.amdhsa_system_sgpr_private_segment_wavefront_offset 0
		.amdhsa_system_sgpr_workgroup_id_x 1
		.amdhsa_system_sgpr_workgroup_id_y 0
		.amdhsa_system_sgpr_workgroup_id_z 0
		.amdhsa_system_sgpr_workgroup_info 0
		.amdhsa_system_vgpr_workitem_id 0
		.amdhsa_next_free_vgpr 1
		.amdhsa_next_free_sgpr 1
		.amdhsa_reserve_vcc 0
		.amdhsa_reserve_flat_scratch 0
		.amdhsa_float_round_mode_32 0
		.amdhsa_float_round_mode_16_64 0
		.amdhsa_float_denorm_mode_32 3
		.amdhsa_float_denorm_mode_16_64 3
		.amdhsa_dx10_clamp 1
		.amdhsa_ieee_mode 1
		.amdhsa_fp16_overflow 0
		.amdhsa_workgroup_processor_mode 1
		.amdhsa_memory_ordered 1
		.amdhsa_forward_progress 1
		.amdhsa_shared_vgpr_count 0
		.amdhsa_exception_fp_ieee_invalid_op 0
		.amdhsa_exception_fp_denorm_src 0
		.amdhsa_exception_fp_ieee_div_zero 0
		.amdhsa_exception_fp_ieee_overflow 0
		.amdhsa_exception_fp_ieee_underflow 0
		.amdhsa_exception_fp_ieee_inexact 0
		.amdhsa_exception_int_div_zero 0
	.end_amdhsa_kernel
	.section	.text._ZN7rocprim17ROCPRIM_400000_NS6detail17trampoline_kernelINS0_14default_configENS1_21merge_config_selectorINS0_5tupleIJiiEEENS0_10empty_typeEEEZNS1_10merge_implIS3_NS0_12zip_iteratorINS5_IJN6thrust23THRUST_200600_302600_NS6detail15normal_iteratorINSC_10device_ptrIKiEEEESI_EEEEESK_NSA_INS5_IJNSE_INSF_IiEEEESM_EEEEEPS7_SP_SP_NSC_11hip_rocprim7__merge17predicate_wrapperIiiNSC_4lessIiEEEEEE10hipError_tPvRmT0_T1_T2_T3_T4_T5_mmT6_P12ihipStream_tbEUlT_E0_NS1_11comp_targetILNS1_3genE4ELNS1_11target_archE910ELNS1_3gpuE8ELNS1_3repE0EEENS1_30default_config_static_selectorELNS0_4arch9wavefront6targetE0EEEvS10_,"axG",@progbits,_ZN7rocprim17ROCPRIM_400000_NS6detail17trampoline_kernelINS0_14default_configENS1_21merge_config_selectorINS0_5tupleIJiiEEENS0_10empty_typeEEEZNS1_10merge_implIS3_NS0_12zip_iteratorINS5_IJN6thrust23THRUST_200600_302600_NS6detail15normal_iteratorINSC_10device_ptrIKiEEEESI_EEEEESK_NSA_INS5_IJNSE_INSF_IiEEEESM_EEEEEPS7_SP_SP_NSC_11hip_rocprim7__merge17predicate_wrapperIiiNSC_4lessIiEEEEEE10hipError_tPvRmT0_T1_T2_T3_T4_T5_mmT6_P12ihipStream_tbEUlT_E0_NS1_11comp_targetILNS1_3genE4ELNS1_11target_archE910ELNS1_3gpuE8ELNS1_3repE0EEENS1_30default_config_static_selectorELNS0_4arch9wavefront6targetE0EEEvS10_,comdat
.Lfunc_end254:
	.size	_ZN7rocprim17ROCPRIM_400000_NS6detail17trampoline_kernelINS0_14default_configENS1_21merge_config_selectorINS0_5tupleIJiiEEENS0_10empty_typeEEEZNS1_10merge_implIS3_NS0_12zip_iteratorINS5_IJN6thrust23THRUST_200600_302600_NS6detail15normal_iteratorINSC_10device_ptrIKiEEEESI_EEEEESK_NSA_INS5_IJNSE_INSF_IiEEEESM_EEEEEPS7_SP_SP_NSC_11hip_rocprim7__merge17predicate_wrapperIiiNSC_4lessIiEEEEEE10hipError_tPvRmT0_T1_T2_T3_T4_T5_mmT6_P12ihipStream_tbEUlT_E0_NS1_11comp_targetILNS1_3genE4ELNS1_11target_archE910ELNS1_3gpuE8ELNS1_3repE0EEENS1_30default_config_static_selectorELNS0_4arch9wavefront6targetE0EEEvS10_, .Lfunc_end254-_ZN7rocprim17ROCPRIM_400000_NS6detail17trampoline_kernelINS0_14default_configENS1_21merge_config_selectorINS0_5tupleIJiiEEENS0_10empty_typeEEEZNS1_10merge_implIS3_NS0_12zip_iteratorINS5_IJN6thrust23THRUST_200600_302600_NS6detail15normal_iteratorINSC_10device_ptrIKiEEEESI_EEEEESK_NSA_INS5_IJNSE_INSF_IiEEEESM_EEEEEPS7_SP_SP_NSC_11hip_rocprim7__merge17predicate_wrapperIiiNSC_4lessIiEEEEEE10hipError_tPvRmT0_T1_T2_T3_T4_T5_mmT6_P12ihipStream_tbEUlT_E0_NS1_11comp_targetILNS1_3genE4ELNS1_11target_archE910ELNS1_3gpuE8ELNS1_3repE0EEENS1_30default_config_static_selectorELNS0_4arch9wavefront6targetE0EEEvS10_
                                        ; -- End function
	.set _ZN7rocprim17ROCPRIM_400000_NS6detail17trampoline_kernelINS0_14default_configENS1_21merge_config_selectorINS0_5tupleIJiiEEENS0_10empty_typeEEEZNS1_10merge_implIS3_NS0_12zip_iteratorINS5_IJN6thrust23THRUST_200600_302600_NS6detail15normal_iteratorINSC_10device_ptrIKiEEEESI_EEEEESK_NSA_INS5_IJNSE_INSF_IiEEEESM_EEEEEPS7_SP_SP_NSC_11hip_rocprim7__merge17predicate_wrapperIiiNSC_4lessIiEEEEEE10hipError_tPvRmT0_T1_T2_T3_T4_T5_mmT6_P12ihipStream_tbEUlT_E0_NS1_11comp_targetILNS1_3genE4ELNS1_11target_archE910ELNS1_3gpuE8ELNS1_3repE0EEENS1_30default_config_static_selectorELNS0_4arch9wavefront6targetE0EEEvS10_.num_vgpr, 0
	.set _ZN7rocprim17ROCPRIM_400000_NS6detail17trampoline_kernelINS0_14default_configENS1_21merge_config_selectorINS0_5tupleIJiiEEENS0_10empty_typeEEEZNS1_10merge_implIS3_NS0_12zip_iteratorINS5_IJN6thrust23THRUST_200600_302600_NS6detail15normal_iteratorINSC_10device_ptrIKiEEEESI_EEEEESK_NSA_INS5_IJNSE_INSF_IiEEEESM_EEEEEPS7_SP_SP_NSC_11hip_rocprim7__merge17predicate_wrapperIiiNSC_4lessIiEEEEEE10hipError_tPvRmT0_T1_T2_T3_T4_T5_mmT6_P12ihipStream_tbEUlT_E0_NS1_11comp_targetILNS1_3genE4ELNS1_11target_archE910ELNS1_3gpuE8ELNS1_3repE0EEENS1_30default_config_static_selectorELNS0_4arch9wavefront6targetE0EEEvS10_.num_agpr, 0
	.set _ZN7rocprim17ROCPRIM_400000_NS6detail17trampoline_kernelINS0_14default_configENS1_21merge_config_selectorINS0_5tupleIJiiEEENS0_10empty_typeEEEZNS1_10merge_implIS3_NS0_12zip_iteratorINS5_IJN6thrust23THRUST_200600_302600_NS6detail15normal_iteratorINSC_10device_ptrIKiEEEESI_EEEEESK_NSA_INS5_IJNSE_INSF_IiEEEESM_EEEEEPS7_SP_SP_NSC_11hip_rocprim7__merge17predicate_wrapperIiiNSC_4lessIiEEEEEE10hipError_tPvRmT0_T1_T2_T3_T4_T5_mmT6_P12ihipStream_tbEUlT_E0_NS1_11comp_targetILNS1_3genE4ELNS1_11target_archE910ELNS1_3gpuE8ELNS1_3repE0EEENS1_30default_config_static_selectorELNS0_4arch9wavefront6targetE0EEEvS10_.numbered_sgpr, 0
	.set _ZN7rocprim17ROCPRIM_400000_NS6detail17trampoline_kernelINS0_14default_configENS1_21merge_config_selectorINS0_5tupleIJiiEEENS0_10empty_typeEEEZNS1_10merge_implIS3_NS0_12zip_iteratorINS5_IJN6thrust23THRUST_200600_302600_NS6detail15normal_iteratorINSC_10device_ptrIKiEEEESI_EEEEESK_NSA_INS5_IJNSE_INSF_IiEEEESM_EEEEEPS7_SP_SP_NSC_11hip_rocprim7__merge17predicate_wrapperIiiNSC_4lessIiEEEEEE10hipError_tPvRmT0_T1_T2_T3_T4_T5_mmT6_P12ihipStream_tbEUlT_E0_NS1_11comp_targetILNS1_3genE4ELNS1_11target_archE910ELNS1_3gpuE8ELNS1_3repE0EEENS1_30default_config_static_selectorELNS0_4arch9wavefront6targetE0EEEvS10_.num_named_barrier, 0
	.set _ZN7rocprim17ROCPRIM_400000_NS6detail17trampoline_kernelINS0_14default_configENS1_21merge_config_selectorINS0_5tupleIJiiEEENS0_10empty_typeEEEZNS1_10merge_implIS3_NS0_12zip_iteratorINS5_IJN6thrust23THRUST_200600_302600_NS6detail15normal_iteratorINSC_10device_ptrIKiEEEESI_EEEEESK_NSA_INS5_IJNSE_INSF_IiEEEESM_EEEEEPS7_SP_SP_NSC_11hip_rocprim7__merge17predicate_wrapperIiiNSC_4lessIiEEEEEE10hipError_tPvRmT0_T1_T2_T3_T4_T5_mmT6_P12ihipStream_tbEUlT_E0_NS1_11comp_targetILNS1_3genE4ELNS1_11target_archE910ELNS1_3gpuE8ELNS1_3repE0EEENS1_30default_config_static_selectorELNS0_4arch9wavefront6targetE0EEEvS10_.private_seg_size, 0
	.set _ZN7rocprim17ROCPRIM_400000_NS6detail17trampoline_kernelINS0_14default_configENS1_21merge_config_selectorINS0_5tupleIJiiEEENS0_10empty_typeEEEZNS1_10merge_implIS3_NS0_12zip_iteratorINS5_IJN6thrust23THRUST_200600_302600_NS6detail15normal_iteratorINSC_10device_ptrIKiEEEESI_EEEEESK_NSA_INS5_IJNSE_INSF_IiEEEESM_EEEEEPS7_SP_SP_NSC_11hip_rocprim7__merge17predicate_wrapperIiiNSC_4lessIiEEEEEE10hipError_tPvRmT0_T1_T2_T3_T4_T5_mmT6_P12ihipStream_tbEUlT_E0_NS1_11comp_targetILNS1_3genE4ELNS1_11target_archE910ELNS1_3gpuE8ELNS1_3repE0EEENS1_30default_config_static_selectorELNS0_4arch9wavefront6targetE0EEEvS10_.uses_vcc, 0
	.set _ZN7rocprim17ROCPRIM_400000_NS6detail17trampoline_kernelINS0_14default_configENS1_21merge_config_selectorINS0_5tupleIJiiEEENS0_10empty_typeEEEZNS1_10merge_implIS3_NS0_12zip_iteratorINS5_IJN6thrust23THRUST_200600_302600_NS6detail15normal_iteratorINSC_10device_ptrIKiEEEESI_EEEEESK_NSA_INS5_IJNSE_INSF_IiEEEESM_EEEEEPS7_SP_SP_NSC_11hip_rocprim7__merge17predicate_wrapperIiiNSC_4lessIiEEEEEE10hipError_tPvRmT0_T1_T2_T3_T4_T5_mmT6_P12ihipStream_tbEUlT_E0_NS1_11comp_targetILNS1_3genE4ELNS1_11target_archE910ELNS1_3gpuE8ELNS1_3repE0EEENS1_30default_config_static_selectorELNS0_4arch9wavefront6targetE0EEEvS10_.uses_flat_scratch, 0
	.set _ZN7rocprim17ROCPRIM_400000_NS6detail17trampoline_kernelINS0_14default_configENS1_21merge_config_selectorINS0_5tupleIJiiEEENS0_10empty_typeEEEZNS1_10merge_implIS3_NS0_12zip_iteratorINS5_IJN6thrust23THRUST_200600_302600_NS6detail15normal_iteratorINSC_10device_ptrIKiEEEESI_EEEEESK_NSA_INS5_IJNSE_INSF_IiEEEESM_EEEEEPS7_SP_SP_NSC_11hip_rocprim7__merge17predicate_wrapperIiiNSC_4lessIiEEEEEE10hipError_tPvRmT0_T1_T2_T3_T4_T5_mmT6_P12ihipStream_tbEUlT_E0_NS1_11comp_targetILNS1_3genE4ELNS1_11target_archE910ELNS1_3gpuE8ELNS1_3repE0EEENS1_30default_config_static_selectorELNS0_4arch9wavefront6targetE0EEEvS10_.has_dyn_sized_stack, 0
	.set _ZN7rocprim17ROCPRIM_400000_NS6detail17trampoline_kernelINS0_14default_configENS1_21merge_config_selectorINS0_5tupleIJiiEEENS0_10empty_typeEEEZNS1_10merge_implIS3_NS0_12zip_iteratorINS5_IJN6thrust23THRUST_200600_302600_NS6detail15normal_iteratorINSC_10device_ptrIKiEEEESI_EEEEESK_NSA_INS5_IJNSE_INSF_IiEEEESM_EEEEEPS7_SP_SP_NSC_11hip_rocprim7__merge17predicate_wrapperIiiNSC_4lessIiEEEEEE10hipError_tPvRmT0_T1_T2_T3_T4_T5_mmT6_P12ihipStream_tbEUlT_E0_NS1_11comp_targetILNS1_3genE4ELNS1_11target_archE910ELNS1_3gpuE8ELNS1_3repE0EEENS1_30default_config_static_selectorELNS0_4arch9wavefront6targetE0EEEvS10_.has_recursion, 0
	.set _ZN7rocprim17ROCPRIM_400000_NS6detail17trampoline_kernelINS0_14default_configENS1_21merge_config_selectorINS0_5tupleIJiiEEENS0_10empty_typeEEEZNS1_10merge_implIS3_NS0_12zip_iteratorINS5_IJN6thrust23THRUST_200600_302600_NS6detail15normal_iteratorINSC_10device_ptrIKiEEEESI_EEEEESK_NSA_INS5_IJNSE_INSF_IiEEEESM_EEEEEPS7_SP_SP_NSC_11hip_rocprim7__merge17predicate_wrapperIiiNSC_4lessIiEEEEEE10hipError_tPvRmT0_T1_T2_T3_T4_T5_mmT6_P12ihipStream_tbEUlT_E0_NS1_11comp_targetILNS1_3genE4ELNS1_11target_archE910ELNS1_3gpuE8ELNS1_3repE0EEENS1_30default_config_static_selectorELNS0_4arch9wavefront6targetE0EEEvS10_.has_indirect_call, 0
	.section	.AMDGPU.csdata,"",@progbits
; Kernel info:
; codeLenInByte = 0
; TotalNumSgprs: 0
; NumVgprs: 0
; ScratchSize: 0
; MemoryBound: 0
; FloatMode: 240
; IeeeMode: 1
; LDSByteSize: 0 bytes/workgroup (compile time only)
; SGPRBlocks: 0
; VGPRBlocks: 0
; NumSGPRsForWavesPerEU: 1
; NumVGPRsForWavesPerEU: 1
; Occupancy: 16
; WaveLimiterHint : 0
; COMPUTE_PGM_RSRC2:SCRATCH_EN: 0
; COMPUTE_PGM_RSRC2:USER_SGPR: 6
; COMPUTE_PGM_RSRC2:TRAP_HANDLER: 0
; COMPUTE_PGM_RSRC2:TGID_X_EN: 1
; COMPUTE_PGM_RSRC2:TGID_Y_EN: 0
; COMPUTE_PGM_RSRC2:TGID_Z_EN: 0
; COMPUTE_PGM_RSRC2:TIDIG_COMP_CNT: 0
	.section	.text._ZN7rocprim17ROCPRIM_400000_NS6detail17trampoline_kernelINS0_14default_configENS1_21merge_config_selectorINS0_5tupleIJiiEEENS0_10empty_typeEEEZNS1_10merge_implIS3_NS0_12zip_iteratorINS5_IJN6thrust23THRUST_200600_302600_NS6detail15normal_iteratorINSC_10device_ptrIKiEEEESI_EEEEESK_NSA_INS5_IJNSE_INSF_IiEEEESM_EEEEEPS7_SP_SP_NSC_11hip_rocprim7__merge17predicate_wrapperIiiNSC_4lessIiEEEEEE10hipError_tPvRmT0_T1_T2_T3_T4_T5_mmT6_P12ihipStream_tbEUlT_E0_NS1_11comp_targetILNS1_3genE3ELNS1_11target_archE908ELNS1_3gpuE7ELNS1_3repE0EEENS1_30default_config_static_selectorELNS0_4arch9wavefront6targetE0EEEvS10_,"axG",@progbits,_ZN7rocprim17ROCPRIM_400000_NS6detail17trampoline_kernelINS0_14default_configENS1_21merge_config_selectorINS0_5tupleIJiiEEENS0_10empty_typeEEEZNS1_10merge_implIS3_NS0_12zip_iteratorINS5_IJN6thrust23THRUST_200600_302600_NS6detail15normal_iteratorINSC_10device_ptrIKiEEEESI_EEEEESK_NSA_INS5_IJNSE_INSF_IiEEEESM_EEEEEPS7_SP_SP_NSC_11hip_rocprim7__merge17predicate_wrapperIiiNSC_4lessIiEEEEEE10hipError_tPvRmT0_T1_T2_T3_T4_T5_mmT6_P12ihipStream_tbEUlT_E0_NS1_11comp_targetILNS1_3genE3ELNS1_11target_archE908ELNS1_3gpuE7ELNS1_3repE0EEENS1_30default_config_static_selectorELNS0_4arch9wavefront6targetE0EEEvS10_,comdat
	.protected	_ZN7rocprim17ROCPRIM_400000_NS6detail17trampoline_kernelINS0_14default_configENS1_21merge_config_selectorINS0_5tupleIJiiEEENS0_10empty_typeEEEZNS1_10merge_implIS3_NS0_12zip_iteratorINS5_IJN6thrust23THRUST_200600_302600_NS6detail15normal_iteratorINSC_10device_ptrIKiEEEESI_EEEEESK_NSA_INS5_IJNSE_INSF_IiEEEESM_EEEEEPS7_SP_SP_NSC_11hip_rocprim7__merge17predicate_wrapperIiiNSC_4lessIiEEEEEE10hipError_tPvRmT0_T1_T2_T3_T4_T5_mmT6_P12ihipStream_tbEUlT_E0_NS1_11comp_targetILNS1_3genE3ELNS1_11target_archE908ELNS1_3gpuE7ELNS1_3repE0EEENS1_30default_config_static_selectorELNS0_4arch9wavefront6targetE0EEEvS10_ ; -- Begin function _ZN7rocprim17ROCPRIM_400000_NS6detail17trampoline_kernelINS0_14default_configENS1_21merge_config_selectorINS0_5tupleIJiiEEENS0_10empty_typeEEEZNS1_10merge_implIS3_NS0_12zip_iteratorINS5_IJN6thrust23THRUST_200600_302600_NS6detail15normal_iteratorINSC_10device_ptrIKiEEEESI_EEEEESK_NSA_INS5_IJNSE_INSF_IiEEEESM_EEEEEPS7_SP_SP_NSC_11hip_rocprim7__merge17predicate_wrapperIiiNSC_4lessIiEEEEEE10hipError_tPvRmT0_T1_T2_T3_T4_T5_mmT6_P12ihipStream_tbEUlT_E0_NS1_11comp_targetILNS1_3genE3ELNS1_11target_archE908ELNS1_3gpuE7ELNS1_3repE0EEENS1_30default_config_static_selectorELNS0_4arch9wavefront6targetE0EEEvS10_
	.globl	_ZN7rocprim17ROCPRIM_400000_NS6detail17trampoline_kernelINS0_14default_configENS1_21merge_config_selectorINS0_5tupleIJiiEEENS0_10empty_typeEEEZNS1_10merge_implIS3_NS0_12zip_iteratorINS5_IJN6thrust23THRUST_200600_302600_NS6detail15normal_iteratorINSC_10device_ptrIKiEEEESI_EEEEESK_NSA_INS5_IJNSE_INSF_IiEEEESM_EEEEEPS7_SP_SP_NSC_11hip_rocprim7__merge17predicate_wrapperIiiNSC_4lessIiEEEEEE10hipError_tPvRmT0_T1_T2_T3_T4_T5_mmT6_P12ihipStream_tbEUlT_E0_NS1_11comp_targetILNS1_3genE3ELNS1_11target_archE908ELNS1_3gpuE7ELNS1_3repE0EEENS1_30default_config_static_selectorELNS0_4arch9wavefront6targetE0EEEvS10_
	.p2align	8
	.type	_ZN7rocprim17ROCPRIM_400000_NS6detail17trampoline_kernelINS0_14default_configENS1_21merge_config_selectorINS0_5tupleIJiiEEENS0_10empty_typeEEEZNS1_10merge_implIS3_NS0_12zip_iteratorINS5_IJN6thrust23THRUST_200600_302600_NS6detail15normal_iteratorINSC_10device_ptrIKiEEEESI_EEEEESK_NSA_INS5_IJNSE_INSF_IiEEEESM_EEEEEPS7_SP_SP_NSC_11hip_rocprim7__merge17predicate_wrapperIiiNSC_4lessIiEEEEEE10hipError_tPvRmT0_T1_T2_T3_T4_T5_mmT6_P12ihipStream_tbEUlT_E0_NS1_11comp_targetILNS1_3genE3ELNS1_11target_archE908ELNS1_3gpuE7ELNS1_3repE0EEENS1_30default_config_static_selectorELNS0_4arch9wavefront6targetE0EEEvS10_,@function
_ZN7rocprim17ROCPRIM_400000_NS6detail17trampoline_kernelINS0_14default_configENS1_21merge_config_selectorINS0_5tupleIJiiEEENS0_10empty_typeEEEZNS1_10merge_implIS3_NS0_12zip_iteratorINS5_IJN6thrust23THRUST_200600_302600_NS6detail15normal_iteratorINSC_10device_ptrIKiEEEESI_EEEEESK_NSA_INS5_IJNSE_INSF_IiEEEESM_EEEEEPS7_SP_SP_NSC_11hip_rocprim7__merge17predicate_wrapperIiiNSC_4lessIiEEEEEE10hipError_tPvRmT0_T1_T2_T3_T4_T5_mmT6_P12ihipStream_tbEUlT_E0_NS1_11comp_targetILNS1_3genE3ELNS1_11target_archE908ELNS1_3gpuE7ELNS1_3repE0EEENS1_30default_config_static_selectorELNS0_4arch9wavefront6targetE0EEEvS10_: ; @_ZN7rocprim17ROCPRIM_400000_NS6detail17trampoline_kernelINS0_14default_configENS1_21merge_config_selectorINS0_5tupleIJiiEEENS0_10empty_typeEEEZNS1_10merge_implIS3_NS0_12zip_iteratorINS5_IJN6thrust23THRUST_200600_302600_NS6detail15normal_iteratorINSC_10device_ptrIKiEEEESI_EEEEESK_NSA_INS5_IJNSE_INSF_IiEEEESM_EEEEEPS7_SP_SP_NSC_11hip_rocprim7__merge17predicate_wrapperIiiNSC_4lessIiEEEEEE10hipError_tPvRmT0_T1_T2_T3_T4_T5_mmT6_P12ihipStream_tbEUlT_E0_NS1_11comp_targetILNS1_3genE3ELNS1_11target_archE908ELNS1_3gpuE7ELNS1_3repE0EEENS1_30default_config_static_selectorELNS0_4arch9wavefront6targetE0EEEvS10_
; %bb.0:
	.section	.rodata,"a",@progbits
	.p2align	6, 0x0
	.amdhsa_kernel _ZN7rocprim17ROCPRIM_400000_NS6detail17trampoline_kernelINS0_14default_configENS1_21merge_config_selectorINS0_5tupleIJiiEEENS0_10empty_typeEEEZNS1_10merge_implIS3_NS0_12zip_iteratorINS5_IJN6thrust23THRUST_200600_302600_NS6detail15normal_iteratorINSC_10device_ptrIKiEEEESI_EEEEESK_NSA_INS5_IJNSE_INSF_IiEEEESM_EEEEEPS7_SP_SP_NSC_11hip_rocprim7__merge17predicate_wrapperIiiNSC_4lessIiEEEEEE10hipError_tPvRmT0_T1_T2_T3_T4_T5_mmT6_P12ihipStream_tbEUlT_E0_NS1_11comp_targetILNS1_3genE3ELNS1_11target_archE908ELNS1_3gpuE7ELNS1_3repE0EEENS1_30default_config_static_selectorELNS0_4arch9wavefront6targetE0EEEvS10_
		.amdhsa_group_segment_fixed_size 0
		.amdhsa_private_segment_fixed_size 0
		.amdhsa_kernarg_size 112
		.amdhsa_user_sgpr_count 6
		.amdhsa_user_sgpr_private_segment_buffer 1
		.amdhsa_user_sgpr_dispatch_ptr 0
		.amdhsa_user_sgpr_queue_ptr 0
		.amdhsa_user_sgpr_kernarg_segment_ptr 1
		.amdhsa_user_sgpr_dispatch_id 0
		.amdhsa_user_sgpr_flat_scratch_init 0
		.amdhsa_user_sgpr_private_segment_size 0
		.amdhsa_wavefront_size32 1
		.amdhsa_uses_dynamic_stack 0
		.amdhsa_system_sgpr_private_segment_wavefront_offset 0
		.amdhsa_system_sgpr_workgroup_id_x 1
		.amdhsa_system_sgpr_workgroup_id_y 0
		.amdhsa_system_sgpr_workgroup_id_z 0
		.amdhsa_system_sgpr_workgroup_info 0
		.amdhsa_system_vgpr_workitem_id 0
		.amdhsa_next_free_vgpr 1
		.amdhsa_next_free_sgpr 1
		.amdhsa_reserve_vcc 0
		.amdhsa_reserve_flat_scratch 0
		.amdhsa_float_round_mode_32 0
		.amdhsa_float_round_mode_16_64 0
		.amdhsa_float_denorm_mode_32 3
		.amdhsa_float_denorm_mode_16_64 3
		.amdhsa_dx10_clamp 1
		.amdhsa_ieee_mode 1
		.amdhsa_fp16_overflow 0
		.amdhsa_workgroup_processor_mode 1
		.amdhsa_memory_ordered 1
		.amdhsa_forward_progress 1
		.amdhsa_shared_vgpr_count 0
		.amdhsa_exception_fp_ieee_invalid_op 0
		.amdhsa_exception_fp_denorm_src 0
		.amdhsa_exception_fp_ieee_div_zero 0
		.amdhsa_exception_fp_ieee_overflow 0
		.amdhsa_exception_fp_ieee_underflow 0
		.amdhsa_exception_fp_ieee_inexact 0
		.amdhsa_exception_int_div_zero 0
	.end_amdhsa_kernel
	.section	.text._ZN7rocprim17ROCPRIM_400000_NS6detail17trampoline_kernelINS0_14default_configENS1_21merge_config_selectorINS0_5tupleIJiiEEENS0_10empty_typeEEEZNS1_10merge_implIS3_NS0_12zip_iteratorINS5_IJN6thrust23THRUST_200600_302600_NS6detail15normal_iteratorINSC_10device_ptrIKiEEEESI_EEEEESK_NSA_INS5_IJNSE_INSF_IiEEEESM_EEEEEPS7_SP_SP_NSC_11hip_rocprim7__merge17predicate_wrapperIiiNSC_4lessIiEEEEEE10hipError_tPvRmT0_T1_T2_T3_T4_T5_mmT6_P12ihipStream_tbEUlT_E0_NS1_11comp_targetILNS1_3genE3ELNS1_11target_archE908ELNS1_3gpuE7ELNS1_3repE0EEENS1_30default_config_static_selectorELNS0_4arch9wavefront6targetE0EEEvS10_,"axG",@progbits,_ZN7rocprim17ROCPRIM_400000_NS6detail17trampoline_kernelINS0_14default_configENS1_21merge_config_selectorINS0_5tupleIJiiEEENS0_10empty_typeEEEZNS1_10merge_implIS3_NS0_12zip_iteratorINS5_IJN6thrust23THRUST_200600_302600_NS6detail15normal_iteratorINSC_10device_ptrIKiEEEESI_EEEEESK_NSA_INS5_IJNSE_INSF_IiEEEESM_EEEEEPS7_SP_SP_NSC_11hip_rocprim7__merge17predicate_wrapperIiiNSC_4lessIiEEEEEE10hipError_tPvRmT0_T1_T2_T3_T4_T5_mmT6_P12ihipStream_tbEUlT_E0_NS1_11comp_targetILNS1_3genE3ELNS1_11target_archE908ELNS1_3gpuE7ELNS1_3repE0EEENS1_30default_config_static_selectorELNS0_4arch9wavefront6targetE0EEEvS10_,comdat
.Lfunc_end255:
	.size	_ZN7rocprim17ROCPRIM_400000_NS6detail17trampoline_kernelINS0_14default_configENS1_21merge_config_selectorINS0_5tupleIJiiEEENS0_10empty_typeEEEZNS1_10merge_implIS3_NS0_12zip_iteratorINS5_IJN6thrust23THRUST_200600_302600_NS6detail15normal_iteratorINSC_10device_ptrIKiEEEESI_EEEEESK_NSA_INS5_IJNSE_INSF_IiEEEESM_EEEEEPS7_SP_SP_NSC_11hip_rocprim7__merge17predicate_wrapperIiiNSC_4lessIiEEEEEE10hipError_tPvRmT0_T1_T2_T3_T4_T5_mmT6_P12ihipStream_tbEUlT_E0_NS1_11comp_targetILNS1_3genE3ELNS1_11target_archE908ELNS1_3gpuE7ELNS1_3repE0EEENS1_30default_config_static_selectorELNS0_4arch9wavefront6targetE0EEEvS10_, .Lfunc_end255-_ZN7rocprim17ROCPRIM_400000_NS6detail17trampoline_kernelINS0_14default_configENS1_21merge_config_selectorINS0_5tupleIJiiEEENS0_10empty_typeEEEZNS1_10merge_implIS3_NS0_12zip_iteratorINS5_IJN6thrust23THRUST_200600_302600_NS6detail15normal_iteratorINSC_10device_ptrIKiEEEESI_EEEEESK_NSA_INS5_IJNSE_INSF_IiEEEESM_EEEEEPS7_SP_SP_NSC_11hip_rocprim7__merge17predicate_wrapperIiiNSC_4lessIiEEEEEE10hipError_tPvRmT0_T1_T2_T3_T4_T5_mmT6_P12ihipStream_tbEUlT_E0_NS1_11comp_targetILNS1_3genE3ELNS1_11target_archE908ELNS1_3gpuE7ELNS1_3repE0EEENS1_30default_config_static_selectorELNS0_4arch9wavefront6targetE0EEEvS10_
                                        ; -- End function
	.set _ZN7rocprim17ROCPRIM_400000_NS6detail17trampoline_kernelINS0_14default_configENS1_21merge_config_selectorINS0_5tupleIJiiEEENS0_10empty_typeEEEZNS1_10merge_implIS3_NS0_12zip_iteratorINS5_IJN6thrust23THRUST_200600_302600_NS6detail15normal_iteratorINSC_10device_ptrIKiEEEESI_EEEEESK_NSA_INS5_IJNSE_INSF_IiEEEESM_EEEEEPS7_SP_SP_NSC_11hip_rocprim7__merge17predicate_wrapperIiiNSC_4lessIiEEEEEE10hipError_tPvRmT0_T1_T2_T3_T4_T5_mmT6_P12ihipStream_tbEUlT_E0_NS1_11comp_targetILNS1_3genE3ELNS1_11target_archE908ELNS1_3gpuE7ELNS1_3repE0EEENS1_30default_config_static_selectorELNS0_4arch9wavefront6targetE0EEEvS10_.num_vgpr, 0
	.set _ZN7rocprim17ROCPRIM_400000_NS6detail17trampoline_kernelINS0_14default_configENS1_21merge_config_selectorINS0_5tupleIJiiEEENS0_10empty_typeEEEZNS1_10merge_implIS3_NS0_12zip_iteratorINS5_IJN6thrust23THRUST_200600_302600_NS6detail15normal_iteratorINSC_10device_ptrIKiEEEESI_EEEEESK_NSA_INS5_IJNSE_INSF_IiEEEESM_EEEEEPS7_SP_SP_NSC_11hip_rocprim7__merge17predicate_wrapperIiiNSC_4lessIiEEEEEE10hipError_tPvRmT0_T1_T2_T3_T4_T5_mmT6_P12ihipStream_tbEUlT_E0_NS1_11comp_targetILNS1_3genE3ELNS1_11target_archE908ELNS1_3gpuE7ELNS1_3repE0EEENS1_30default_config_static_selectorELNS0_4arch9wavefront6targetE0EEEvS10_.num_agpr, 0
	.set _ZN7rocprim17ROCPRIM_400000_NS6detail17trampoline_kernelINS0_14default_configENS1_21merge_config_selectorINS0_5tupleIJiiEEENS0_10empty_typeEEEZNS1_10merge_implIS3_NS0_12zip_iteratorINS5_IJN6thrust23THRUST_200600_302600_NS6detail15normal_iteratorINSC_10device_ptrIKiEEEESI_EEEEESK_NSA_INS5_IJNSE_INSF_IiEEEESM_EEEEEPS7_SP_SP_NSC_11hip_rocprim7__merge17predicate_wrapperIiiNSC_4lessIiEEEEEE10hipError_tPvRmT0_T1_T2_T3_T4_T5_mmT6_P12ihipStream_tbEUlT_E0_NS1_11comp_targetILNS1_3genE3ELNS1_11target_archE908ELNS1_3gpuE7ELNS1_3repE0EEENS1_30default_config_static_selectorELNS0_4arch9wavefront6targetE0EEEvS10_.numbered_sgpr, 0
	.set _ZN7rocprim17ROCPRIM_400000_NS6detail17trampoline_kernelINS0_14default_configENS1_21merge_config_selectorINS0_5tupleIJiiEEENS0_10empty_typeEEEZNS1_10merge_implIS3_NS0_12zip_iteratorINS5_IJN6thrust23THRUST_200600_302600_NS6detail15normal_iteratorINSC_10device_ptrIKiEEEESI_EEEEESK_NSA_INS5_IJNSE_INSF_IiEEEESM_EEEEEPS7_SP_SP_NSC_11hip_rocprim7__merge17predicate_wrapperIiiNSC_4lessIiEEEEEE10hipError_tPvRmT0_T1_T2_T3_T4_T5_mmT6_P12ihipStream_tbEUlT_E0_NS1_11comp_targetILNS1_3genE3ELNS1_11target_archE908ELNS1_3gpuE7ELNS1_3repE0EEENS1_30default_config_static_selectorELNS0_4arch9wavefront6targetE0EEEvS10_.num_named_barrier, 0
	.set _ZN7rocprim17ROCPRIM_400000_NS6detail17trampoline_kernelINS0_14default_configENS1_21merge_config_selectorINS0_5tupleIJiiEEENS0_10empty_typeEEEZNS1_10merge_implIS3_NS0_12zip_iteratorINS5_IJN6thrust23THRUST_200600_302600_NS6detail15normal_iteratorINSC_10device_ptrIKiEEEESI_EEEEESK_NSA_INS5_IJNSE_INSF_IiEEEESM_EEEEEPS7_SP_SP_NSC_11hip_rocprim7__merge17predicate_wrapperIiiNSC_4lessIiEEEEEE10hipError_tPvRmT0_T1_T2_T3_T4_T5_mmT6_P12ihipStream_tbEUlT_E0_NS1_11comp_targetILNS1_3genE3ELNS1_11target_archE908ELNS1_3gpuE7ELNS1_3repE0EEENS1_30default_config_static_selectorELNS0_4arch9wavefront6targetE0EEEvS10_.private_seg_size, 0
	.set _ZN7rocprim17ROCPRIM_400000_NS6detail17trampoline_kernelINS0_14default_configENS1_21merge_config_selectorINS0_5tupleIJiiEEENS0_10empty_typeEEEZNS1_10merge_implIS3_NS0_12zip_iteratorINS5_IJN6thrust23THRUST_200600_302600_NS6detail15normal_iteratorINSC_10device_ptrIKiEEEESI_EEEEESK_NSA_INS5_IJNSE_INSF_IiEEEESM_EEEEEPS7_SP_SP_NSC_11hip_rocprim7__merge17predicate_wrapperIiiNSC_4lessIiEEEEEE10hipError_tPvRmT0_T1_T2_T3_T4_T5_mmT6_P12ihipStream_tbEUlT_E0_NS1_11comp_targetILNS1_3genE3ELNS1_11target_archE908ELNS1_3gpuE7ELNS1_3repE0EEENS1_30default_config_static_selectorELNS0_4arch9wavefront6targetE0EEEvS10_.uses_vcc, 0
	.set _ZN7rocprim17ROCPRIM_400000_NS6detail17trampoline_kernelINS0_14default_configENS1_21merge_config_selectorINS0_5tupleIJiiEEENS0_10empty_typeEEEZNS1_10merge_implIS3_NS0_12zip_iteratorINS5_IJN6thrust23THRUST_200600_302600_NS6detail15normal_iteratorINSC_10device_ptrIKiEEEESI_EEEEESK_NSA_INS5_IJNSE_INSF_IiEEEESM_EEEEEPS7_SP_SP_NSC_11hip_rocprim7__merge17predicate_wrapperIiiNSC_4lessIiEEEEEE10hipError_tPvRmT0_T1_T2_T3_T4_T5_mmT6_P12ihipStream_tbEUlT_E0_NS1_11comp_targetILNS1_3genE3ELNS1_11target_archE908ELNS1_3gpuE7ELNS1_3repE0EEENS1_30default_config_static_selectorELNS0_4arch9wavefront6targetE0EEEvS10_.uses_flat_scratch, 0
	.set _ZN7rocprim17ROCPRIM_400000_NS6detail17trampoline_kernelINS0_14default_configENS1_21merge_config_selectorINS0_5tupleIJiiEEENS0_10empty_typeEEEZNS1_10merge_implIS3_NS0_12zip_iteratorINS5_IJN6thrust23THRUST_200600_302600_NS6detail15normal_iteratorINSC_10device_ptrIKiEEEESI_EEEEESK_NSA_INS5_IJNSE_INSF_IiEEEESM_EEEEEPS7_SP_SP_NSC_11hip_rocprim7__merge17predicate_wrapperIiiNSC_4lessIiEEEEEE10hipError_tPvRmT0_T1_T2_T3_T4_T5_mmT6_P12ihipStream_tbEUlT_E0_NS1_11comp_targetILNS1_3genE3ELNS1_11target_archE908ELNS1_3gpuE7ELNS1_3repE0EEENS1_30default_config_static_selectorELNS0_4arch9wavefront6targetE0EEEvS10_.has_dyn_sized_stack, 0
	.set _ZN7rocprim17ROCPRIM_400000_NS6detail17trampoline_kernelINS0_14default_configENS1_21merge_config_selectorINS0_5tupleIJiiEEENS0_10empty_typeEEEZNS1_10merge_implIS3_NS0_12zip_iteratorINS5_IJN6thrust23THRUST_200600_302600_NS6detail15normal_iteratorINSC_10device_ptrIKiEEEESI_EEEEESK_NSA_INS5_IJNSE_INSF_IiEEEESM_EEEEEPS7_SP_SP_NSC_11hip_rocprim7__merge17predicate_wrapperIiiNSC_4lessIiEEEEEE10hipError_tPvRmT0_T1_T2_T3_T4_T5_mmT6_P12ihipStream_tbEUlT_E0_NS1_11comp_targetILNS1_3genE3ELNS1_11target_archE908ELNS1_3gpuE7ELNS1_3repE0EEENS1_30default_config_static_selectorELNS0_4arch9wavefront6targetE0EEEvS10_.has_recursion, 0
	.set _ZN7rocprim17ROCPRIM_400000_NS6detail17trampoline_kernelINS0_14default_configENS1_21merge_config_selectorINS0_5tupleIJiiEEENS0_10empty_typeEEEZNS1_10merge_implIS3_NS0_12zip_iteratorINS5_IJN6thrust23THRUST_200600_302600_NS6detail15normal_iteratorINSC_10device_ptrIKiEEEESI_EEEEESK_NSA_INS5_IJNSE_INSF_IiEEEESM_EEEEEPS7_SP_SP_NSC_11hip_rocprim7__merge17predicate_wrapperIiiNSC_4lessIiEEEEEE10hipError_tPvRmT0_T1_T2_T3_T4_T5_mmT6_P12ihipStream_tbEUlT_E0_NS1_11comp_targetILNS1_3genE3ELNS1_11target_archE908ELNS1_3gpuE7ELNS1_3repE0EEENS1_30default_config_static_selectorELNS0_4arch9wavefront6targetE0EEEvS10_.has_indirect_call, 0
	.section	.AMDGPU.csdata,"",@progbits
; Kernel info:
; codeLenInByte = 0
; TotalNumSgprs: 0
; NumVgprs: 0
; ScratchSize: 0
; MemoryBound: 0
; FloatMode: 240
; IeeeMode: 1
; LDSByteSize: 0 bytes/workgroup (compile time only)
; SGPRBlocks: 0
; VGPRBlocks: 0
; NumSGPRsForWavesPerEU: 1
; NumVGPRsForWavesPerEU: 1
; Occupancy: 16
; WaveLimiterHint : 0
; COMPUTE_PGM_RSRC2:SCRATCH_EN: 0
; COMPUTE_PGM_RSRC2:USER_SGPR: 6
; COMPUTE_PGM_RSRC2:TRAP_HANDLER: 0
; COMPUTE_PGM_RSRC2:TGID_X_EN: 1
; COMPUTE_PGM_RSRC2:TGID_Y_EN: 0
; COMPUTE_PGM_RSRC2:TGID_Z_EN: 0
; COMPUTE_PGM_RSRC2:TIDIG_COMP_CNT: 0
	.section	.text._ZN7rocprim17ROCPRIM_400000_NS6detail17trampoline_kernelINS0_14default_configENS1_21merge_config_selectorINS0_5tupleIJiiEEENS0_10empty_typeEEEZNS1_10merge_implIS3_NS0_12zip_iteratorINS5_IJN6thrust23THRUST_200600_302600_NS6detail15normal_iteratorINSC_10device_ptrIKiEEEESI_EEEEESK_NSA_INS5_IJNSE_INSF_IiEEEESM_EEEEEPS7_SP_SP_NSC_11hip_rocprim7__merge17predicate_wrapperIiiNSC_4lessIiEEEEEE10hipError_tPvRmT0_T1_T2_T3_T4_T5_mmT6_P12ihipStream_tbEUlT_E0_NS1_11comp_targetILNS1_3genE2ELNS1_11target_archE906ELNS1_3gpuE6ELNS1_3repE0EEENS1_30default_config_static_selectorELNS0_4arch9wavefront6targetE0EEEvS10_,"axG",@progbits,_ZN7rocprim17ROCPRIM_400000_NS6detail17trampoline_kernelINS0_14default_configENS1_21merge_config_selectorINS0_5tupleIJiiEEENS0_10empty_typeEEEZNS1_10merge_implIS3_NS0_12zip_iteratorINS5_IJN6thrust23THRUST_200600_302600_NS6detail15normal_iteratorINSC_10device_ptrIKiEEEESI_EEEEESK_NSA_INS5_IJNSE_INSF_IiEEEESM_EEEEEPS7_SP_SP_NSC_11hip_rocprim7__merge17predicate_wrapperIiiNSC_4lessIiEEEEEE10hipError_tPvRmT0_T1_T2_T3_T4_T5_mmT6_P12ihipStream_tbEUlT_E0_NS1_11comp_targetILNS1_3genE2ELNS1_11target_archE906ELNS1_3gpuE6ELNS1_3repE0EEENS1_30default_config_static_selectorELNS0_4arch9wavefront6targetE0EEEvS10_,comdat
	.protected	_ZN7rocprim17ROCPRIM_400000_NS6detail17trampoline_kernelINS0_14default_configENS1_21merge_config_selectorINS0_5tupleIJiiEEENS0_10empty_typeEEEZNS1_10merge_implIS3_NS0_12zip_iteratorINS5_IJN6thrust23THRUST_200600_302600_NS6detail15normal_iteratorINSC_10device_ptrIKiEEEESI_EEEEESK_NSA_INS5_IJNSE_INSF_IiEEEESM_EEEEEPS7_SP_SP_NSC_11hip_rocprim7__merge17predicate_wrapperIiiNSC_4lessIiEEEEEE10hipError_tPvRmT0_T1_T2_T3_T4_T5_mmT6_P12ihipStream_tbEUlT_E0_NS1_11comp_targetILNS1_3genE2ELNS1_11target_archE906ELNS1_3gpuE6ELNS1_3repE0EEENS1_30default_config_static_selectorELNS0_4arch9wavefront6targetE0EEEvS10_ ; -- Begin function _ZN7rocprim17ROCPRIM_400000_NS6detail17trampoline_kernelINS0_14default_configENS1_21merge_config_selectorINS0_5tupleIJiiEEENS0_10empty_typeEEEZNS1_10merge_implIS3_NS0_12zip_iteratorINS5_IJN6thrust23THRUST_200600_302600_NS6detail15normal_iteratorINSC_10device_ptrIKiEEEESI_EEEEESK_NSA_INS5_IJNSE_INSF_IiEEEESM_EEEEEPS7_SP_SP_NSC_11hip_rocprim7__merge17predicate_wrapperIiiNSC_4lessIiEEEEEE10hipError_tPvRmT0_T1_T2_T3_T4_T5_mmT6_P12ihipStream_tbEUlT_E0_NS1_11comp_targetILNS1_3genE2ELNS1_11target_archE906ELNS1_3gpuE6ELNS1_3repE0EEENS1_30default_config_static_selectorELNS0_4arch9wavefront6targetE0EEEvS10_
	.globl	_ZN7rocprim17ROCPRIM_400000_NS6detail17trampoline_kernelINS0_14default_configENS1_21merge_config_selectorINS0_5tupleIJiiEEENS0_10empty_typeEEEZNS1_10merge_implIS3_NS0_12zip_iteratorINS5_IJN6thrust23THRUST_200600_302600_NS6detail15normal_iteratorINSC_10device_ptrIKiEEEESI_EEEEESK_NSA_INS5_IJNSE_INSF_IiEEEESM_EEEEEPS7_SP_SP_NSC_11hip_rocprim7__merge17predicate_wrapperIiiNSC_4lessIiEEEEEE10hipError_tPvRmT0_T1_T2_T3_T4_T5_mmT6_P12ihipStream_tbEUlT_E0_NS1_11comp_targetILNS1_3genE2ELNS1_11target_archE906ELNS1_3gpuE6ELNS1_3repE0EEENS1_30default_config_static_selectorELNS0_4arch9wavefront6targetE0EEEvS10_
	.p2align	8
	.type	_ZN7rocprim17ROCPRIM_400000_NS6detail17trampoline_kernelINS0_14default_configENS1_21merge_config_selectorINS0_5tupleIJiiEEENS0_10empty_typeEEEZNS1_10merge_implIS3_NS0_12zip_iteratorINS5_IJN6thrust23THRUST_200600_302600_NS6detail15normal_iteratorINSC_10device_ptrIKiEEEESI_EEEEESK_NSA_INS5_IJNSE_INSF_IiEEEESM_EEEEEPS7_SP_SP_NSC_11hip_rocprim7__merge17predicate_wrapperIiiNSC_4lessIiEEEEEE10hipError_tPvRmT0_T1_T2_T3_T4_T5_mmT6_P12ihipStream_tbEUlT_E0_NS1_11comp_targetILNS1_3genE2ELNS1_11target_archE906ELNS1_3gpuE6ELNS1_3repE0EEENS1_30default_config_static_selectorELNS0_4arch9wavefront6targetE0EEEvS10_,@function
_ZN7rocprim17ROCPRIM_400000_NS6detail17trampoline_kernelINS0_14default_configENS1_21merge_config_selectorINS0_5tupleIJiiEEENS0_10empty_typeEEEZNS1_10merge_implIS3_NS0_12zip_iteratorINS5_IJN6thrust23THRUST_200600_302600_NS6detail15normal_iteratorINSC_10device_ptrIKiEEEESI_EEEEESK_NSA_INS5_IJNSE_INSF_IiEEEESM_EEEEEPS7_SP_SP_NSC_11hip_rocprim7__merge17predicate_wrapperIiiNSC_4lessIiEEEEEE10hipError_tPvRmT0_T1_T2_T3_T4_T5_mmT6_P12ihipStream_tbEUlT_E0_NS1_11comp_targetILNS1_3genE2ELNS1_11target_archE906ELNS1_3gpuE6ELNS1_3repE0EEENS1_30default_config_static_selectorELNS0_4arch9wavefront6targetE0EEEvS10_: ; @_ZN7rocprim17ROCPRIM_400000_NS6detail17trampoline_kernelINS0_14default_configENS1_21merge_config_selectorINS0_5tupleIJiiEEENS0_10empty_typeEEEZNS1_10merge_implIS3_NS0_12zip_iteratorINS5_IJN6thrust23THRUST_200600_302600_NS6detail15normal_iteratorINSC_10device_ptrIKiEEEESI_EEEEESK_NSA_INS5_IJNSE_INSF_IiEEEESM_EEEEEPS7_SP_SP_NSC_11hip_rocprim7__merge17predicate_wrapperIiiNSC_4lessIiEEEEEE10hipError_tPvRmT0_T1_T2_T3_T4_T5_mmT6_P12ihipStream_tbEUlT_E0_NS1_11comp_targetILNS1_3genE2ELNS1_11target_archE906ELNS1_3gpuE6ELNS1_3repE0EEENS1_30default_config_static_selectorELNS0_4arch9wavefront6targetE0EEEvS10_
; %bb.0:
	.section	.rodata,"a",@progbits
	.p2align	6, 0x0
	.amdhsa_kernel _ZN7rocprim17ROCPRIM_400000_NS6detail17trampoline_kernelINS0_14default_configENS1_21merge_config_selectorINS0_5tupleIJiiEEENS0_10empty_typeEEEZNS1_10merge_implIS3_NS0_12zip_iteratorINS5_IJN6thrust23THRUST_200600_302600_NS6detail15normal_iteratorINSC_10device_ptrIKiEEEESI_EEEEESK_NSA_INS5_IJNSE_INSF_IiEEEESM_EEEEEPS7_SP_SP_NSC_11hip_rocprim7__merge17predicate_wrapperIiiNSC_4lessIiEEEEEE10hipError_tPvRmT0_T1_T2_T3_T4_T5_mmT6_P12ihipStream_tbEUlT_E0_NS1_11comp_targetILNS1_3genE2ELNS1_11target_archE906ELNS1_3gpuE6ELNS1_3repE0EEENS1_30default_config_static_selectorELNS0_4arch9wavefront6targetE0EEEvS10_
		.amdhsa_group_segment_fixed_size 0
		.amdhsa_private_segment_fixed_size 0
		.amdhsa_kernarg_size 112
		.amdhsa_user_sgpr_count 6
		.amdhsa_user_sgpr_private_segment_buffer 1
		.amdhsa_user_sgpr_dispatch_ptr 0
		.amdhsa_user_sgpr_queue_ptr 0
		.amdhsa_user_sgpr_kernarg_segment_ptr 1
		.amdhsa_user_sgpr_dispatch_id 0
		.amdhsa_user_sgpr_flat_scratch_init 0
		.amdhsa_user_sgpr_private_segment_size 0
		.amdhsa_wavefront_size32 1
		.amdhsa_uses_dynamic_stack 0
		.amdhsa_system_sgpr_private_segment_wavefront_offset 0
		.amdhsa_system_sgpr_workgroup_id_x 1
		.amdhsa_system_sgpr_workgroup_id_y 0
		.amdhsa_system_sgpr_workgroup_id_z 0
		.amdhsa_system_sgpr_workgroup_info 0
		.amdhsa_system_vgpr_workitem_id 0
		.amdhsa_next_free_vgpr 1
		.amdhsa_next_free_sgpr 1
		.amdhsa_reserve_vcc 0
		.amdhsa_reserve_flat_scratch 0
		.amdhsa_float_round_mode_32 0
		.amdhsa_float_round_mode_16_64 0
		.amdhsa_float_denorm_mode_32 3
		.amdhsa_float_denorm_mode_16_64 3
		.amdhsa_dx10_clamp 1
		.amdhsa_ieee_mode 1
		.amdhsa_fp16_overflow 0
		.amdhsa_workgroup_processor_mode 1
		.amdhsa_memory_ordered 1
		.amdhsa_forward_progress 1
		.amdhsa_shared_vgpr_count 0
		.amdhsa_exception_fp_ieee_invalid_op 0
		.amdhsa_exception_fp_denorm_src 0
		.amdhsa_exception_fp_ieee_div_zero 0
		.amdhsa_exception_fp_ieee_overflow 0
		.amdhsa_exception_fp_ieee_underflow 0
		.amdhsa_exception_fp_ieee_inexact 0
		.amdhsa_exception_int_div_zero 0
	.end_amdhsa_kernel
	.section	.text._ZN7rocprim17ROCPRIM_400000_NS6detail17trampoline_kernelINS0_14default_configENS1_21merge_config_selectorINS0_5tupleIJiiEEENS0_10empty_typeEEEZNS1_10merge_implIS3_NS0_12zip_iteratorINS5_IJN6thrust23THRUST_200600_302600_NS6detail15normal_iteratorINSC_10device_ptrIKiEEEESI_EEEEESK_NSA_INS5_IJNSE_INSF_IiEEEESM_EEEEEPS7_SP_SP_NSC_11hip_rocprim7__merge17predicate_wrapperIiiNSC_4lessIiEEEEEE10hipError_tPvRmT0_T1_T2_T3_T4_T5_mmT6_P12ihipStream_tbEUlT_E0_NS1_11comp_targetILNS1_3genE2ELNS1_11target_archE906ELNS1_3gpuE6ELNS1_3repE0EEENS1_30default_config_static_selectorELNS0_4arch9wavefront6targetE0EEEvS10_,"axG",@progbits,_ZN7rocprim17ROCPRIM_400000_NS6detail17trampoline_kernelINS0_14default_configENS1_21merge_config_selectorINS0_5tupleIJiiEEENS0_10empty_typeEEEZNS1_10merge_implIS3_NS0_12zip_iteratorINS5_IJN6thrust23THRUST_200600_302600_NS6detail15normal_iteratorINSC_10device_ptrIKiEEEESI_EEEEESK_NSA_INS5_IJNSE_INSF_IiEEEESM_EEEEEPS7_SP_SP_NSC_11hip_rocprim7__merge17predicate_wrapperIiiNSC_4lessIiEEEEEE10hipError_tPvRmT0_T1_T2_T3_T4_T5_mmT6_P12ihipStream_tbEUlT_E0_NS1_11comp_targetILNS1_3genE2ELNS1_11target_archE906ELNS1_3gpuE6ELNS1_3repE0EEENS1_30default_config_static_selectorELNS0_4arch9wavefront6targetE0EEEvS10_,comdat
.Lfunc_end256:
	.size	_ZN7rocprim17ROCPRIM_400000_NS6detail17trampoline_kernelINS0_14default_configENS1_21merge_config_selectorINS0_5tupleIJiiEEENS0_10empty_typeEEEZNS1_10merge_implIS3_NS0_12zip_iteratorINS5_IJN6thrust23THRUST_200600_302600_NS6detail15normal_iteratorINSC_10device_ptrIKiEEEESI_EEEEESK_NSA_INS5_IJNSE_INSF_IiEEEESM_EEEEEPS7_SP_SP_NSC_11hip_rocprim7__merge17predicate_wrapperIiiNSC_4lessIiEEEEEE10hipError_tPvRmT0_T1_T2_T3_T4_T5_mmT6_P12ihipStream_tbEUlT_E0_NS1_11comp_targetILNS1_3genE2ELNS1_11target_archE906ELNS1_3gpuE6ELNS1_3repE0EEENS1_30default_config_static_selectorELNS0_4arch9wavefront6targetE0EEEvS10_, .Lfunc_end256-_ZN7rocprim17ROCPRIM_400000_NS6detail17trampoline_kernelINS0_14default_configENS1_21merge_config_selectorINS0_5tupleIJiiEEENS0_10empty_typeEEEZNS1_10merge_implIS3_NS0_12zip_iteratorINS5_IJN6thrust23THRUST_200600_302600_NS6detail15normal_iteratorINSC_10device_ptrIKiEEEESI_EEEEESK_NSA_INS5_IJNSE_INSF_IiEEEESM_EEEEEPS7_SP_SP_NSC_11hip_rocprim7__merge17predicate_wrapperIiiNSC_4lessIiEEEEEE10hipError_tPvRmT0_T1_T2_T3_T4_T5_mmT6_P12ihipStream_tbEUlT_E0_NS1_11comp_targetILNS1_3genE2ELNS1_11target_archE906ELNS1_3gpuE6ELNS1_3repE0EEENS1_30default_config_static_selectorELNS0_4arch9wavefront6targetE0EEEvS10_
                                        ; -- End function
	.set _ZN7rocprim17ROCPRIM_400000_NS6detail17trampoline_kernelINS0_14default_configENS1_21merge_config_selectorINS0_5tupleIJiiEEENS0_10empty_typeEEEZNS1_10merge_implIS3_NS0_12zip_iteratorINS5_IJN6thrust23THRUST_200600_302600_NS6detail15normal_iteratorINSC_10device_ptrIKiEEEESI_EEEEESK_NSA_INS5_IJNSE_INSF_IiEEEESM_EEEEEPS7_SP_SP_NSC_11hip_rocprim7__merge17predicate_wrapperIiiNSC_4lessIiEEEEEE10hipError_tPvRmT0_T1_T2_T3_T4_T5_mmT6_P12ihipStream_tbEUlT_E0_NS1_11comp_targetILNS1_3genE2ELNS1_11target_archE906ELNS1_3gpuE6ELNS1_3repE0EEENS1_30default_config_static_selectorELNS0_4arch9wavefront6targetE0EEEvS10_.num_vgpr, 0
	.set _ZN7rocprim17ROCPRIM_400000_NS6detail17trampoline_kernelINS0_14default_configENS1_21merge_config_selectorINS0_5tupleIJiiEEENS0_10empty_typeEEEZNS1_10merge_implIS3_NS0_12zip_iteratorINS5_IJN6thrust23THRUST_200600_302600_NS6detail15normal_iteratorINSC_10device_ptrIKiEEEESI_EEEEESK_NSA_INS5_IJNSE_INSF_IiEEEESM_EEEEEPS7_SP_SP_NSC_11hip_rocprim7__merge17predicate_wrapperIiiNSC_4lessIiEEEEEE10hipError_tPvRmT0_T1_T2_T3_T4_T5_mmT6_P12ihipStream_tbEUlT_E0_NS1_11comp_targetILNS1_3genE2ELNS1_11target_archE906ELNS1_3gpuE6ELNS1_3repE0EEENS1_30default_config_static_selectorELNS0_4arch9wavefront6targetE0EEEvS10_.num_agpr, 0
	.set _ZN7rocprim17ROCPRIM_400000_NS6detail17trampoline_kernelINS0_14default_configENS1_21merge_config_selectorINS0_5tupleIJiiEEENS0_10empty_typeEEEZNS1_10merge_implIS3_NS0_12zip_iteratorINS5_IJN6thrust23THRUST_200600_302600_NS6detail15normal_iteratorINSC_10device_ptrIKiEEEESI_EEEEESK_NSA_INS5_IJNSE_INSF_IiEEEESM_EEEEEPS7_SP_SP_NSC_11hip_rocprim7__merge17predicate_wrapperIiiNSC_4lessIiEEEEEE10hipError_tPvRmT0_T1_T2_T3_T4_T5_mmT6_P12ihipStream_tbEUlT_E0_NS1_11comp_targetILNS1_3genE2ELNS1_11target_archE906ELNS1_3gpuE6ELNS1_3repE0EEENS1_30default_config_static_selectorELNS0_4arch9wavefront6targetE0EEEvS10_.numbered_sgpr, 0
	.set _ZN7rocprim17ROCPRIM_400000_NS6detail17trampoline_kernelINS0_14default_configENS1_21merge_config_selectorINS0_5tupleIJiiEEENS0_10empty_typeEEEZNS1_10merge_implIS3_NS0_12zip_iteratorINS5_IJN6thrust23THRUST_200600_302600_NS6detail15normal_iteratorINSC_10device_ptrIKiEEEESI_EEEEESK_NSA_INS5_IJNSE_INSF_IiEEEESM_EEEEEPS7_SP_SP_NSC_11hip_rocprim7__merge17predicate_wrapperIiiNSC_4lessIiEEEEEE10hipError_tPvRmT0_T1_T2_T3_T4_T5_mmT6_P12ihipStream_tbEUlT_E0_NS1_11comp_targetILNS1_3genE2ELNS1_11target_archE906ELNS1_3gpuE6ELNS1_3repE0EEENS1_30default_config_static_selectorELNS0_4arch9wavefront6targetE0EEEvS10_.num_named_barrier, 0
	.set _ZN7rocprim17ROCPRIM_400000_NS6detail17trampoline_kernelINS0_14default_configENS1_21merge_config_selectorINS0_5tupleIJiiEEENS0_10empty_typeEEEZNS1_10merge_implIS3_NS0_12zip_iteratorINS5_IJN6thrust23THRUST_200600_302600_NS6detail15normal_iteratorINSC_10device_ptrIKiEEEESI_EEEEESK_NSA_INS5_IJNSE_INSF_IiEEEESM_EEEEEPS7_SP_SP_NSC_11hip_rocprim7__merge17predicate_wrapperIiiNSC_4lessIiEEEEEE10hipError_tPvRmT0_T1_T2_T3_T4_T5_mmT6_P12ihipStream_tbEUlT_E0_NS1_11comp_targetILNS1_3genE2ELNS1_11target_archE906ELNS1_3gpuE6ELNS1_3repE0EEENS1_30default_config_static_selectorELNS0_4arch9wavefront6targetE0EEEvS10_.private_seg_size, 0
	.set _ZN7rocprim17ROCPRIM_400000_NS6detail17trampoline_kernelINS0_14default_configENS1_21merge_config_selectorINS0_5tupleIJiiEEENS0_10empty_typeEEEZNS1_10merge_implIS3_NS0_12zip_iteratorINS5_IJN6thrust23THRUST_200600_302600_NS6detail15normal_iteratorINSC_10device_ptrIKiEEEESI_EEEEESK_NSA_INS5_IJNSE_INSF_IiEEEESM_EEEEEPS7_SP_SP_NSC_11hip_rocprim7__merge17predicate_wrapperIiiNSC_4lessIiEEEEEE10hipError_tPvRmT0_T1_T2_T3_T4_T5_mmT6_P12ihipStream_tbEUlT_E0_NS1_11comp_targetILNS1_3genE2ELNS1_11target_archE906ELNS1_3gpuE6ELNS1_3repE0EEENS1_30default_config_static_selectorELNS0_4arch9wavefront6targetE0EEEvS10_.uses_vcc, 0
	.set _ZN7rocprim17ROCPRIM_400000_NS6detail17trampoline_kernelINS0_14default_configENS1_21merge_config_selectorINS0_5tupleIJiiEEENS0_10empty_typeEEEZNS1_10merge_implIS3_NS0_12zip_iteratorINS5_IJN6thrust23THRUST_200600_302600_NS6detail15normal_iteratorINSC_10device_ptrIKiEEEESI_EEEEESK_NSA_INS5_IJNSE_INSF_IiEEEESM_EEEEEPS7_SP_SP_NSC_11hip_rocprim7__merge17predicate_wrapperIiiNSC_4lessIiEEEEEE10hipError_tPvRmT0_T1_T2_T3_T4_T5_mmT6_P12ihipStream_tbEUlT_E0_NS1_11comp_targetILNS1_3genE2ELNS1_11target_archE906ELNS1_3gpuE6ELNS1_3repE0EEENS1_30default_config_static_selectorELNS0_4arch9wavefront6targetE0EEEvS10_.uses_flat_scratch, 0
	.set _ZN7rocprim17ROCPRIM_400000_NS6detail17trampoline_kernelINS0_14default_configENS1_21merge_config_selectorINS0_5tupleIJiiEEENS0_10empty_typeEEEZNS1_10merge_implIS3_NS0_12zip_iteratorINS5_IJN6thrust23THRUST_200600_302600_NS6detail15normal_iteratorINSC_10device_ptrIKiEEEESI_EEEEESK_NSA_INS5_IJNSE_INSF_IiEEEESM_EEEEEPS7_SP_SP_NSC_11hip_rocprim7__merge17predicate_wrapperIiiNSC_4lessIiEEEEEE10hipError_tPvRmT0_T1_T2_T3_T4_T5_mmT6_P12ihipStream_tbEUlT_E0_NS1_11comp_targetILNS1_3genE2ELNS1_11target_archE906ELNS1_3gpuE6ELNS1_3repE0EEENS1_30default_config_static_selectorELNS0_4arch9wavefront6targetE0EEEvS10_.has_dyn_sized_stack, 0
	.set _ZN7rocprim17ROCPRIM_400000_NS6detail17trampoline_kernelINS0_14default_configENS1_21merge_config_selectorINS0_5tupleIJiiEEENS0_10empty_typeEEEZNS1_10merge_implIS3_NS0_12zip_iteratorINS5_IJN6thrust23THRUST_200600_302600_NS6detail15normal_iteratorINSC_10device_ptrIKiEEEESI_EEEEESK_NSA_INS5_IJNSE_INSF_IiEEEESM_EEEEEPS7_SP_SP_NSC_11hip_rocprim7__merge17predicate_wrapperIiiNSC_4lessIiEEEEEE10hipError_tPvRmT0_T1_T2_T3_T4_T5_mmT6_P12ihipStream_tbEUlT_E0_NS1_11comp_targetILNS1_3genE2ELNS1_11target_archE906ELNS1_3gpuE6ELNS1_3repE0EEENS1_30default_config_static_selectorELNS0_4arch9wavefront6targetE0EEEvS10_.has_recursion, 0
	.set _ZN7rocprim17ROCPRIM_400000_NS6detail17trampoline_kernelINS0_14default_configENS1_21merge_config_selectorINS0_5tupleIJiiEEENS0_10empty_typeEEEZNS1_10merge_implIS3_NS0_12zip_iteratorINS5_IJN6thrust23THRUST_200600_302600_NS6detail15normal_iteratorINSC_10device_ptrIKiEEEESI_EEEEESK_NSA_INS5_IJNSE_INSF_IiEEEESM_EEEEEPS7_SP_SP_NSC_11hip_rocprim7__merge17predicate_wrapperIiiNSC_4lessIiEEEEEE10hipError_tPvRmT0_T1_T2_T3_T4_T5_mmT6_P12ihipStream_tbEUlT_E0_NS1_11comp_targetILNS1_3genE2ELNS1_11target_archE906ELNS1_3gpuE6ELNS1_3repE0EEENS1_30default_config_static_selectorELNS0_4arch9wavefront6targetE0EEEvS10_.has_indirect_call, 0
	.section	.AMDGPU.csdata,"",@progbits
; Kernel info:
; codeLenInByte = 0
; TotalNumSgprs: 0
; NumVgprs: 0
; ScratchSize: 0
; MemoryBound: 0
; FloatMode: 240
; IeeeMode: 1
; LDSByteSize: 0 bytes/workgroup (compile time only)
; SGPRBlocks: 0
; VGPRBlocks: 0
; NumSGPRsForWavesPerEU: 1
; NumVGPRsForWavesPerEU: 1
; Occupancy: 16
; WaveLimiterHint : 0
; COMPUTE_PGM_RSRC2:SCRATCH_EN: 0
; COMPUTE_PGM_RSRC2:USER_SGPR: 6
; COMPUTE_PGM_RSRC2:TRAP_HANDLER: 0
; COMPUTE_PGM_RSRC2:TGID_X_EN: 1
; COMPUTE_PGM_RSRC2:TGID_Y_EN: 0
; COMPUTE_PGM_RSRC2:TGID_Z_EN: 0
; COMPUTE_PGM_RSRC2:TIDIG_COMP_CNT: 0
	.section	.text._ZN7rocprim17ROCPRIM_400000_NS6detail17trampoline_kernelINS0_14default_configENS1_21merge_config_selectorINS0_5tupleIJiiEEENS0_10empty_typeEEEZNS1_10merge_implIS3_NS0_12zip_iteratorINS5_IJN6thrust23THRUST_200600_302600_NS6detail15normal_iteratorINSC_10device_ptrIKiEEEESI_EEEEESK_NSA_INS5_IJNSE_INSF_IiEEEESM_EEEEEPS7_SP_SP_NSC_11hip_rocprim7__merge17predicate_wrapperIiiNSC_4lessIiEEEEEE10hipError_tPvRmT0_T1_T2_T3_T4_T5_mmT6_P12ihipStream_tbEUlT_E0_NS1_11comp_targetILNS1_3genE10ELNS1_11target_archE1201ELNS1_3gpuE5ELNS1_3repE0EEENS1_30default_config_static_selectorELNS0_4arch9wavefront6targetE0EEEvS10_,"axG",@progbits,_ZN7rocprim17ROCPRIM_400000_NS6detail17trampoline_kernelINS0_14default_configENS1_21merge_config_selectorINS0_5tupleIJiiEEENS0_10empty_typeEEEZNS1_10merge_implIS3_NS0_12zip_iteratorINS5_IJN6thrust23THRUST_200600_302600_NS6detail15normal_iteratorINSC_10device_ptrIKiEEEESI_EEEEESK_NSA_INS5_IJNSE_INSF_IiEEEESM_EEEEEPS7_SP_SP_NSC_11hip_rocprim7__merge17predicate_wrapperIiiNSC_4lessIiEEEEEE10hipError_tPvRmT0_T1_T2_T3_T4_T5_mmT6_P12ihipStream_tbEUlT_E0_NS1_11comp_targetILNS1_3genE10ELNS1_11target_archE1201ELNS1_3gpuE5ELNS1_3repE0EEENS1_30default_config_static_selectorELNS0_4arch9wavefront6targetE0EEEvS10_,comdat
	.protected	_ZN7rocprim17ROCPRIM_400000_NS6detail17trampoline_kernelINS0_14default_configENS1_21merge_config_selectorINS0_5tupleIJiiEEENS0_10empty_typeEEEZNS1_10merge_implIS3_NS0_12zip_iteratorINS5_IJN6thrust23THRUST_200600_302600_NS6detail15normal_iteratorINSC_10device_ptrIKiEEEESI_EEEEESK_NSA_INS5_IJNSE_INSF_IiEEEESM_EEEEEPS7_SP_SP_NSC_11hip_rocprim7__merge17predicate_wrapperIiiNSC_4lessIiEEEEEE10hipError_tPvRmT0_T1_T2_T3_T4_T5_mmT6_P12ihipStream_tbEUlT_E0_NS1_11comp_targetILNS1_3genE10ELNS1_11target_archE1201ELNS1_3gpuE5ELNS1_3repE0EEENS1_30default_config_static_selectorELNS0_4arch9wavefront6targetE0EEEvS10_ ; -- Begin function _ZN7rocprim17ROCPRIM_400000_NS6detail17trampoline_kernelINS0_14default_configENS1_21merge_config_selectorINS0_5tupleIJiiEEENS0_10empty_typeEEEZNS1_10merge_implIS3_NS0_12zip_iteratorINS5_IJN6thrust23THRUST_200600_302600_NS6detail15normal_iteratorINSC_10device_ptrIKiEEEESI_EEEEESK_NSA_INS5_IJNSE_INSF_IiEEEESM_EEEEEPS7_SP_SP_NSC_11hip_rocprim7__merge17predicate_wrapperIiiNSC_4lessIiEEEEEE10hipError_tPvRmT0_T1_T2_T3_T4_T5_mmT6_P12ihipStream_tbEUlT_E0_NS1_11comp_targetILNS1_3genE10ELNS1_11target_archE1201ELNS1_3gpuE5ELNS1_3repE0EEENS1_30default_config_static_selectorELNS0_4arch9wavefront6targetE0EEEvS10_
	.globl	_ZN7rocprim17ROCPRIM_400000_NS6detail17trampoline_kernelINS0_14default_configENS1_21merge_config_selectorINS0_5tupleIJiiEEENS0_10empty_typeEEEZNS1_10merge_implIS3_NS0_12zip_iteratorINS5_IJN6thrust23THRUST_200600_302600_NS6detail15normal_iteratorINSC_10device_ptrIKiEEEESI_EEEEESK_NSA_INS5_IJNSE_INSF_IiEEEESM_EEEEEPS7_SP_SP_NSC_11hip_rocprim7__merge17predicate_wrapperIiiNSC_4lessIiEEEEEE10hipError_tPvRmT0_T1_T2_T3_T4_T5_mmT6_P12ihipStream_tbEUlT_E0_NS1_11comp_targetILNS1_3genE10ELNS1_11target_archE1201ELNS1_3gpuE5ELNS1_3repE0EEENS1_30default_config_static_selectorELNS0_4arch9wavefront6targetE0EEEvS10_
	.p2align	8
	.type	_ZN7rocprim17ROCPRIM_400000_NS6detail17trampoline_kernelINS0_14default_configENS1_21merge_config_selectorINS0_5tupleIJiiEEENS0_10empty_typeEEEZNS1_10merge_implIS3_NS0_12zip_iteratorINS5_IJN6thrust23THRUST_200600_302600_NS6detail15normal_iteratorINSC_10device_ptrIKiEEEESI_EEEEESK_NSA_INS5_IJNSE_INSF_IiEEEESM_EEEEEPS7_SP_SP_NSC_11hip_rocprim7__merge17predicate_wrapperIiiNSC_4lessIiEEEEEE10hipError_tPvRmT0_T1_T2_T3_T4_T5_mmT6_P12ihipStream_tbEUlT_E0_NS1_11comp_targetILNS1_3genE10ELNS1_11target_archE1201ELNS1_3gpuE5ELNS1_3repE0EEENS1_30default_config_static_selectorELNS0_4arch9wavefront6targetE0EEEvS10_,@function
_ZN7rocprim17ROCPRIM_400000_NS6detail17trampoline_kernelINS0_14default_configENS1_21merge_config_selectorINS0_5tupleIJiiEEENS0_10empty_typeEEEZNS1_10merge_implIS3_NS0_12zip_iteratorINS5_IJN6thrust23THRUST_200600_302600_NS6detail15normal_iteratorINSC_10device_ptrIKiEEEESI_EEEEESK_NSA_INS5_IJNSE_INSF_IiEEEESM_EEEEEPS7_SP_SP_NSC_11hip_rocprim7__merge17predicate_wrapperIiiNSC_4lessIiEEEEEE10hipError_tPvRmT0_T1_T2_T3_T4_T5_mmT6_P12ihipStream_tbEUlT_E0_NS1_11comp_targetILNS1_3genE10ELNS1_11target_archE1201ELNS1_3gpuE5ELNS1_3repE0EEENS1_30default_config_static_selectorELNS0_4arch9wavefront6targetE0EEEvS10_: ; @_ZN7rocprim17ROCPRIM_400000_NS6detail17trampoline_kernelINS0_14default_configENS1_21merge_config_selectorINS0_5tupleIJiiEEENS0_10empty_typeEEEZNS1_10merge_implIS3_NS0_12zip_iteratorINS5_IJN6thrust23THRUST_200600_302600_NS6detail15normal_iteratorINSC_10device_ptrIKiEEEESI_EEEEESK_NSA_INS5_IJNSE_INSF_IiEEEESM_EEEEEPS7_SP_SP_NSC_11hip_rocprim7__merge17predicate_wrapperIiiNSC_4lessIiEEEEEE10hipError_tPvRmT0_T1_T2_T3_T4_T5_mmT6_P12ihipStream_tbEUlT_E0_NS1_11comp_targetILNS1_3genE10ELNS1_11target_archE1201ELNS1_3gpuE5ELNS1_3repE0EEENS1_30default_config_static_selectorELNS0_4arch9wavefront6targetE0EEEvS10_
; %bb.0:
	.section	.rodata,"a",@progbits
	.p2align	6, 0x0
	.amdhsa_kernel _ZN7rocprim17ROCPRIM_400000_NS6detail17trampoline_kernelINS0_14default_configENS1_21merge_config_selectorINS0_5tupleIJiiEEENS0_10empty_typeEEEZNS1_10merge_implIS3_NS0_12zip_iteratorINS5_IJN6thrust23THRUST_200600_302600_NS6detail15normal_iteratorINSC_10device_ptrIKiEEEESI_EEEEESK_NSA_INS5_IJNSE_INSF_IiEEEESM_EEEEEPS7_SP_SP_NSC_11hip_rocprim7__merge17predicate_wrapperIiiNSC_4lessIiEEEEEE10hipError_tPvRmT0_T1_T2_T3_T4_T5_mmT6_P12ihipStream_tbEUlT_E0_NS1_11comp_targetILNS1_3genE10ELNS1_11target_archE1201ELNS1_3gpuE5ELNS1_3repE0EEENS1_30default_config_static_selectorELNS0_4arch9wavefront6targetE0EEEvS10_
		.amdhsa_group_segment_fixed_size 0
		.amdhsa_private_segment_fixed_size 0
		.amdhsa_kernarg_size 112
		.amdhsa_user_sgpr_count 6
		.amdhsa_user_sgpr_private_segment_buffer 1
		.amdhsa_user_sgpr_dispatch_ptr 0
		.amdhsa_user_sgpr_queue_ptr 0
		.amdhsa_user_sgpr_kernarg_segment_ptr 1
		.amdhsa_user_sgpr_dispatch_id 0
		.amdhsa_user_sgpr_flat_scratch_init 0
		.amdhsa_user_sgpr_private_segment_size 0
		.amdhsa_wavefront_size32 1
		.amdhsa_uses_dynamic_stack 0
		.amdhsa_system_sgpr_private_segment_wavefront_offset 0
		.amdhsa_system_sgpr_workgroup_id_x 1
		.amdhsa_system_sgpr_workgroup_id_y 0
		.amdhsa_system_sgpr_workgroup_id_z 0
		.amdhsa_system_sgpr_workgroup_info 0
		.amdhsa_system_vgpr_workitem_id 0
		.amdhsa_next_free_vgpr 1
		.amdhsa_next_free_sgpr 1
		.amdhsa_reserve_vcc 0
		.amdhsa_reserve_flat_scratch 0
		.amdhsa_float_round_mode_32 0
		.amdhsa_float_round_mode_16_64 0
		.amdhsa_float_denorm_mode_32 3
		.amdhsa_float_denorm_mode_16_64 3
		.amdhsa_dx10_clamp 1
		.amdhsa_ieee_mode 1
		.amdhsa_fp16_overflow 0
		.amdhsa_workgroup_processor_mode 1
		.amdhsa_memory_ordered 1
		.amdhsa_forward_progress 1
		.amdhsa_shared_vgpr_count 0
		.amdhsa_exception_fp_ieee_invalid_op 0
		.amdhsa_exception_fp_denorm_src 0
		.amdhsa_exception_fp_ieee_div_zero 0
		.amdhsa_exception_fp_ieee_overflow 0
		.amdhsa_exception_fp_ieee_underflow 0
		.amdhsa_exception_fp_ieee_inexact 0
		.amdhsa_exception_int_div_zero 0
	.end_amdhsa_kernel
	.section	.text._ZN7rocprim17ROCPRIM_400000_NS6detail17trampoline_kernelINS0_14default_configENS1_21merge_config_selectorINS0_5tupleIJiiEEENS0_10empty_typeEEEZNS1_10merge_implIS3_NS0_12zip_iteratorINS5_IJN6thrust23THRUST_200600_302600_NS6detail15normal_iteratorINSC_10device_ptrIKiEEEESI_EEEEESK_NSA_INS5_IJNSE_INSF_IiEEEESM_EEEEEPS7_SP_SP_NSC_11hip_rocprim7__merge17predicate_wrapperIiiNSC_4lessIiEEEEEE10hipError_tPvRmT0_T1_T2_T3_T4_T5_mmT6_P12ihipStream_tbEUlT_E0_NS1_11comp_targetILNS1_3genE10ELNS1_11target_archE1201ELNS1_3gpuE5ELNS1_3repE0EEENS1_30default_config_static_selectorELNS0_4arch9wavefront6targetE0EEEvS10_,"axG",@progbits,_ZN7rocprim17ROCPRIM_400000_NS6detail17trampoline_kernelINS0_14default_configENS1_21merge_config_selectorINS0_5tupleIJiiEEENS0_10empty_typeEEEZNS1_10merge_implIS3_NS0_12zip_iteratorINS5_IJN6thrust23THRUST_200600_302600_NS6detail15normal_iteratorINSC_10device_ptrIKiEEEESI_EEEEESK_NSA_INS5_IJNSE_INSF_IiEEEESM_EEEEEPS7_SP_SP_NSC_11hip_rocprim7__merge17predicate_wrapperIiiNSC_4lessIiEEEEEE10hipError_tPvRmT0_T1_T2_T3_T4_T5_mmT6_P12ihipStream_tbEUlT_E0_NS1_11comp_targetILNS1_3genE10ELNS1_11target_archE1201ELNS1_3gpuE5ELNS1_3repE0EEENS1_30default_config_static_selectorELNS0_4arch9wavefront6targetE0EEEvS10_,comdat
.Lfunc_end257:
	.size	_ZN7rocprim17ROCPRIM_400000_NS6detail17trampoline_kernelINS0_14default_configENS1_21merge_config_selectorINS0_5tupleIJiiEEENS0_10empty_typeEEEZNS1_10merge_implIS3_NS0_12zip_iteratorINS5_IJN6thrust23THRUST_200600_302600_NS6detail15normal_iteratorINSC_10device_ptrIKiEEEESI_EEEEESK_NSA_INS5_IJNSE_INSF_IiEEEESM_EEEEEPS7_SP_SP_NSC_11hip_rocprim7__merge17predicate_wrapperIiiNSC_4lessIiEEEEEE10hipError_tPvRmT0_T1_T2_T3_T4_T5_mmT6_P12ihipStream_tbEUlT_E0_NS1_11comp_targetILNS1_3genE10ELNS1_11target_archE1201ELNS1_3gpuE5ELNS1_3repE0EEENS1_30default_config_static_selectorELNS0_4arch9wavefront6targetE0EEEvS10_, .Lfunc_end257-_ZN7rocprim17ROCPRIM_400000_NS6detail17trampoline_kernelINS0_14default_configENS1_21merge_config_selectorINS0_5tupleIJiiEEENS0_10empty_typeEEEZNS1_10merge_implIS3_NS0_12zip_iteratorINS5_IJN6thrust23THRUST_200600_302600_NS6detail15normal_iteratorINSC_10device_ptrIKiEEEESI_EEEEESK_NSA_INS5_IJNSE_INSF_IiEEEESM_EEEEEPS7_SP_SP_NSC_11hip_rocprim7__merge17predicate_wrapperIiiNSC_4lessIiEEEEEE10hipError_tPvRmT0_T1_T2_T3_T4_T5_mmT6_P12ihipStream_tbEUlT_E0_NS1_11comp_targetILNS1_3genE10ELNS1_11target_archE1201ELNS1_3gpuE5ELNS1_3repE0EEENS1_30default_config_static_selectorELNS0_4arch9wavefront6targetE0EEEvS10_
                                        ; -- End function
	.set _ZN7rocprim17ROCPRIM_400000_NS6detail17trampoline_kernelINS0_14default_configENS1_21merge_config_selectorINS0_5tupleIJiiEEENS0_10empty_typeEEEZNS1_10merge_implIS3_NS0_12zip_iteratorINS5_IJN6thrust23THRUST_200600_302600_NS6detail15normal_iteratorINSC_10device_ptrIKiEEEESI_EEEEESK_NSA_INS5_IJNSE_INSF_IiEEEESM_EEEEEPS7_SP_SP_NSC_11hip_rocprim7__merge17predicate_wrapperIiiNSC_4lessIiEEEEEE10hipError_tPvRmT0_T1_T2_T3_T4_T5_mmT6_P12ihipStream_tbEUlT_E0_NS1_11comp_targetILNS1_3genE10ELNS1_11target_archE1201ELNS1_3gpuE5ELNS1_3repE0EEENS1_30default_config_static_selectorELNS0_4arch9wavefront6targetE0EEEvS10_.num_vgpr, 0
	.set _ZN7rocprim17ROCPRIM_400000_NS6detail17trampoline_kernelINS0_14default_configENS1_21merge_config_selectorINS0_5tupleIJiiEEENS0_10empty_typeEEEZNS1_10merge_implIS3_NS0_12zip_iteratorINS5_IJN6thrust23THRUST_200600_302600_NS6detail15normal_iteratorINSC_10device_ptrIKiEEEESI_EEEEESK_NSA_INS5_IJNSE_INSF_IiEEEESM_EEEEEPS7_SP_SP_NSC_11hip_rocprim7__merge17predicate_wrapperIiiNSC_4lessIiEEEEEE10hipError_tPvRmT0_T1_T2_T3_T4_T5_mmT6_P12ihipStream_tbEUlT_E0_NS1_11comp_targetILNS1_3genE10ELNS1_11target_archE1201ELNS1_3gpuE5ELNS1_3repE0EEENS1_30default_config_static_selectorELNS0_4arch9wavefront6targetE0EEEvS10_.num_agpr, 0
	.set _ZN7rocprim17ROCPRIM_400000_NS6detail17trampoline_kernelINS0_14default_configENS1_21merge_config_selectorINS0_5tupleIJiiEEENS0_10empty_typeEEEZNS1_10merge_implIS3_NS0_12zip_iteratorINS5_IJN6thrust23THRUST_200600_302600_NS6detail15normal_iteratorINSC_10device_ptrIKiEEEESI_EEEEESK_NSA_INS5_IJNSE_INSF_IiEEEESM_EEEEEPS7_SP_SP_NSC_11hip_rocprim7__merge17predicate_wrapperIiiNSC_4lessIiEEEEEE10hipError_tPvRmT0_T1_T2_T3_T4_T5_mmT6_P12ihipStream_tbEUlT_E0_NS1_11comp_targetILNS1_3genE10ELNS1_11target_archE1201ELNS1_3gpuE5ELNS1_3repE0EEENS1_30default_config_static_selectorELNS0_4arch9wavefront6targetE0EEEvS10_.numbered_sgpr, 0
	.set _ZN7rocprim17ROCPRIM_400000_NS6detail17trampoline_kernelINS0_14default_configENS1_21merge_config_selectorINS0_5tupleIJiiEEENS0_10empty_typeEEEZNS1_10merge_implIS3_NS0_12zip_iteratorINS5_IJN6thrust23THRUST_200600_302600_NS6detail15normal_iteratorINSC_10device_ptrIKiEEEESI_EEEEESK_NSA_INS5_IJNSE_INSF_IiEEEESM_EEEEEPS7_SP_SP_NSC_11hip_rocprim7__merge17predicate_wrapperIiiNSC_4lessIiEEEEEE10hipError_tPvRmT0_T1_T2_T3_T4_T5_mmT6_P12ihipStream_tbEUlT_E0_NS1_11comp_targetILNS1_3genE10ELNS1_11target_archE1201ELNS1_3gpuE5ELNS1_3repE0EEENS1_30default_config_static_selectorELNS0_4arch9wavefront6targetE0EEEvS10_.num_named_barrier, 0
	.set _ZN7rocprim17ROCPRIM_400000_NS6detail17trampoline_kernelINS0_14default_configENS1_21merge_config_selectorINS0_5tupleIJiiEEENS0_10empty_typeEEEZNS1_10merge_implIS3_NS0_12zip_iteratorINS5_IJN6thrust23THRUST_200600_302600_NS6detail15normal_iteratorINSC_10device_ptrIKiEEEESI_EEEEESK_NSA_INS5_IJNSE_INSF_IiEEEESM_EEEEEPS7_SP_SP_NSC_11hip_rocprim7__merge17predicate_wrapperIiiNSC_4lessIiEEEEEE10hipError_tPvRmT0_T1_T2_T3_T4_T5_mmT6_P12ihipStream_tbEUlT_E0_NS1_11comp_targetILNS1_3genE10ELNS1_11target_archE1201ELNS1_3gpuE5ELNS1_3repE0EEENS1_30default_config_static_selectorELNS0_4arch9wavefront6targetE0EEEvS10_.private_seg_size, 0
	.set _ZN7rocprim17ROCPRIM_400000_NS6detail17trampoline_kernelINS0_14default_configENS1_21merge_config_selectorINS0_5tupleIJiiEEENS0_10empty_typeEEEZNS1_10merge_implIS3_NS0_12zip_iteratorINS5_IJN6thrust23THRUST_200600_302600_NS6detail15normal_iteratorINSC_10device_ptrIKiEEEESI_EEEEESK_NSA_INS5_IJNSE_INSF_IiEEEESM_EEEEEPS7_SP_SP_NSC_11hip_rocprim7__merge17predicate_wrapperIiiNSC_4lessIiEEEEEE10hipError_tPvRmT0_T1_T2_T3_T4_T5_mmT6_P12ihipStream_tbEUlT_E0_NS1_11comp_targetILNS1_3genE10ELNS1_11target_archE1201ELNS1_3gpuE5ELNS1_3repE0EEENS1_30default_config_static_selectorELNS0_4arch9wavefront6targetE0EEEvS10_.uses_vcc, 0
	.set _ZN7rocprim17ROCPRIM_400000_NS6detail17trampoline_kernelINS0_14default_configENS1_21merge_config_selectorINS0_5tupleIJiiEEENS0_10empty_typeEEEZNS1_10merge_implIS3_NS0_12zip_iteratorINS5_IJN6thrust23THRUST_200600_302600_NS6detail15normal_iteratorINSC_10device_ptrIKiEEEESI_EEEEESK_NSA_INS5_IJNSE_INSF_IiEEEESM_EEEEEPS7_SP_SP_NSC_11hip_rocprim7__merge17predicate_wrapperIiiNSC_4lessIiEEEEEE10hipError_tPvRmT0_T1_T2_T3_T4_T5_mmT6_P12ihipStream_tbEUlT_E0_NS1_11comp_targetILNS1_3genE10ELNS1_11target_archE1201ELNS1_3gpuE5ELNS1_3repE0EEENS1_30default_config_static_selectorELNS0_4arch9wavefront6targetE0EEEvS10_.uses_flat_scratch, 0
	.set _ZN7rocprim17ROCPRIM_400000_NS6detail17trampoline_kernelINS0_14default_configENS1_21merge_config_selectorINS0_5tupleIJiiEEENS0_10empty_typeEEEZNS1_10merge_implIS3_NS0_12zip_iteratorINS5_IJN6thrust23THRUST_200600_302600_NS6detail15normal_iteratorINSC_10device_ptrIKiEEEESI_EEEEESK_NSA_INS5_IJNSE_INSF_IiEEEESM_EEEEEPS7_SP_SP_NSC_11hip_rocprim7__merge17predicate_wrapperIiiNSC_4lessIiEEEEEE10hipError_tPvRmT0_T1_T2_T3_T4_T5_mmT6_P12ihipStream_tbEUlT_E0_NS1_11comp_targetILNS1_3genE10ELNS1_11target_archE1201ELNS1_3gpuE5ELNS1_3repE0EEENS1_30default_config_static_selectorELNS0_4arch9wavefront6targetE0EEEvS10_.has_dyn_sized_stack, 0
	.set _ZN7rocprim17ROCPRIM_400000_NS6detail17trampoline_kernelINS0_14default_configENS1_21merge_config_selectorINS0_5tupleIJiiEEENS0_10empty_typeEEEZNS1_10merge_implIS3_NS0_12zip_iteratorINS5_IJN6thrust23THRUST_200600_302600_NS6detail15normal_iteratorINSC_10device_ptrIKiEEEESI_EEEEESK_NSA_INS5_IJNSE_INSF_IiEEEESM_EEEEEPS7_SP_SP_NSC_11hip_rocprim7__merge17predicate_wrapperIiiNSC_4lessIiEEEEEE10hipError_tPvRmT0_T1_T2_T3_T4_T5_mmT6_P12ihipStream_tbEUlT_E0_NS1_11comp_targetILNS1_3genE10ELNS1_11target_archE1201ELNS1_3gpuE5ELNS1_3repE0EEENS1_30default_config_static_selectorELNS0_4arch9wavefront6targetE0EEEvS10_.has_recursion, 0
	.set _ZN7rocprim17ROCPRIM_400000_NS6detail17trampoline_kernelINS0_14default_configENS1_21merge_config_selectorINS0_5tupleIJiiEEENS0_10empty_typeEEEZNS1_10merge_implIS3_NS0_12zip_iteratorINS5_IJN6thrust23THRUST_200600_302600_NS6detail15normal_iteratorINSC_10device_ptrIKiEEEESI_EEEEESK_NSA_INS5_IJNSE_INSF_IiEEEESM_EEEEEPS7_SP_SP_NSC_11hip_rocprim7__merge17predicate_wrapperIiiNSC_4lessIiEEEEEE10hipError_tPvRmT0_T1_T2_T3_T4_T5_mmT6_P12ihipStream_tbEUlT_E0_NS1_11comp_targetILNS1_3genE10ELNS1_11target_archE1201ELNS1_3gpuE5ELNS1_3repE0EEENS1_30default_config_static_selectorELNS0_4arch9wavefront6targetE0EEEvS10_.has_indirect_call, 0
	.section	.AMDGPU.csdata,"",@progbits
; Kernel info:
; codeLenInByte = 0
; TotalNumSgprs: 0
; NumVgprs: 0
; ScratchSize: 0
; MemoryBound: 0
; FloatMode: 240
; IeeeMode: 1
; LDSByteSize: 0 bytes/workgroup (compile time only)
; SGPRBlocks: 0
; VGPRBlocks: 0
; NumSGPRsForWavesPerEU: 1
; NumVGPRsForWavesPerEU: 1
; Occupancy: 16
; WaveLimiterHint : 0
; COMPUTE_PGM_RSRC2:SCRATCH_EN: 0
; COMPUTE_PGM_RSRC2:USER_SGPR: 6
; COMPUTE_PGM_RSRC2:TRAP_HANDLER: 0
; COMPUTE_PGM_RSRC2:TGID_X_EN: 1
; COMPUTE_PGM_RSRC2:TGID_Y_EN: 0
; COMPUTE_PGM_RSRC2:TGID_Z_EN: 0
; COMPUTE_PGM_RSRC2:TIDIG_COMP_CNT: 0
	.section	.text._ZN7rocprim17ROCPRIM_400000_NS6detail17trampoline_kernelINS0_14default_configENS1_21merge_config_selectorINS0_5tupleIJiiEEENS0_10empty_typeEEEZNS1_10merge_implIS3_NS0_12zip_iteratorINS5_IJN6thrust23THRUST_200600_302600_NS6detail15normal_iteratorINSC_10device_ptrIKiEEEESI_EEEEESK_NSA_INS5_IJNSE_INSF_IiEEEESM_EEEEEPS7_SP_SP_NSC_11hip_rocprim7__merge17predicate_wrapperIiiNSC_4lessIiEEEEEE10hipError_tPvRmT0_T1_T2_T3_T4_T5_mmT6_P12ihipStream_tbEUlT_E0_NS1_11comp_targetILNS1_3genE10ELNS1_11target_archE1200ELNS1_3gpuE4ELNS1_3repE0EEENS1_30default_config_static_selectorELNS0_4arch9wavefront6targetE0EEEvS10_,"axG",@progbits,_ZN7rocprim17ROCPRIM_400000_NS6detail17trampoline_kernelINS0_14default_configENS1_21merge_config_selectorINS0_5tupleIJiiEEENS0_10empty_typeEEEZNS1_10merge_implIS3_NS0_12zip_iteratorINS5_IJN6thrust23THRUST_200600_302600_NS6detail15normal_iteratorINSC_10device_ptrIKiEEEESI_EEEEESK_NSA_INS5_IJNSE_INSF_IiEEEESM_EEEEEPS7_SP_SP_NSC_11hip_rocprim7__merge17predicate_wrapperIiiNSC_4lessIiEEEEEE10hipError_tPvRmT0_T1_T2_T3_T4_T5_mmT6_P12ihipStream_tbEUlT_E0_NS1_11comp_targetILNS1_3genE10ELNS1_11target_archE1200ELNS1_3gpuE4ELNS1_3repE0EEENS1_30default_config_static_selectorELNS0_4arch9wavefront6targetE0EEEvS10_,comdat
	.protected	_ZN7rocprim17ROCPRIM_400000_NS6detail17trampoline_kernelINS0_14default_configENS1_21merge_config_selectorINS0_5tupleIJiiEEENS0_10empty_typeEEEZNS1_10merge_implIS3_NS0_12zip_iteratorINS5_IJN6thrust23THRUST_200600_302600_NS6detail15normal_iteratorINSC_10device_ptrIKiEEEESI_EEEEESK_NSA_INS5_IJNSE_INSF_IiEEEESM_EEEEEPS7_SP_SP_NSC_11hip_rocprim7__merge17predicate_wrapperIiiNSC_4lessIiEEEEEE10hipError_tPvRmT0_T1_T2_T3_T4_T5_mmT6_P12ihipStream_tbEUlT_E0_NS1_11comp_targetILNS1_3genE10ELNS1_11target_archE1200ELNS1_3gpuE4ELNS1_3repE0EEENS1_30default_config_static_selectorELNS0_4arch9wavefront6targetE0EEEvS10_ ; -- Begin function _ZN7rocprim17ROCPRIM_400000_NS6detail17trampoline_kernelINS0_14default_configENS1_21merge_config_selectorINS0_5tupleIJiiEEENS0_10empty_typeEEEZNS1_10merge_implIS3_NS0_12zip_iteratorINS5_IJN6thrust23THRUST_200600_302600_NS6detail15normal_iteratorINSC_10device_ptrIKiEEEESI_EEEEESK_NSA_INS5_IJNSE_INSF_IiEEEESM_EEEEEPS7_SP_SP_NSC_11hip_rocprim7__merge17predicate_wrapperIiiNSC_4lessIiEEEEEE10hipError_tPvRmT0_T1_T2_T3_T4_T5_mmT6_P12ihipStream_tbEUlT_E0_NS1_11comp_targetILNS1_3genE10ELNS1_11target_archE1200ELNS1_3gpuE4ELNS1_3repE0EEENS1_30default_config_static_selectorELNS0_4arch9wavefront6targetE0EEEvS10_
	.globl	_ZN7rocprim17ROCPRIM_400000_NS6detail17trampoline_kernelINS0_14default_configENS1_21merge_config_selectorINS0_5tupleIJiiEEENS0_10empty_typeEEEZNS1_10merge_implIS3_NS0_12zip_iteratorINS5_IJN6thrust23THRUST_200600_302600_NS6detail15normal_iteratorINSC_10device_ptrIKiEEEESI_EEEEESK_NSA_INS5_IJNSE_INSF_IiEEEESM_EEEEEPS7_SP_SP_NSC_11hip_rocprim7__merge17predicate_wrapperIiiNSC_4lessIiEEEEEE10hipError_tPvRmT0_T1_T2_T3_T4_T5_mmT6_P12ihipStream_tbEUlT_E0_NS1_11comp_targetILNS1_3genE10ELNS1_11target_archE1200ELNS1_3gpuE4ELNS1_3repE0EEENS1_30default_config_static_selectorELNS0_4arch9wavefront6targetE0EEEvS10_
	.p2align	8
	.type	_ZN7rocprim17ROCPRIM_400000_NS6detail17trampoline_kernelINS0_14default_configENS1_21merge_config_selectorINS0_5tupleIJiiEEENS0_10empty_typeEEEZNS1_10merge_implIS3_NS0_12zip_iteratorINS5_IJN6thrust23THRUST_200600_302600_NS6detail15normal_iteratorINSC_10device_ptrIKiEEEESI_EEEEESK_NSA_INS5_IJNSE_INSF_IiEEEESM_EEEEEPS7_SP_SP_NSC_11hip_rocprim7__merge17predicate_wrapperIiiNSC_4lessIiEEEEEE10hipError_tPvRmT0_T1_T2_T3_T4_T5_mmT6_P12ihipStream_tbEUlT_E0_NS1_11comp_targetILNS1_3genE10ELNS1_11target_archE1200ELNS1_3gpuE4ELNS1_3repE0EEENS1_30default_config_static_selectorELNS0_4arch9wavefront6targetE0EEEvS10_,@function
_ZN7rocprim17ROCPRIM_400000_NS6detail17trampoline_kernelINS0_14default_configENS1_21merge_config_selectorINS0_5tupleIJiiEEENS0_10empty_typeEEEZNS1_10merge_implIS3_NS0_12zip_iteratorINS5_IJN6thrust23THRUST_200600_302600_NS6detail15normal_iteratorINSC_10device_ptrIKiEEEESI_EEEEESK_NSA_INS5_IJNSE_INSF_IiEEEESM_EEEEEPS7_SP_SP_NSC_11hip_rocprim7__merge17predicate_wrapperIiiNSC_4lessIiEEEEEE10hipError_tPvRmT0_T1_T2_T3_T4_T5_mmT6_P12ihipStream_tbEUlT_E0_NS1_11comp_targetILNS1_3genE10ELNS1_11target_archE1200ELNS1_3gpuE4ELNS1_3repE0EEENS1_30default_config_static_selectorELNS0_4arch9wavefront6targetE0EEEvS10_: ; @_ZN7rocprim17ROCPRIM_400000_NS6detail17trampoline_kernelINS0_14default_configENS1_21merge_config_selectorINS0_5tupleIJiiEEENS0_10empty_typeEEEZNS1_10merge_implIS3_NS0_12zip_iteratorINS5_IJN6thrust23THRUST_200600_302600_NS6detail15normal_iteratorINSC_10device_ptrIKiEEEESI_EEEEESK_NSA_INS5_IJNSE_INSF_IiEEEESM_EEEEEPS7_SP_SP_NSC_11hip_rocprim7__merge17predicate_wrapperIiiNSC_4lessIiEEEEEE10hipError_tPvRmT0_T1_T2_T3_T4_T5_mmT6_P12ihipStream_tbEUlT_E0_NS1_11comp_targetILNS1_3genE10ELNS1_11target_archE1200ELNS1_3gpuE4ELNS1_3repE0EEENS1_30default_config_static_selectorELNS0_4arch9wavefront6targetE0EEEvS10_
; %bb.0:
	.section	.rodata,"a",@progbits
	.p2align	6, 0x0
	.amdhsa_kernel _ZN7rocprim17ROCPRIM_400000_NS6detail17trampoline_kernelINS0_14default_configENS1_21merge_config_selectorINS0_5tupleIJiiEEENS0_10empty_typeEEEZNS1_10merge_implIS3_NS0_12zip_iteratorINS5_IJN6thrust23THRUST_200600_302600_NS6detail15normal_iteratorINSC_10device_ptrIKiEEEESI_EEEEESK_NSA_INS5_IJNSE_INSF_IiEEEESM_EEEEEPS7_SP_SP_NSC_11hip_rocprim7__merge17predicate_wrapperIiiNSC_4lessIiEEEEEE10hipError_tPvRmT0_T1_T2_T3_T4_T5_mmT6_P12ihipStream_tbEUlT_E0_NS1_11comp_targetILNS1_3genE10ELNS1_11target_archE1200ELNS1_3gpuE4ELNS1_3repE0EEENS1_30default_config_static_selectorELNS0_4arch9wavefront6targetE0EEEvS10_
		.amdhsa_group_segment_fixed_size 0
		.amdhsa_private_segment_fixed_size 0
		.amdhsa_kernarg_size 112
		.amdhsa_user_sgpr_count 6
		.amdhsa_user_sgpr_private_segment_buffer 1
		.amdhsa_user_sgpr_dispatch_ptr 0
		.amdhsa_user_sgpr_queue_ptr 0
		.amdhsa_user_sgpr_kernarg_segment_ptr 1
		.amdhsa_user_sgpr_dispatch_id 0
		.amdhsa_user_sgpr_flat_scratch_init 0
		.amdhsa_user_sgpr_private_segment_size 0
		.amdhsa_wavefront_size32 1
		.amdhsa_uses_dynamic_stack 0
		.amdhsa_system_sgpr_private_segment_wavefront_offset 0
		.amdhsa_system_sgpr_workgroup_id_x 1
		.amdhsa_system_sgpr_workgroup_id_y 0
		.amdhsa_system_sgpr_workgroup_id_z 0
		.amdhsa_system_sgpr_workgroup_info 0
		.amdhsa_system_vgpr_workitem_id 0
		.amdhsa_next_free_vgpr 1
		.amdhsa_next_free_sgpr 1
		.amdhsa_reserve_vcc 0
		.amdhsa_reserve_flat_scratch 0
		.amdhsa_float_round_mode_32 0
		.amdhsa_float_round_mode_16_64 0
		.amdhsa_float_denorm_mode_32 3
		.amdhsa_float_denorm_mode_16_64 3
		.amdhsa_dx10_clamp 1
		.amdhsa_ieee_mode 1
		.amdhsa_fp16_overflow 0
		.amdhsa_workgroup_processor_mode 1
		.amdhsa_memory_ordered 1
		.amdhsa_forward_progress 1
		.amdhsa_shared_vgpr_count 0
		.amdhsa_exception_fp_ieee_invalid_op 0
		.amdhsa_exception_fp_denorm_src 0
		.amdhsa_exception_fp_ieee_div_zero 0
		.amdhsa_exception_fp_ieee_overflow 0
		.amdhsa_exception_fp_ieee_underflow 0
		.amdhsa_exception_fp_ieee_inexact 0
		.amdhsa_exception_int_div_zero 0
	.end_amdhsa_kernel
	.section	.text._ZN7rocprim17ROCPRIM_400000_NS6detail17trampoline_kernelINS0_14default_configENS1_21merge_config_selectorINS0_5tupleIJiiEEENS0_10empty_typeEEEZNS1_10merge_implIS3_NS0_12zip_iteratorINS5_IJN6thrust23THRUST_200600_302600_NS6detail15normal_iteratorINSC_10device_ptrIKiEEEESI_EEEEESK_NSA_INS5_IJNSE_INSF_IiEEEESM_EEEEEPS7_SP_SP_NSC_11hip_rocprim7__merge17predicate_wrapperIiiNSC_4lessIiEEEEEE10hipError_tPvRmT0_T1_T2_T3_T4_T5_mmT6_P12ihipStream_tbEUlT_E0_NS1_11comp_targetILNS1_3genE10ELNS1_11target_archE1200ELNS1_3gpuE4ELNS1_3repE0EEENS1_30default_config_static_selectorELNS0_4arch9wavefront6targetE0EEEvS10_,"axG",@progbits,_ZN7rocprim17ROCPRIM_400000_NS6detail17trampoline_kernelINS0_14default_configENS1_21merge_config_selectorINS0_5tupleIJiiEEENS0_10empty_typeEEEZNS1_10merge_implIS3_NS0_12zip_iteratorINS5_IJN6thrust23THRUST_200600_302600_NS6detail15normal_iteratorINSC_10device_ptrIKiEEEESI_EEEEESK_NSA_INS5_IJNSE_INSF_IiEEEESM_EEEEEPS7_SP_SP_NSC_11hip_rocprim7__merge17predicate_wrapperIiiNSC_4lessIiEEEEEE10hipError_tPvRmT0_T1_T2_T3_T4_T5_mmT6_P12ihipStream_tbEUlT_E0_NS1_11comp_targetILNS1_3genE10ELNS1_11target_archE1200ELNS1_3gpuE4ELNS1_3repE0EEENS1_30default_config_static_selectorELNS0_4arch9wavefront6targetE0EEEvS10_,comdat
.Lfunc_end258:
	.size	_ZN7rocprim17ROCPRIM_400000_NS6detail17trampoline_kernelINS0_14default_configENS1_21merge_config_selectorINS0_5tupleIJiiEEENS0_10empty_typeEEEZNS1_10merge_implIS3_NS0_12zip_iteratorINS5_IJN6thrust23THRUST_200600_302600_NS6detail15normal_iteratorINSC_10device_ptrIKiEEEESI_EEEEESK_NSA_INS5_IJNSE_INSF_IiEEEESM_EEEEEPS7_SP_SP_NSC_11hip_rocprim7__merge17predicate_wrapperIiiNSC_4lessIiEEEEEE10hipError_tPvRmT0_T1_T2_T3_T4_T5_mmT6_P12ihipStream_tbEUlT_E0_NS1_11comp_targetILNS1_3genE10ELNS1_11target_archE1200ELNS1_3gpuE4ELNS1_3repE0EEENS1_30default_config_static_selectorELNS0_4arch9wavefront6targetE0EEEvS10_, .Lfunc_end258-_ZN7rocprim17ROCPRIM_400000_NS6detail17trampoline_kernelINS0_14default_configENS1_21merge_config_selectorINS0_5tupleIJiiEEENS0_10empty_typeEEEZNS1_10merge_implIS3_NS0_12zip_iteratorINS5_IJN6thrust23THRUST_200600_302600_NS6detail15normal_iteratorINSC_10device_ptrIKiEEEESI_EEEEESK_NSA_INS5_IJNSE_INSF_IiEEEESM_EEEEEPS7_SP_SP_NSC_11hip_rocprim7__merge17predicate_wrapperIiiNSC_4lessIiEEEEEE10hipError_tPvRmT0_T1_T2_T3_T4_T5_mmT6_P12ihipStream_tbEUlT_E0_NS1_11comp_targetILNS1_3genE10ELNS1_11target_archE1200ELNS1_3gpuE4ELNS1_3repE0EEENS1_30default_config_static_selectorELNS0_4arch9wavefront6targetE0EEEvS10_
                                        ; -- End function
	.set _ZN7rocprim17ROCPRIM_400000_NS6detail17trampoline_kernelINS0_14default_configENS1_21merge_config_selectorINS0_5tupleIJiiEEENS0_10empty_typeEEEZNS1_10merge_implIS3_NS0_12zip_iteratorINS5_IJN6thrust23THRUST_200600_302600_NS6detail15normal_iteratorINSC_10device_ptrIKiEEEESI_EEEEESK_NSA_INS5_IJNSE_INSF_IiEEEESM_EEEEEPS7_SP_SP_NSC_11hip_rocprim7__merge17predicate_wrapperIiiNSC_4lessIiEEEEEE10hipError_tPvRmT0_T1_T2_T3_T4_T5_mmT6_P12ihipStream_tbEUlT_E0_NS1_11comp_targetILNS1_3genE10ELNS1_11target_archE1200ELNS1_3gpuE4ELNS1_3repE0EEENS1_30default_config_static_selectorELNS0_4arch9wavefront6targetE0EEEvS10_.num_vgpr, 0
	.set _ZN7rocprim17ROCPRIM_400000_NS6detail17trampoline_kernelINS0_14default_configENS1_21merge_config_selectorINS0_5tupleIJiiEEENS0_10empty_typeEEEZNS1_10merge_implIS3_NS0_12zip_iteratorINS5_IJN6thrust23THRUST_200600_302600_NS6detail15normal_iteratorINSC_10device_ptrIKiEEEESI_EEEEESK_NSA_INS5_IJNSE_INSF_IiEEEESM_EEEEEPS7_SP_SP_NSC_11hip_rocprim7__merge17predicate_wrapperIiiNSC_4lessIiEEEEEE10hipError_tPvRmT0_T1_T2_T3_T4_T5_mmT6_P12ihipStream_tbEUlT_E0_NS1_11comp_targetILNS1_3genE10ELNS1_11target_archE1200ELNS1_3gpuE4ELNS1_3repE0EEENS1_30default_config_static_selectorELNS0_4arch9wavefront6targetE0EEEvS10_.num_agpr, 0
	.set _ZN7rocprim17ROCPRIM_400000_NS6detail17trampoline_kernelINS0_14default_configENS1_21merge_config_selectorINS0_5tupleIJiiEEENS0_10empty_typeEEEZNS1_10merge_implIS3_NS0_12zip_iteratorINS5_IJN6thrust23THRUST_200600_302600_NS6detail15normal_iteratorINSC_10device_ptrIKiEEEESI_EEEEESK_NSA_INS5_IJNSE_INSF_IiEEEESM_EEEEEPS7_SP_SP_NSC_11hip_rocprim7__merge17predicate_wrapperIiiNSC_4lessIiEEEEEE10hipError_tPvRmT0_T1_T2_T3_T4_T5_mmT6_P12ihipStream_tbEUlT_E0_NS1_11comp_targetILNS1_3genE10ELNS1_11target_archE1200ELNS1_3gpuE4ELNS1_3repE0EEENS1_30default_config_static_selectorELNS0_4arch9wavefront6targetE0EEEvS10_.numbered_sgpr, 0
	.set _ZN7rocprim17ROCPRIM_400000_NS6detail17trampoline_kernelINS0_14default_configENS1_21merge_config_selectorINS0_5tupleIJiiEEENS0_10empty_typeEEEZNS1_10merge_implIS3_NS0_12zip_iteratorINS5_IJN6thrust23THRUST_200600_302600_NS6detail15normal_iteratorINSC_10device_ptrIKiEEEESI_EEEEESK_NSA_INS5_IJNSE_INSF_IiEEEESM_EEEEEPS7_SP_SP_NSC_11hip_rocprim7__merge17predicate_wrapperIiiNSC_4lessIiEEEEEE10hipError_tPvRmT0_T1_T2_T3_T4_T5_mmT6_P12ihipStream_tbEUlT_E0_NS1_11comp_targetILNS1_3genE10ELNS1_11target_archE1200ELNS1_3gpuE4ELNS1_3repE0EEENS1_30default_config_static_selectorELNS0_4arch9wavefront6targetE0EEEvS10_.num_named_barrier, 0
	.set _ZN7rocprim17ROCPRIM_400000_NS6detail17trampoline_kernelINS0_14default_configENS1_21merge_config_selectorINS0_5tupleIJiiEEENS0_10empty_typeEEEZNS1_10merge_implIS3_NS0_12zip_iteratorINS5_IJN6thrust23THRUST_200600_302600_NS6detail15normal_iteratorINSC_10device_ptrIKiEEEESI_EEEEESK_NSA_INS5_IJNSE_INSF_IiEEEESM_EEEEEPS7_SP_SP_NSC_11hip_rocprim7__merge17predicate_wrapperIiiNSC_4lessIiEEEEEE10hipError_tPvRmT0_T1_T2_T3_T4_T5_mmT6_P12ihipStream_tbEUlT_E0_NS1_11comp_targetILNS1_3genE10ELNS1_11target_archE1200ELNS1_3gpuE4ELNS1_3repE0EEENS1_30default_config_static_selectorELNS0_4arch9wavefront6targetE0EEEvS10_.private_seg_size, 0
	.set _ZN7rocprim17ROCPRIM_400000_NS6detail17trampoline_kernelINS0_14default_configENS1_21merge_config_selectorINS0_5tupleIJiiEEENS0_10empty_typeEEEZNS1_10merge_implIS3_NS0_12zip_iteratorINS5_IJN6thrust23THRUST_200600_302600_NS6detail15normal_iteratorINSC_10device_ptrIKiEEEESI_EEEEESK_NSA_INS5_IJNSE_INSF_IiEEEESM_EEEEEPS7_SP_SP_NSC_11hip_rocprim7__merge17predicate_wrapperIiiNSC_4lessIiEEEEEE10hipError_tPvRmT0_T1_T2_T3_T4_T5_mmT6_P12ihipStream_tbEUlT_E0_NS1_11comp_targetILNS1_3genE10ELNS1_11target_archE1200ELNS1_3gpuE4ELNS1_3repE0EEENS1_30default_config_static_selectorELNS0_4arch9wavefront6targetE0EEEvS10_.uses_vcc, 0
	.set _ZN7rocprim17ROCPRIM_400000_NS6detail17trampoline_kernelINS0_14default_configENS1_21merge_config_selectorINS0_5tupleIJiiEEENS0_10empty_typeEEEZNS1_10merge_implIS3_NS0_12zip_iteratorINS5_IJN6thrust23THRUST_200600_302600_NS6detail15normal_iteratorINSC_10device_ptrIKiEEEESI_EEEEESK_NSA_INS5_IJNSE_INSF_IiEEEESM_EEEEEPS7_SP_SP_NSC_11hip_rocprim7__merge17predicate_wrapperIiiNSC_4lessIiEEEEEE10hipError_tPvRmT0_T1_T2_T3_T4_T5_mmT6_P12ihipStream_tbEUlT_E0_NS1_11comp_targetILNS1_3genE10ELNS1_11target_archE1200ELNS1_3gpuE4ELNS1_3repE0EEENS1_30default_config_static_selectorELNS0_4arch9wavefront6targetE0EEEvS10_.uses_flat_scratch, 0
	.set _ZN7rocprim17ROCPRIM_400000_NS6detail17trampoline_kernelINS0_14default_configENS1_21merge_config_selectorINS0_5tupleIJiiEEENS0_10empty_typeEEEZNS1_10merge_implIS3_NS0_12zip_iteratorINS5_IJN6thrust23THRUST_200600_302600_NS6detail15normal_iteratorINSC_10device_ptrIKiEEEESI_EEEEESK_NSA_INS5_IJNSE_INSF_IiEEEESM_EEEEEPS7_SP_SP_NSC_11hip_rocprim7__merge17predicate_wrapperIiiNSC_4lessIiEEEEEE10hipError_tPvRmT0_T1_T2_T3_T4_T5_mmT6_P12ihipStream_tbEUlT_E0_NS1_11comp_targetILNS1_3genE10ELNS1_11target_archE1200ELNS1_3gpuE4ELNS1_3repE0EEENS1_30default_config_static_selectorELNS0_4arch9wavefront6targetE0EEEvS10_.has_dyn_sized_stack, 0
	.set _ZN7rocprim17ROCPRIM_400000_NS6detail17trampoline_kernelINS0_14default_configENS1_21merge_config_selectorINS0_5tupleIJiiEEENS0_10empty_typeEEEZNS1_10merge_implIS3_NS0_12zip_iteratorINS5_IJN6thrust23THRUST_200600_302600_NS6detail15normal_iteratorINSC_10device_ptrIKiEEEESI_EEEEESK_NSA_INS5_IJNSE_INSF_IiEEEESM_EEEEEPS7_SP_SP_NSC_11hip_rocprim7__merge17predicate_wrapperIiiNSC_4lessIiEEEEEE10hipError_tPvRmT0_T1_T2_T3_T4_T5_mmT6_P12ihipStream_tbEUlT_E0_NS1_11comp_targetILNS1_3genE10ELNS1_11target_archE1200ELNS1_3gpuE4ELNS1_3repE0EEENS1_30default_config_static_selectorELNS0_4arch9wavefront6targetE0EEEvS10_.has_recursion, 0
	.set _ZN7rocprim17ROCPRIM_400000_NS6detail17trampoline_kernelINS0_14default_configENS1_21merge_config_selectorINS0_5tupleIJiiEEENS0_10empty_typeEEEZNS1_10merge_implIS3_NS0_12zip_iteratorINS5_IJN6thrust23THRUST_200600_302600_NS6detail15normal_iteratorINSC_10device_ptrIKiEEEESI_EEEEESK_NSA_INS5_IJNSE_INSF_IiEEEESM_EEEEEPS7_SP_SP_NSC_11hip_rocprim7__merge17predicate_wrapperIiiNSC_4lessIiEEEEEE10hipError_tPvRmT0_T1_T2_T3_T4_T5_mmT6_P12ihipStream_tbEUlT_E0_NS1_11comp_targetILNS1_3genE10ELNS1_11target_archE1200ELNS1_3gpuE4ELNS1_3repE0EEENS1_30default_config_static_selectorELNS0_4arch9wavefront6targetE0EEEvS10_.has_indirect_call, 0
	.section	.AMDGPU.csdata,"",@progbits
; Kernel info:
; codeLenInByte = 0
; TotalNumSgprs: 0
; NumVgprs: 0
; ScratchSize: 0
; MemoryBound: 0
; FloatMode: 240
; IeeeMode: 1
; LDSByteSize: 0 bytes/workgroup (compile time only)
; SGPRBlocks: 0
; VGPRBlocks: 0
; NumSGPRsForWavesPerEU: 1
; NumVGPRsForWavesPerEU: 1
; Occupancy: 16
; WaveLimiterHint : 0
; COMPUTE_PGM_RSRC2:SCRATCH_EN: 0
; COMPUTE_PGM_RSRC2:USER_SGPR: 6
; COMPUTE_PGM_RSRC2:TRAP_HANDLER: 0
; COMPUTE_PGM_RSRC2:TGID_X_EN: 1
; COMPUTE_PGM_RSRC2:TGID_Y_EN: 0
; COMPUTE_PGM_RSRC2:TGID_Z_EN: 0
; COMPUTE_PGM_RSRC2:TIDIG_COMP_CNT: 0
	.section	.text._ZN7rocprim17ROCPRIM_400000_NS6detail17trampoline_kernelINS0_14default_configENS1_21merge_config_selectorINS0_5tupleIJiiEEENS0_10empty_typeEEEZNS1_10merge_implIS3_NS0_12zip_iteratorINS5_IJN6thrust23THRUST_200600_302600_NS6detail15normal_iteratorINSC_10device_ptrIKiEEEESI_EEEEESK_NSA_INS5_IJNSE_INSF_IiEEEESM_EEEEEPS7_SP_SP_NSC_11hip_rocprim7__merge17predicate_wrapperIiiNSC_4lessIiEEEEEE10hipError_tPvRmT0_T1_T2_T3_T4_T5_mmT6_P12ihipStream_tbEUlT_E0_NS1_11comp_targetILNS1_3genE9ELNS1_11target_archE1100ELNS1_3gpuE3ELNS1_3repE0EEENS1_30default_config_static_selectorELNS0_4arch9wavefront6targetE0EEEvS10_,"axG",@progbits,_ZN7rocprim17ROCPRIM_400000_NS6detail17trampoline_kernelINS0_14default_configENS1_21merge_config_selectorINS0_5tupleIJiiEEENS0_10empty_typeEEEZNS1_10merge_implIS3_NS0_12zip_iteratorINS5_IJN6thrust23THRUST_200600_302600_NS6detail15normal_iteratorINSC_10device_ptrIKiEEEESI_EEEEESK_NSA_INS5_IJNSE_INSF_IiEEEESM_EEEEEPS7_SP_SP_NSC_11hip_rocprim7__merge17predicate_wrapperIiiNSC_4lessIiEEEEEE10hipError_tPvRmT0_T1_T2_T3_T4_T5_mmT6_P12ihipStream_tbEUlT_E0_NS1_11comp_targetILNS1_3genE9ELNS1_11target_archE1100ELNS1_3gpuE3ELNS1_3repE0EEENS1_30default_config_static_selectorELNS0_4arch9wavefront6targetE0EEEvS10_,comdat
	.protected	_ZN7rocprim17ROCPRIM_400000_NS6detail17trampoline_kernelINS0_14default_configENS1_21merge_config_selectorINS0_5tupleIJiiEEENS0_10empty_typeEEEZNS1_10merge_implIS3_NS0_12zip_iteratorINS5_IJN6thrust23THRUST_200600_302600_NS6detail15normal_iteratorINSC_10device_ptrIKiEEEESI_EEEEESK_NSA_INS5_IJNSE_INSF_IiEEEESM_EEEEEPS7_SP_SP_NSC_11hip_rocprim7__merge17predicate_wrapperIiiNSC_4lessIiEEEEEE10hipError_tPvRmT0_T1_T2_T3_T4_T5_mmT6_P12ihipStream_tbEUlT_E0_NS1_11comp_targetILNS1_3genE9ELNS1_11target_archE1100ELNS1_3gpuE3ELNS1_3repE0EEENS1_30default_config_static_selectorELNS0_4arch9wavefront6targetE0EEEvS10_ ; -- Begin function _ZN7rocprim17ROCPRIM_400000_NS6detail17trampoline_kernelINS0_14default_configENS1_21merge_config_selectorINS0_5tupleIJiiEEENS0_10empty_typeEEEZNS1_10merge_implIS3_NS0_12zip_iteratorINS5_IJN6thrust23THRUST_200600_302600_NS6detail15normal_iteratorINSC_10device_ptrIKiEEEESI_EEEEESK_NSA_INS5_IJNSE_INSF_IiEEEESM_EEEEEPS7_SP_SP_NSC_11hip_rocprim7__merge17predicate_wrapperIiiNSC_4lessIiEEEEEE10hipError_tPvRmT0_T1_T2_T3_T4_T5_mmT6_P12ihipStream_tbEUlT_E0_NS1_11comp_targetILNS1_3genE9ELNS1_11target_archE1100ELNS1_3gpuE3ELNS1_3repE0EEENS1_30default_config_static_selectorELNS0_4arch9wavefront6targetE0EEEvS10_
	.globl	_ZN7rocprim17ROCPRIM_400000_NS6detail17trampoline_kernelINS0_14default_configENS1_21merge_config_selectorINS0_5tupleIJiiEEENS0_10empty_typeEEEZNS1_10merge_implIS3_NS0_12zip_iteratorINS5_IJN6thrust23THRUST_200600_302600_NS6detail15normal_iteratorINSC_10device_ptrIKiEEEESI_EEEEESK_NSA_INS5_IJNSE_INSF_IiEEEESM_EEEEEPS7_SP_SP_NSC_11hip_rocprim7__merge17predicate_wrapperIiiNSC_4lessIiEEEEEE10hipError_tPvRmT0_T1_T2_T3_T4_T5_mmT6_P12ihipStream_tbEUlT_E0_NS1_11comp_targetILNS1_3genE9ELNS1_11target_archE1100ELNS1_3gpuE3ELNS1_3repE0EEENS1_30default_config_static_selectorELNS0_4arch9wavefront6targetE0EEEvS10_
	.p2align	8
	.type	_ZN7rocprim17ROCPRIM_400000_NS6detail17trampoline_kernelINS0_14default_configENS1_21merge_config_selectorINS0_5tupleIJiiEEENS0_10empty_typeEEEZNS1_10merge_implIS3_NS0_12zip_iteratorINS5_IJN6thrust23THRUST_200600_302600_NS6detail15normal_iteratorINSC_10device_ptrIKiEEEESI_EEEEESK_NSA_INS5_IJNSE_INSF_IiEEEESM_EEEEEPS7_SP_SP_NSC_11hip_rocprim7__merge17predicate_wrapperIiiNSC_4lessIiEEEEEE10hipError_tPvRmT0_T1_T2_T3_T4_T5_mmT6_P12ihipStream_tbEUlT_E0_NS1_11comp_targetILNS1_3genE9ELNS1_11target_archE1100ELNS1_3gpuE3ELNS1_3repE0EEENS1_30default_config_static_selectorELNS0_4arch9wavefront6targetE0EEEvS10_,@function
_ZN7rocprim17ROCPRIM_400000_NS6detail17trampoline_kernelINS0_14default_configENS1_21merge_config_selectorINS0_5tupleIJiiEEENS0_10empty_typeEEEZNS1_10merge_implIS3_NS0_12zip_iteratorINS5_IJN6thrust23THRUST_200600_302600_NS6detail15normal_iteratorINSC_10device_ptrIKiEEEESI_EEEEESK_NSA_INS5_IJNSE_INSF_IiEEEESM_EEEEEPS7_SP_SP_NSC_11hip_rocprim7__merge17predicate_wrapperIiiNSC_4lessIiEEEEEE10hipError_tPvRmT0_T1_T2_T3_T4_T5_mmT6_P12ihipStream_tbEUlT_E0_NS1_11comp_targetILNS1_3genE9ELNS1_11target_archE1100ELNS1_3gpuE3ELNS1_3repE0EEENS1_30default_config_static_selectorELNS0_4arch9wavefront6targetE0EEEvS10_: ; @_ZN7rocprim17ROCPRIM_400000_NS6detail17trampoline_kernelINS0_14default_configENS1_21merge_config_selectorINS0_5tupleIJiiEEENS0_10empty_typeEEEZNS1_10merge_implIS3_NS0_12zip_iteratorINS5_IJN6thrust23THRUST_200600_302600_NS6detail15normal_iteratorINSC_10device_ptrIKiEEEESI_EEEEESK_NSA_INS5_IJNSE_INSF_IiEEEESM_EEEEEPS7_SP_SP_NSC_11hip_rocprim7__merge17predicate_wrapperIiiNSC_4lessIiEEEEEE10hipError_tPvRmT0_T1_T2_T3_T4_T5_mmT6_P12ihipStream_tbEUlT_E0_NS1_11comp_targetILNS1_3genE9ELNS1_11target_archE1100ELNS1_3gpuE3ELNS1_3repE0EEENS1_30default_config_static_selectorELNS0_4arch9wavefront6targetE0EEEvS10_
; %bb.0:
	.section	.rodata,"a",@progbits
	.p2align	6, 0x0
	.amdhsa_kernel _ZN7rocprim17ROCPRIM_400000_NS6detail17trampoline_kernelINS0_14default_configENS1_21merge_config_selectorINS0_5tupleIJiiEEENS0_10empty_typeEEEZNS1_10merge_implIS3_NS0_12zip_iteratorINS5_IJN6thrust23THRUST_200600_302600_NS6detail15normal_iteratorINSC_10device_ptrIKiEEEESI_EEEEESK_NSA_INS5_IJNSE_INSF_IiEEEESM_EEEEEPS7_SP_SP_NSC_11hip_rocprim7__merge17predicate_wrapperIiiNSC_4lessIiEEEEEE10hipError_tPvRmT0_T1_T2_T3_T4_T5_mmT6_P12ihipStream_tbEUlT_E0_NS1_11comp_targetILNS1_3genE9ELNS1_11target_archE1100ELNS1_3gpuE3ELNS1_3repE0EEENS1_30default_config_static_selectorELNS0_4arch9wavefront6targetE0EEEvS10_
		.amdhsa_group_segment_fixed_size 0
		.amdhsa_private_segment_fixed_size 0
		.amdhsa_kernarg_size 112
		.amdhsa_user_sgpr_count 6
		.amdhsa_user_sgpr_private_segment_buffer 1
		.amdhsa_user_sgpr_dispatch_ptr 0
		.amdhsa_user_sgpr_queue_ptr 0
		.amdhsa_user_sgpr_kernarg_segment_ptr 1
		.amdhsa_user_sgpr_dispatch_id 0
		.amdhsa_user_sgpr_flat_scratch_init 0
		.amdhsa_user_sgpr_private_segment_size 0
		.amdhsa_wavefront_size32 1
		.amdhsa_uses_dynamic_stack 0
		.amdhsa_system_sgpr_private_segment_wavefront_offset 0
		.amdhsa_system_sgpr_workgroup_id_x 1
		.amdhsa_system_sgpr_workgroup_id_y 0
		.amdhsa_system_sgpr_workgroup_id_z 0
		.amdhsa_system_sgpr_workgroup_info 0
		.amdhsa_system_vgpr_workitem_id 0
		.amdhsa_next_free_vgpr 1
		.amdhsa_next_free_sgpr 1
		.amdhsa_reserve_vcc 0
		.amdhsa_reserve_flat_scratch 0
		.amdhsa_float_round_mode_32 0
		.amdhsa_float_round_mode_16_64 0
		.amdhsa_float_denorm_mode_32 3
		.amdhsa_float_denorm_mode_16_64 3
		.amdhsa_dx10_clamp 1
		.amdhsa_ieee_mode 1
		.amdhsa_fp16_overflow 0
		.amdhsa_workgroup_processor_mode 1
		.amdhsa_memory_ordered 1
		.amdhsa_forward_progress 1
		.amdhsa_shared_vgpr_count 0
		.amdhsa_exception_fp_ieee_invalid_op 0
		.amdhsa_exception_fp_denorm_src 0
		.amdhsa_exception_fp_ieee_div_zero 0
		.amdhsa_exception_fp_ieee_overflow 0
		.amdhsa_exception_fp_ieee_underflow 0
		.amdhsa_exception_fp_ieee_inexact 0
		.amdhsa_exception_int_div_zero 0
	.end_amdhsa_kernel
	.section	.text._ZN7rocprim17ROCPRIM_400000_NS6detail17trampoline_kernelINS0_14default_configENS1_21merge_config_selectorINS0_5tupleIJiiEEENS0_10empty_typeEEEZNS1_10merge_implIS3_NS0_12zip_iteratorINS5_IJN6thrust23THRUST_200600_302600_NS6detail15normal_iteratorINSC_10device_ptrIKiEEEESI_EEEEESK_NSA_INS5_IJNSE_INSF_IiEEEESM_EEEEEPS7_SP_SP_NSC_11hip_rocprim7__merge17predicate_wrapperIiiNSC_4lessIiEEEEEE10hipError_tPvRmT0_T1_T2_T3_T4_T5_mmT6_P12ihipStream_tbEUlT_E0_NS1_11comp_targetILNS1_3genE9ELNS1_11target_archE1100ELNS1_3gpuE3ELNS1_3repE0EEENS1_30default_config_static_selectorELNS0_4arch9wavefront6targetE0EEEvS10_,"axG",@progbits,_ZN7rocprim17ROCPRIM_400000_NS6detail17trampoline_kernelINS0_14default_configENS1_21merge_config_selectorINS0_5tupleIJiiEEENS0_10empty_typeEEEZNS1_10merge_implIS3_NS0_12zip_iteratorINS5_IJN6thrust23THRUST_200600_302600_NS6detail15normal_iteratorINSC_10device_ptrIKiEEEESI_EEEEESK_NSA_INS5_IJNSE_INSF_IiEEEESM_EEEEEPS7_SP_SP_NSC_11hip_rocprim7__merge17predicate_wrapperIiiNSC_4lessIiEEEEEE10hipError_tPvRmT0_T1_T2_T3_T4_T5_mmT6_P12ihipStream_tbEUlT_E0_NS1_11comp_targetILNS1_3genE9ELNS1_11target_archE1100ELNS1_3gpuE3ELNS1_3repE0EEENS1_30default_config_static_selectorELNS0_4arch9wavefront6targetE0EEEvS10_,comdat
.Lfunc_end259:
	.size	_ZN7rocprim17ROCPRIM_400000_NS6detail17trampoline_kernelINS0_14default_configENS1_21merge_config_selectorINS0_5tupleIJiiEEENS0_10empty_typeEEEZNS1_10merge_implIS3_NS0_12zip_iteratorINS5_IJN6thrust23THRUST_200600_302600_NS6detail15normal_iteratorINSC_10device_ptrIKiEEEESI_EEEEESK_NSA_INS5_IJNSE_INSF_IiEEEESM_EEEEEPS7_SP_SP_NSC_11hip_rocprim7__merge17predicate_wrapperIiiNSC_4lessIiEEEEEE10hipError_tPvRmT0_T1_T2_T3_T4_T5_mmT6_P12ihipStream_tbEUlT_E0_NS1_11comp_targetILNS1_3genE9ELNS1_11target_archE1100ELNS1_3gpuE3ELNS1_3repE0EEENS1_30default_config_static_selectorELNS0_4arch9wavefront6targetE0EEEvS10_, .Lfunc_end259-_ZN7rocprim17ROCPRIM_400000_NS6detail17trampoline_kernelINS0_14default_configENS1_21merge_config_selectorINS0_5tupleIJiiEEENS0_10empty_typeEEEZNS1_10merge_implIS3_NS0_12zip_iteratorINS5_IJN6thrust23THRUST_200600_302600_NS6detail15normal_iteratorINSC_10device_ptrIKiEEEESI_EEEEESK_NSA_INS5_IJNSE_INSF_IiEEEESM_EEEEEPS7_SP_SP_NSC_11hip_rocprim7__merge17predicate_wrapperIiiNSC_4lessIiEEEEEE10hipError_tPvRmT0_T1_T2_T3_T4_T5_mmT6_P12ihipStream_tbEUlT_E0_NS1_11comp_targetILNS1_3genE9ELNS1_11target_archE1100ELNS1_3gpuE3ELNS1_3repE0EEENS1_30default_config_static_selectorELNS0_4arch9wavefront6targetE0EEEvS10_
                                        ; -- End function
	.set _ZN7rocprim17ROCPRIM_400000_NS6detail17trampoline_kernelINS0_14default_configENS1_21merge_config_selectorINS0_5tupleIJiiEEENS0_10empty_typeEEEZNS1_10merge_implIS3_NS0_12zip_iteratorINS5_IJN6thrust23THRUST_200600_302600_NS6detail15normal_iteratorINSC_10device_ptrIKiEEEESI_EEEEESK_NSA_INS5_IJNSE_INSF_IiEEEESM_EEEEEPS7_SP_SP_NSC_11hip_rocprim7__merge17predicate_wrapperIiiNSC_4lessIiEEEEEE10hipError_tPvRmT0_T1_T2_T3_T4_T5_mmT6_P12ihipStream_tbEUlT_E0_NS1_11comp_targetILNS1_3genE9ELNS1_11target_archE1100ELNS1_3gpuE3ELNS1_3repE0EEENS1_30default_config_static_selectorELNS0_4arch9wavefront6targetE0EEEvS10_.num_vgpr, 0
	.set _ZN7rocprim17ROCPRIM_400000_NS6detail17trampoline_kernelINS0_14default_configENS1_21merge_config_selectorINS0_5tupleIJiiEEENS0_10empty_typeEEEZNS1_10merge_implIS3_NS0_12zip_iteratorINS5_IJN6thrust23THRUST_200600_302600_NS6detail15normal_iteratorINSC_10device_ptrIKiEEEESI_EEEEESK_NSA_INS5_IJNSE_INSF_IiEEEESM_EEEEEPS7_SP_SP_NSC_11hip_rocprim7__merge17predicate_wrapperIiiNSC_4lessIiEEEEEE10hipError_tPvRmT0_T1_T2_T3_T4_T5_mmT6_P12ihipStream_tbEUlT_E0_NS1_11comp_targetILNS1_3genE9ELNS1_11target_archE1100ELNS1_3gpuE3ELNS1_3repE0EEENS1_30default_config_static_selectorELNS0_4arch9wavefront6targetE0EEEvS10_.num_agpr, 0
	.set _ZN7rocprim17ROCPRIM_400000_NS6detail17trampoline_kernelINS0_14default_configENS1_21merge_config_selectorINS0_5tupleIJiiEEENS0_10empty_typeEEEZNS1_10merge_implIS3_NS0_12zip_iteratorINS5_IJN6thrust23THRUST_200600_302600_NS6detail15normal_iteratorINSC_10device_ptrIKiEEEESI_EEEEESK_NSA_INS5_IJNSE_INSF_IiEEEESM_EEEEEPS7_SP_SP_NSC_11hip_rocprim7__merge17predicate_wrapperIiiNSC_4lessIiEEEEEE10hipError_tPvRmT0_T1_T2_T3_T4_T5_mmT6_P12ihipStream_tbEUlT_E0_NS1_11comp_targetILNS1_3genE9ELNS1_11target_archE1100ELNS1_3gpuE3ELNS1_3repE0EEENS1_30default_config_static_selectorELNS0_4arch9wavefront6targetE0EEEvS10_.numbered_sgpr, 0
	.set _ZN7rocprim17ROCPRIM_400000_NS6detail17trampoline_kernelINS0_14default_configENS1_21merge_config_selectorINS0_5tupleIJiiEEENS0_10empty_typeEEEZNS1_10merge_implIS3_NS0_12zip_iteratorINS5_IJN6thrust23THRUST_200600_302600_NS6detail15normal_iteratorINSC_10device_ptrIKiEEEESI_EEEEESK_NSA_INS5_IJNSE_INSF_IiEEEESM_EEEEEPS7_SP_SP_NSC_11hip_rocprim7__merge17predicate_wrapperIiiNSC_4lessIiEEEEEE10hipError_tPvRmT0_T1_T2_T3_T4_T5_mmT6_P12ihipStream_tbEUlT_E0_NS1_11comp_targetILNS1_3genE9ELNS1_11target_archE1100ELNS1_3gpuE3ELNS1_3repE0EEENS1_30default_config_static_selectorELNS0_4arch9wavefront6targetE0EEEvS10_.num_named_barrier, 0
	.set _ZN7rocprim17ROCPRIM_400000_NS6detail17trampoline_kernelINS0_14default_configENS1_21merge_config_selectorINS0_5tupleIJiiEEENS0_10empty_typeEEEZNS1_10merge_implIS3_NS0_12zip_iteratorINS5_IJN6thrust23THRUST_200600_302600_NS6detail15normal_iteratorINSC_10device_ptrIKiEEEESI_EEEEESK_NSA_INS5_IJNSE_INSF_IiEEEESM_EEEEEPS7_SP_SP_NSC_11hip_rocprim7__merge17predicate_wrapperIiiNSC_4lessIiEEEEEE10hipError_tPvRmT0_T1_T2_T3_T4_T5_mmT6_P12ihipStream_tbEUlT_E0_NS1_11comp_targetILNS1_3genE9ELNS1_11target_archE1100ELNS1_3gpuE3ELNS1_3repE0EEENS1_30default_config_static_selectorELNS0_4arch9wavefront6targetE0EEEvS10_.private_seg_size, 0
	.set _ZN7rocprim17ROCPRIM_400000_NS6detail17trampoline_kernelINS0_14default_configENS1_21merge_config_selectorINS0_5tupleIJiiEEENS0_10empty_typeEEEZNS1_10merge_implIS3_NS0_12zip_iteratorINS5_IJN6thrust23THRUST_200600_302600_NS6detail15normal_iteratorINSC_10device_ptrIKiEEEESI_EEEEESK_NSA_INS5_IJNSE_INSF_IiEEEESM_EEEEEPS7_SP_SP_NSC_11hip_rocprim7__merge17predicate_wrapperIiiNSC_4lessIiEEEEEE10hipError_tPvRmT0_T1_T2_T3_T4_T5_mmT6_P12ihipStream_tbEUlT_E0_NS1_11comp_targetILNS1_3genE9ELNS1_11target_archE1100ELNS1_3gpuE3ELNS1_3repE0EEENS1_30default_config_static_selectorELNS0_4arch9wavefront6targetE0EEEvS10_.uses_vcc, 0
	.set _ZN7rocprim17ROCPRIM_400000_NS6detail17trampoline_kernelINS0_14default_configENS1_21merge_config_selectorINS0_5tupleIJiiEEENS0_10empty_typeEEEZNS1_10merge_implIS3_NS0_12zip_iteratorINS5_IJN6thrust23THRUST_200600_302600_NS6detail15normal_iteratorINSC_10device_ptrIKiEEEESI_EEEEESK_NSA_INS5_IJNSE_INSF_IiEEEESM_EEEEEPS7_SP_SP_NSC_11hip_rocprim7__merge17predicate_wrapperIiiNSC_4lessIiEEEEEE10hipError_tPvRmT0_T1_T2_T3_T4_T5_mmT6_P12ihipStream_tbEUlT_E0_NS1_11comp_targetILNS1_3genE9ELNS1_11target_archE1100ELNS1_3gpuE3ELNS1_3repE0EEENS1_30default_config_static_selectorELNS0_4arch9wavefront6targetE0EEEvS10_.uses_flat_scratch, 0
	.set _ZN7rocprim17ROCPRIM_400000_NS6detail17trampoline_kernelINS0_14default_configENS1_21merge_config_selectorINS0_5tupleIJiiEEENS0_10empty_typeEEEZNS1_10merge_implIS3_NS0_12zip_iteratorINS5_IJN6thrust23THRUST_200600_302600_NS6detail15normal_iteratorINSC_10device_ptrIKiEEEESI_EEEEESK_NSA_INS5_IJNSE_INSF_IiEEEESM_EEEEEPS7_SP_SP_NSC_11hip_rocprim7__merge17predicate_wrapperIiiNSC_4lessIiEEEEEE10hipError_tPvRmT0_T1_T2_T3_T4_T5_mmT6_P12ihipStream_tbEUlT_E0_NS1_11comp_targetILNS1_3genE9ELNS1_11target_archE1100ELNS1_3gpuE3ELNS1_3repE0EEENS1_30default_config_static_selectorELNS0_4arch9wavefront6targetE0EEEvS10_.has_dyn_sized_stack, 0
	.set _ZN7rocprim17ROCPRIM_400000_NS6detail17trampoline_kernelINS0_14default_configENS1_21merge_config_selectorINS0_5tupleIJiiEEENS0_10empty_typeEEEZNS1_10merge_implIS3_NS0_12zip_iteratorINS5_IJN6thrust23THRUST_200600_302600_NS6detail15normal_iteratorINSC_10device_ptrIKiEEEESI_EEEEESK_NSA_INS5_IJNSE_INSF_IiEEEESM_EEEEEPS7_SP_SP_NSC_11hip_rocprim7__merge17predicate_wrapperIiiNSC_4lessIiEEEEEE10hipError_tPvRmT0_T1_T2_T3_T4_T5_mmT6_P12ihipStream_tbEUlT_E0_NS1_11comp_targetILNS1_3genE9ELNS1_11target_archE1100ELNS1_3gpuE3ELNS1_3repE0EEENS1_30default_config_static_selectorELNS0_4arch9wavefront6targetE0EEEvS10_.has_recursion, 0
	.set _ZN7rocprim17ROCPRIM_400000_NS6detail17trampoline_kernelINS0_14default_configENS1_21merge_config_selectorINS0_5tupleIJiiEEENS0_10empty_typeEEEZNS1_10merge_implIS3_NS0_12zip_iteratorINS5_IJN6thrust23THRUST_200600_302600_NS6detail15normal_iteratorINSC_10device_ptrIKiEEEESI_EEEEESK_NSA_INS5_IJNSE_INSF_IiEEEESM_EEEEEPS7_SP_SP_NSC_11hip_rocprim7__merge17predicate_wrapperIiiNSC_4lessIiEEEEEE10hipError_tPvRmT0_T1_T2_T3_T4_T5_mmT6_P12ihipStream_tbEUlT_E0_NS1_11comp_targetILNS1_3genE9ELNS1_11target_archE1100ELNS1_3gpuE3ELNS1_3repE0EEENS1_30default_config_static_selectorELNS0_4arch9wavefront6targetE0EEEvS10_.has_indirect_call, 0
	.section	.AMDGPU.csdata,"",@progbits
; Kernel info:
; codeLenInByte = 0
; TotalNumSgprs: 0
; NumVgprs: 0
; ScratchSize: 0
; MemoryBound: 0
; FloatMode: 240
; IeeeMode: 1
; LDSByteSize: 0 bytes/workgroup (compile time only)
; SGPRBlocks: 0
; VGPRBlocks: 0
; NumSGPRsForWavesPerEU: 1
; NumVGPRsForWavesPerEU: 1
; Occupancy: 16
; WaveLimiterHint : 0
; COMPUTE_PGM_RSRC2:SCRATCH_EN: 0
; COMPUTE_PGM_RSRC2:USER_SGPR: 6
; COMPUTE_PGM_RSRC2:TRAP_HANDLER: 0
; COMPUTE_PGM_RSRC2:TGID_X_EN: 1
; COMPUTE_PGM_RSRC2:TGID_Y_EN: 0
; COMPUTE_PGM_RSRC2:TGID_Z_EN: 0
; COMPUTE_PGM_RSRC2:TIDIG_COMP_CNT: 0
	.section	.text._ZN7rocprim17ROCPRIM_400000_NS6detail17trampoline_kernelINS0_14default_configENS1_21merge_config_selectorINS0_5tupleIJiiEEENS0_10empty_typeEEEZNS1_10merge_implIS3_NS0_12zip_iteratorINS5_IJN6thrust23THRUST_200600_302600_NS6detail15normal_iteratorINSC_10device_ptrIKiEEEESI_EEEEESK_NSA_INS5_IJNSE_INSF_IiEEEESM_EEEEEPS7_SP_SP_NSC_11hip_rocprim7__merge17predicate_wrapperIiiNSC_4lessIiEEEEEE10hipError_tPvRmT0_T1_T2_T3_T4_T5_mmT6_P12ihipStream_tbEUlT_E0_NS1_11comp_targetILNS1_3genE8ELNS1_11target_archE1030ELNS1_3gpuE2ELNS1_3repE0EEENS1_30default_config_static_selectorELNS0_4arch9wavefront6targetE0EEEvS10_,"axG",@progbits,_ZN7rocprim17ROCPRIM_400000_NS6detail17trampoline_kernelINS0_14default_configENS1_21merge_config_selectorINS0_5tupleIJiiEEENS0_10empty_typeEEEZNS1_10merge_implIS3_NS0_12zip_iteratorINS5_IJN6thrust23THRUST_200600_302600_NS6detail15normal_iteratorINSC_10device_ptrIKiEEEESI_EEEEESK_NSA_INS5_IJNSE_INSF_IiEEEESM_EEEEEPS7_SP_SP_NSC_11hip_rocprim7__merge17predicate_wrapperIiiNSC_4lessIiEEEEEE10hipError_tPvRmT0_T1_T2_T3_T4_T5_mmT6_P12ihipStream_tbEUlT_E0_NS1_11comp_targetILNS1_3genE8ELNS1_11target_archE1030ELNS1_3gpuE2ELNS1_3repE0EEENS1_30default_config_static_selectorELNS0_4arch9wavefront6targetE0EEEvS10_,comdat
	.protected	_ZN7rocprim17ROCPRIM_400000_NS6detail17trampoline_kernelINS0_14default_configENS1_21merge_config_selectorINS0_5tupleIJiiEEENS0_10empty_typeEEEZNS1_10merge_implIS3_NS0_12zip_iteratorINS5_IJN6thrust23THRUST_200600_302600_NS6detail15normal_iteratorINSC_10device_ptrIKiEEEESI_EEEEESK_NSA_INS5_IJNSE_INSF_IiEEEESM_EEEEEPS7_SP_SP_NSC_11hip_rocprim7__merge17predicate_wrapperIiiNSC_4lessIiEEEEEE10hipError_tPvRmT0_T1_T2_T3_T4_T5_mmT6_P12ihipStream_tbEUlT_E0_NS1_11comp_targetILNS1_3genE8ELNS1_11target_archE1030ELNS1_3gpuE2ELNS1_3repE0EEENS1_30default_config_static_selectorELNS0_4arch9wavefront6targetE0EEEvS10_ ; -- Begin function _ZN7rocprim17ROCPRIM_400000_NS6detail17trampoline_kernelINS0_14default_configENS1_21merge_config_selectorINS0_5tupleIJiiEEENS0_10empty_typeEEEZNS1_10merge_implIS3_NS0_12zip_iteratorINS5_IJN6thrust23THRUST_200600_302600_NS6detail15normal_iteratorINSC_10device_ptrIKiEEEESI_EEEEESK_NSA_INS5_IJNSE_INSF_IiEEEESM_EEEEEPS7_SP_SP_NSC_11hip_rocprim7__merge17predicate_wrapperIiiNSC_4lessIiEEEEEE10hipError_tPvRmT0_T1_T2_T3_T4_T5_mmT6_P12ihipStream_tbEUlT_E0_NS1_11comp_targetILNS1_3genE8ELNS1_11target_archE1030ELNS1_3gpuE2ELNS1_3repE0EEENS1_30default_config_static_selectorELNS0_4arch9wavefront6targetE0EEEvS10_
	.globl	_ZN7rocprim17ROCPRIM_400000_NS6detail17trampoline_kernelINS0_14default_configENS1_21merge_config_selectorINS0_5tupleIJiiEEENS0_10empty_typeEEEZNS1_10merge_implIS3_NS0_12zip_iteratorINS5_IJN6thrust23THRUST_200600_302600_NS6detail15normal_iteratorINSC_10device_ptrIKiEEEESI_EEEEESK_NSA_INS5_IJNSE_INSF_IiEEEESM_EEEEEPS7_SP_SP_NSC_11hip_rocprim7__merge17predicate_wrapperIiiNSC_4lessIiEEEEEE10hipError_tPvRmT0_T1_T2_T3_T4_T5_mmT6_P12ihipStream_tbEUlT_E0_NS1_11comp_targetILNS1_3genE8ELNS1_11target_archE1030ELNS1_3gpuE2ELNS1_3repE0EEENS1_30default_config_static_selectorELNS0_4arch9wavefront6targetE0EEEvS10_
	.p2align	8
	.type	_ZN7rocprim17ROCPRIM_400000_NS6detail17trampoline_kernelINS0_14default_configENS1_21merge_config_selectorINS0_5tupleIJiiEEENS0_10empty_typeEEEZNS1_10merge_implIS3_NS0_12zip_iteratorINS5_IJN6thrust23THRUST_200600_302600_NS6detail15normal_iteratorINSC_10device_ptrIKiEEEESI_EEEEESK_NSA_INS5_IJNSE_INSF_IiEEEESM_EEEEEPS7_SP_SP_NSC_11hip_rocprim7__merge17predicate_wrapperIiiNSC_4lessIiEEEEEE10hipError_tPvRmT0_T1_T2_T3_T4_T5_mmT6_P12ihipStream_tbEUlT_E0_NS1_11comp_targetILNS1_3genE8ELNS1_11target_archE1030ELNS1_3gpuE2ELNS1_3repE0EEENS1_30default_config_static_selectorELNS0_4arch9wavefront6targetE0EEEvS10_,@function
_ZN7rocprim17ROCPRIM_400000_NS6detail17trampoline_kernelINS0_14default_configENS1_21merge_config_selectorINS0_5tupleIJiiEEENS0_10empty_typeEEEZNS1_10merge_implIS3_NS0_12zip_iteratorINS5_IJN6thrust23THRUST_200600_302600_NS6detail15normal_iteratorINSC_10device_ptrIKiEEEESI_EEEEESK_NSA_INS5_IJNSE_INSF_IiEEEESM_EEEEEPS7_SP_SP_NSC_11hip_rocprim7__merge17predicate_wrapperIiiNSC_4lessIiEEEEEE10hipError_tPvRmT0_T1_T2_T3_T4_T5_mmT6_P12ihipStream_tbEUlT_E0_NS1_11comp_targetILNS1_3genE8ELNS1_11target_archE1030ELNS1_3gpuE2ELNS1_3repE0EEENS1_30default_config_static_selectorELNS0_4arch9wavefront6targetE0EEEvS10_: ; @_ZN7rocprim17ROCPRIM_400000_NS6detail17trampoline_kernelINS0_14default_configENS1_21merge_config_selectorINS0_5tupleIJiiEEENS0_10empty_typeEEEZNS1_10merge_implIS3_NS0_12zip_iteratorINS5_IJN6thrust23THRUST_200600_302600_NS6detail15normal_iteratorINSC_10device_ptrIKiEEEESI_EEEEESK_NSA_INS5_IJNSE_INSF_IiEEEESM_EEEEEPS7_SP_SP_NSC_11hip_rocprim7__merge17predicate_wrapperIiiNSC_4lessIiEEEEEE10hipError_tPvRmT0_T1_T2_T3_T4_T5_mmT6_P12ihipStream_tbEUlT_E0_NS1_11comp_targetILNS1_3genE8ELNS1_11target_archE1030ELNS1_3gpuE2ELNS1_3repE0EEENS1_30default_config_static_selectorELNS0_4arch9wavefront6targetE0EEEvS10_
; %bb.0:
	s_clause 0x2
	s_load_dwordx4 s[0:3], s[4:5], 0x58
	s_load_dwordx8 s[8:15], s[4:5], 0x8
	s_load_dwordx4 s[16:19], s[4:5], 0x28
	s_lshl_b32 s20, s6, 12
	s_mov_b32 s25, 0
	v_mov_b32_e32 v1, 0
	s_mov_b32 s27, s25
	s_waitcnt lgkmcnt(0)
	s_add_i32 s22, s2, s0
	s_add_i32 s0, s22, 0xfff
	s_lshr_b32 s0, s0, 12
	s_min_u32 s1, s6, s0
	s_lshl_b32 s1, s1, 2
	s_load_dword s24, s[8:9], s1 offset:0x0
	s_add_i32 s1, s6, 1
	s_min_u32 s0, s1, s0
	s_lshl_b32 s0, s0, 2
	s_load_dword s21, s[8:9], s0 offset:0x0
	s_add_i32 s0, s20, 0x1000
	s_min_u32 s23, s22, s0
	s_waitcnt lgkmcnt(0)
	s_lshl_b64 s[2:3], s[24:25], 2
	s_sub_i32 s26, s20, s24
	s_add_u32 s0, s10, s2
	s_addc_u32 s1, s11, s3
	s_add_u32 s2, s12, s2
	s_addc_u32 s3, s13, s3
	s_lshl_b64 s[8:9], s[26:27], 2
	s_mov_b32 s13, exec_lo
	s_add_u32 s6, s14, s8
	s_addc_u32 s7, s15, s9
	s_add_u32 s8, s16, s8
	s_addc_u32 s9, s17, s9
	s_add_i32 s10, s26, s21
	s_sub_i32 s15, s21, s24
	s_sub_i32 s12, s23, s10
	s_add_u32 s10, s12, s15
	s_addc_u32 s11, 0, 0
	v_cmpx_le_u32_e64 s15, v0
	s_xor_b32 s13, exec_lo, s13
	s_cbranch_execz .LBB260_4
; %bb.1:
	s_mov_b32 s14, exec_lo
	v_cmpx_gt_u64_e64 s[10:11], v[0:1]
	s_cbranch_execz .LBB260_3
; %bb.2:
	v_subrev_nc_u32_e32 v1, s15, v0
	v_lshlrev_b32_e32 v3, 3, v0
	v_lshlrev_b32_e32 v2, 2, v1
	s_clause 0x1
	global_load_dword v1, v2, s[6:7]
	global_load_dword v2, v2, s[8:9]
	s_waitcnt vmcnt(0)
	ds_write_b64 v3, v[1:2]
.LBB260_3:
	s_or_b32 exec_lo, exec_lo, s14
.LBB260_4:
	s_or_saveexec_b32 s13, s13
	v_lshlrev_b32_e32 v50, 2, v0
	v_lshlrev_b32_e32 v51, 3, v0
	s_xor_b32 exec_lo, exec_lo, s13
	s_cbranch_execz .LBB260_6
; %bb.5:
	s_clause 0x1
	global_load_dword v1, v50, s[0:1]
	global_load_dword v2, v50, s[2:3]
	s_waitcnt vmcnt(0)
	ds_write_b64 v51, v[1:2]
.LBB260_6:
	s_or_b32 exec_lo, exec_lo, s13
	v_or_b32_e32 v1, 0x100, v0
	v_mov_b32_e32 v2, 0
	s_mov_b32 s13, exec_lo
	v_cmpx_le_u32_e64 s15, v1
	s_xor_b32 s13, exec_lo, s13
	s_cbranch_execz .LBB260_10
; %bb.7:
	s_mov_b32 s14, exec_lo
	v_cmpx_gt_u64_e64 s[10:11], v[1:2]
	s_cbranch_execz .LBB260_9
; %bb.8:
	v_sub_co_u32 v2, s16, v0, s15
	v_sub_co_ci_u32_e64 v3, null, 0, 0, s16
	v_lshlrev_b64 v[2:3], 2, v[2:3]
	v_add_co_u32 v4, vcc_lo, s6, v2
	v_add_co_ci_u32_e64 v5, null, s7, v3, vcc_lo
	v_add_co_u32 v2, vcc_lo, s8, v2
	v_add_co_ci_u32_e64 v3, null, s9, v3, vcc_lo
	global_load_dword v4, v[4:5], off offset:1024
	global_load_dword v5, v[2:3], off offset:1024
	s_waitcnt vmcnt(0)
	ds_write_b64 v51, v[4:5] offset:2048
.LBB260_9:
	s_or_b32 exec_lo, exec_lo, s14
.LBB260_10:
	s_andn2_saveexec_b32 s13, s13
	s_cbranch_execz .LBB260_12
; %bb.11:
	s_clause 0x1
	global_load_dword v2, v50, s[0:1] offset:1024
	global_load_dword v3, v50, s[2:3] offset:1024
	s_waitcnt vmcnt(0)
	ds_write_b64 v51, v[2:3] offset:2048
.LBB260_12:
	s_or_b32 exec_lo, exec_lo, s13
	v_or_b32_e32 v2, 0x200, v0
	v_mov_b32_e32 v3, 0
	s_mov_b32 s13, exec_lo
	v_cmpx_le_u32_e64 s15, v2
	s_xor_b32 s13, exec_lo, s13
	s_cbranch_execz .LBB260_16
; %bb.13:
	s_mov_b32 s14, exec_lo
	v_cmpx_gt_u64_e64 s[10:11], v[2:3]
	s_cbranch_execz .LBB260_15
; %bb.14:
	v_subrev_nc_u32_e32 v3, s15, v2
	v_lshlrev_b32_e32 v4, 2, v3
	s_clause 0x1
	global_load_dword v3, v4, s[6:7]
	global_load_dword v4, v4, s[8:9]
	s_waitcnt vmcnt(0)
	ds_write_b64 v51, v[3:4] offset:4096
.LBB260_15:
	s_or_b32 exec_lo, exec_lo, s14
.LBB260_16:
	s_andn2_saveexec_b32 s13, s13
	s_cbranch_execz .LBB260_18
; %bb.17:
	v_lshlrev_b32_e32 v4, 2, v2
	s_clause 0x1
	global_load_dword v3, v4, s[0:1]
	global_load_dword v4, v4, s[2:3]
	s_waitcnt vmcnt(0)
	ds_write_b64 v51, v[3:4] offset:4096
.LBB260_18:
	s_or_b32 exec_lo, exec_lo, s13
	v_or_b32_e32 v3, 0x300, v0
	v_mov_b32_e32 v4, 0
	s_mov_b32 s13, exec_lo
	v_cmpx_le_u32_e64 s15, v3
	s_xor_b32 s13, exec_lo, s13
	s_cbranch_execz .LBB260_22
; %bb.19:
	s_mov_b32 s14, exec_lo
	v_cmpx_gt_u64_e64 s[10:11], v[3:4]
	s_cbranch_execz .LBB260_21
; %bb.20:
	v_subrev_nc_u32_e32 v4, s15, v3
	v_lshlrev_b32_e32 v5, 2, v4
	s_clause 0x1
	global_load_dword v4, v5, s[6:7]
	global_load_dword v5, v5, s[8:9]
	s_waitcnt vmcnt(0)
	ds_write_b64 v51, v[4:5] offset:6144
.LBB260_21:
	s_or_b32 exec_lo, exec_lo, s14
.LBB260_22:
	s_andn2_saveexec_b32 s13, s13
	s_cbranch_execz .LBB260_24
; %bb.23:
	v_lshlrev_b32_e32 v5, 2, v3
	s_clause 0x1
	global_load_dword v4, v5, s[0:1]
	global_load_dword v5, v5, s[2:3]
	s_waitcnt vmcnt(0)
	ds_write_b64 v51, v[4:5] offset:6144
.LBB260_24:
	;; [unrolled: 32-line block ×13, first 2 shown]
	s_or_b32 exec_lo, exec_lo, s13
	v_or_b32_e32 v15, 0xf00, v0
	v_mov_b32_e32 v16, 0
	s_mov_b32 s13, exec_lo
	v_cmpx_le_u32_e64 s15, v15
	s_xor_b32 s13, exec_lo, s13
	s_cbranch_execz .LBB260_94
; %bb.91:
	v_cmp_gt_u64_e32 vcc_lo, s[10:11], v[15:16]
	s_and_saveexec_b32 s10, vcc_lo
	s_cbranch_execz .LBB260_93
; %bb.92:
	v_subrev_nc_u32_e32 v16, s15, v15
	v_lshlrev_b32_e32 v17, 2, v16
	s_clause 0x1
	global_load_dword v16, v17, s[6:7]
	global_load_dword v17, v17, s[8:9]
	s_waitcnt vmcnt(0)
	ds_write_b64 v51, v[16:17] offset:30720
.LBB260_93:
	s_or_b32 exec_lo, exec_lo, s10
.LBB260_94:
	s_or_saveexec_b32 s6, s13
	s_load_dwordx2 s[16:17], s[4:5], 0x38
	s_xor_b32 exec_lo, exec_lo, s6
	s_cbranch_execz .LBB260_96
; %bb.95:
	v_lshlrev_b32_e32 v17, 2, v15
	s_clause 0x1
	global_load_dword v16, v17, s[0:1]
	global_load_dword v17, v17, s[2:3]
	s_waitcnt vmcnt(0)
	ds_write_b64 v51, v[16:17] offset:30720
.LBB260_96:
	s_or_b32 exec_lo, exec_lo, s6
	v_lshlrev_b32_e32 v48, 4, v0
	s_mov_b32 s0, exec_lo
	s_waitcnt lgkmcnt(0)
	s_barrier
	buffer_gl0_inv
	v_sub_nc_u32_e64 v49, v48, s12 clamp
	v_min_u32_e32 v16, s15, v48
	v_cmpx_lt_u32_e64 v49, v16
	s_cbranch_execz .LBB260_100
; %bb.97:
	v_lshlrev_b32_e32 v17, 3, v48
	s_mov_b32 s1, 0
	v_lshl_add_u32 v17, s15, 3, v17
	.p2align	6
.LBB260_98:                             ; =>This Inner Loop Header: Depth=1
	v_add_nc_u32_e32 v18, v16, v49
	v_lshrrev_b32_e32 v18, 1, v18
	v_not_b32_e32 v19, v18
	v_lshlrev_b32_e32 v20, 3, v18
	v_add_nc_u32_e32 v21, 1, v18
	v_lshl_add_u32 v19, v19, 3, v17
	ds_read_b32 v20, v20
	ds_read_b32 v19, v19
	s_waitcnt lgkmcnt(0)
	v_cmp_lt_i32_e32 vcc_lo, v19, v20
	v_cndmask_b32_e32 v16, v16, v18, vcc_lo
	v_cndmask_b32_e32 v49, v21, v49, vcc_lo
	v_cmp_ge_u32_e32 vcc_lo, v49, v16
	s_or_b32 s1, vcc_lo, s1
	s_andn2_b32 exec_lo, exec_lo, s1
	s_cbranch_execnz .LBB260_98
; %bb.99:
	s_or_b32 exec_lo, exec_lo, s1
.LBB260_100:
	s_or_b32 exec_lo, exec_lo, s0
	v_add_nc_u32_e32 v18, s15, v48
	s_add_i32 s23, s12, s15
	v_cmp_ge_u32_e32 vcc_lo, s15, v49
	v_mov_b32_e32 v16, 0
	v_mov_b32_e32 v20, 0
	v_sub_nc_u32_e32 v52, v18, v49
	v_mov_b32_e32 v18, 0
	v_mov_b32_e32 v22, 0
	;; [unrolled: 1-line block ×4, first 2 shown]
	v_cmp_ge_u32_e64 s0, s23, v52
	v_mov_b32_e32 v36, 0
	v_mov_b32_e32 v38, 0
	;; [unrolled: 1-line block ×26, first 2 shown]
	s_or_b32 s0, vcc_lo, s0
	s_and_saveexec_b32 s21, s0
	s_cbranch_execz .LBB260_106
; %bb.101:
	v_cmp_gt_u32_e32 vcc_lo, s15, v49
	v_mov_b32_e32 v16, 0
	v_mov_b32_e32 v18, 0
	;; [unrolled: 1-line block ×3, first 2 shown]
	s_and_saveexec_b32 s0, vcc_lo
; %bb.102:
	v_lshlrev_b32_e32 v17, 3, v49
	ds_read_b64 v[18:19], v17
; %bb.103:
	s_or_b32 exec_lo, exec_lo, s0
	v_cmp_le_u32_e64 s0, s23, v52
	v_mov_b32_e32 v17, 0
	s_mov_b32 s2, exec_lo
	v_cmpx_gt_u32_e64 s23, v52
; %bb.104:
	v_lshlrev_b32_e32 v16, 3, v52
	ds_read_b64 v[16:17], v16
; %bb.105:
	s_or_b32 exec_lo, exec_lo, s2
	s_waitcnt lgkmcnt(0)
	v_cmp_ge_i32_e64 s1, v16, v18
	v_mov_b32_e32 v42, s15
	s_and_b32 s1, vcc_lo, s1
	s_or_b32 vcc_lo, s0, s1
	v_cndmask_b32_e32 v20, v52, v49, vcc_lo
	v_cndmask_b32_e32 v21, s23, v42, vcc_lo
	v_add_nc_u32_e32 v22, 1, v20
	v_add_nc_u32_e32 v20, -1, v21
	v_cndmask_b32_e32 v24, v49, v22, vcc_lo
	v_min_u32_e32 v20, v22, v20
	v_cndmask_b32_e32 v25, v22, v52, vcc_lo
	v_cmp_gt_u32_e64 s0, s15, v24
	v_lshlrev_b32_e32 v20, 3, v20
	v_cmp_le_u32_e64 s2, s23, v25
	ds_read_b64 v[20:21], v20
	s_waitcnt lgkmcnt(0)
	v_cndmask_b32_e32 v47, v20, v16, vcc_lo
	v_cndmask_b32_e32 v20, v18, v20, vcc_lo
	v_cndmask_b32_e32 v16, v16, v18, vcc_lo
	v_cmp_ge_i32_e64 s1, v47, v20
	s_and_b32 s0, s0, s1
	s_or_b32 s0, s2, s0
	v_cndmask_b32_e64 v22, v25, v24, s0
	v_cndmask_b32_e64 v23, s23, v42, s0
	v_add_nc_u32_e32 v26, 1, v22
	v_add_nc_u32_e32 v22, -1, v23
	v_cndmask_b32_e64 v27, v24, v26, s0
	v_min_u32_e32 v22, v26, v22
	v_cndmask_b32_e64 v26, v26, v25, s0
	v_cmp_gt_u32_e64 s1, s15, v27
	v_lshlrev_b32_e32 v22, 3, v22
	v_cmp_le_u32_e64 s3, s23, v26
	ds_read_b64 v[22:23], v22
	s_waitcnt lgkmcnt(0)
	v_cndmask_b32_e64 v49, v22, v47, s0
	v_cndmask_b32_e64 v22, v20, v22, s0
	;; [unrolled: 1-line block ×3, first 2 shown]
	v_cmp_ge_i32_e64 s2, v49, v22
	s_and_b32 s1, s1, s2
	s_or_b32 s1, s3, s1
	v_cndmask_b32_e64 v24, v26, v27, s1
	v_cndmask_b32_e64 v25, s23, v42, s1
	;; [unrolled: 1-line block ×3, first 2 shown]
	v_add_nc_u32_e32 v28, 1, v24
	v_add_nc_u32_e32 v24, -1, v25
	v_cndmask_b32_e64 v29, v27, v28, s1
	v_min_u32_e32 v24, v28, v24
	v_cndmask_b32_e64 v28, v28, v26, s1
	v_cmp_gt_u32_e64 s2, s15, v29
	v_lshlrev_b32_e32 v24, 3, v24
	v_cmp_le_u32_e64 s4, s23, v28
	ds_read_b64 v[24:25], v24
	s_waitcnt lgkmcnt(0)
	v_cndmask_b32_e64 v54, v24, v49, s1
	v_cndmask_b32_e64 v24, v22, v24, s1
	v_cmp_ge_i32_e64 s3, v54, v24
	s_and_b32 s2, s2, s3
	s_or_b32 s2, s4, s2
	v_cndmask_b32_e64 v26, v28, v29, s2
	v_cndmask_b32_e64 v27, s23, v42, s2
	v_cndmask_b32_e64 v22, v54, v24, s2
	v_add_nc_u32_e32 v30, 1, v26
	v_add_nc_u32_e32 v26, -1, v27
	v_cndmask_b32_e64 v31, v29, v30, s2
	v_min_u32_e32 v26, v30, v26
	v_cndmask_b32_e64 v30, v30, v28, s2
	v_cmp_gt_u32_e64 s3, s15, v31
	v_lshlrev_b32_e32 v26, 3, v26
	v_cmp_le_u32_e64 s5, s23, v30
	ds_read_b64 v[26:27], v26
	s_waitcnt lgkmcnt(0)
	v_cndmask_b32_e64 v55, v26, v54, s2
	v_cndmask_b32_e64 v26, v24, v26, s2
	v_cmp_ge_i32_e64 s4, v55, v26
	s_and_b32 s3, s3, s4
	s_or_b32 s3, s5, s3
	v_cndmask_b32_e64 v28, v30, v31, s3
	v_cndmask_b32_e64 v29, s23, v42, s3
	v_add_nc_u32_e32 v32, 1, v28
	v_add_nc_u32_e32 v28, -1, v29
	v_cndmask_b32_e64 v33, v31, v32, s3
	v_min_u32_e32 v28, v32, v28
	v_cndmask_b32_e64 v32, v32, v30, s3
	v_cmp_gt_u32_e64 s4, s15, v33
	v_lshlrev_b32_e32 v28, 3, v28
	v_cmp_le_u32_e64 s6, s23, v32
	ds_read_b64 v[28:29], v28
	s_waitcnt lgkmcnt(0)
	v_cndmask_b32_e64 v56, v28, v55, s3
	v_cndmask_b32_e64 v28, v26, v28, s3
	v_cmp_ge_i32_e64 s5, v56, v28
	s_and_b32 s4, s4, s5
	s_or_b32 s4, s6, s4
	v_cndmask_b32_e64 v30, v32, v33, s4
	v_cndmask_b32_e64 v31, s23, v42, s4
	;; [unrolled: 17-line block ×4, first 2 shown]
	v_add_nc_u32_e32 v38, 1, v34
	v_add_nc_u32_e32 v34, -1, v35
	v_cndmask_b32_e64 v39, v37, v38, s6
	v_min_u32_e32 v34, v38, v34
	v_cmp_gt_u32_e64 s7, s15, v39
	v_lshlrev_b32_e32 v34, 3, v34
	ds_read_b64 v[34:35], v34
	s_waitcnt lgkmcnt(0)
	v_cndmask_b32_e64 v59, v34, v58, s6
	v_cndmask_b32_e64 v60, v32, v34, s6
	;; [unrolled: 1-line block ×3, first 2 shown]
	v_cmp_ge_i32_e64 s8, v59, v60
	v_cmp_le_u32_e64 s9, s23, v34
	s_and_b32 s7, s7, s8
	s_or_b32 s7, s9, s7
	v_cndmask_b32_e64 v36, v34, v39, s7
	v_cndmask_b32_e64 v37, s23, v42, s7
	v_add_nc_u32_e32 v38, 1, v36
	v_add_nc_u32_e32 v36, -1, v37
	v_cndmask_b32_e64 v40, v39, v38, s7
	v_min_u32_e32 v36, v38, v36
	v_cndmask_b32_e64 v34, v38, v34, s7
	v_cmp_gt_u32_e64 s8, s15, v40
	v_lshlrev_b32_e32 v36, 3, v36
	v_cmp_le_u32_e64 s10, s23, v34
	ds_read_b64 v[36:37], v36
	s_waitcnt lgkmcnt(0)
	v_cndmask_b32_e64 v61, v36, v59, s7
	v_cndmask_b32_e64 v62, v60, v36, s7
	v_cmp_ge_i32_e64 s9, v61, v62
	s_and_b32 s8, s8, s9
	s_or_b32 s8, s10, s8
	v_cndmask_b32_e64 v36, v34, v40, s8
	v_cndmask_b32_e64 v38, s23, v42, s8
	v_add_nc_u32_e32 v36, 1, v36
	v_add_nc_u32_e32 v38, -1, v38
	v_cndmask_b32_e64 v43, v40, v36, s8
	v_min_u32_e32 v38, v36, v38
	v_cndmask_b32_e64 v34, v36, v34, s8
	v_cmp_gt_u32_e64 s9, s15, v43
	v_lshlrev_b32_e32 v38, 3, v38
	v_cmp_le_u32_e64 s11, s23, v34
	ds_read_b64 v[38:39], v38
	s_waitcnt lgkmcnt(0)
	v_cndmask_b32_e64 v63, v38, v61, s8
	v_cndmask_b32_e64 v64, v62, v38, s8
	v_cmp_ge_i32_e64 s10, v63, v64
	s_and_b32 s9, s9, s10
	s_or_b32 s9, s11, s9
	v_cndmask_b32_e64 v36, v34, v43, s9
	v_cndmask_b32_e64 v38, s23, v42, s9
	v_add_nc_u32_e32 v36, 1, v36
	v_add_nc_u32_e32 v38, -1, v38
	v_cndmask_b32_e64 v34, v36, v34, s9
	v_min_u32_e32 v38, v36, v38
	v_cmp_le_u32_e64 s12, s23, v34
	v_lshlrev_b32_e32 v38, 3, v38
	ds_read_b64 v[40:41], v38
	v_cndmask_b32_e64 v38, v43, v36, s9
	v_cmp_gt_u32_e64 s10, s15, v38
	s_waitcnt lgkmcnt(0)
	v_cndmask_b32_e64 v65, v40, v63, s9
	v_cndmask_b32_e64 v66, v64, v40, s9
	v_cmp_ge_i32_e64 s11, v65, v66
	s_and_b32 s10, s10, s11
	s_or_b32 s10, s12, s10
	v_cndmask_b32_e64 v36, v34, v38, s10
	v_cndmask_b32_e64 v40, s23, v42, s10
	v_add_nc_u32_e32 v36, 1, v36
	v_add_nc_u32_e32 v40, -1, v40
	v_cndmask_b32_e64 v38, v38, v36, s10
	v_min_u32_e32 v40, v36, v40
	v_cndmask_b32_e64 v34, v36, v34, s10
	v_cmp_gt_u32_e64 s11, s15, v38
	v_lshlrev_b32_e32 v40, 3, v40
	v_cmp_le_u32_e64 s13, s23, v34
	ds_read_b64 v[43:44], v40
	s_waitcnt lgkmcnt(0)
	v_cndmask_b32_e64 v67, v43, v65, s10
	v_cndmask_b32_e64 v68, v66, v43, s10
	v_cndmask_b32_e32 v43, v21, v17, vcc_lo
	v_cndmask_b32_e32 v21, v19, v21, vcc_lo
	;; [unrolled: 1-line block ×3, first 2 shown]
	v_cmp_ge_i32_e64 s12, v67, v68
	s_and_b32 s11, s11, s12
	s_or_b32 s11, s13, s11
	v_cndmask_b32_e64 v36, v34, v38, s11
	v_cndmask_b32_e64 v40, s23, v42, s11
	v_add_nc_u32_e32 v36, 1, v36
	v_add_nc_u32_e32 v40, -1, v40
	v_cndmask_b32_e64 v38, v38, v36, s11
	v_min_u32_e32 v40, v36, v40
	v_cndmask_b32_e64 v34, v36, v34, s11
	v_cmp_gt_u32_e64 s12, s15, v38
	v_lshlrev_b32_e32 v40, 3, v40
	v_cmp_le_u32_e64 s14, s23, v34
	ds_read_b64 v[45:46], v40
	s_waitcnt lgkmcnt(0)
	v_cndmask_b32_e64 v69, v45, v67, s11
	v_cndmask_b32_e64 v45, v68, v45, s11
	v_cmp_ge_i32_e64 s13, v69, v45
	s_and_b32 s12, s12, s13
	s_or_b32 s12, s14, s12
	v_cndmask_b32_e64 v36, v34, v38, s12
	v_cndmask_b32_e64 v40, s23, v42, s12
	v_add_nc_u32_e32 v36, 1, v36
	v_add_nc_u32_e32 v40, -1, v40
	v_cndmask_b32_e64 v47, v38, v36, s12
	v_min_u32_e32 v40, v36, v40
	v_cmp_gt_u32_e32 vcc_lo, s15, v47
	v_lshlrev_b32_e32 v40, 3, v40
	ds_read_b64 v[52:53], v40
	v_cndmask_b32_e64 v40, v23, v43, s0
	v_cndmask_b32_e64 v23, v21, v23, s0
	;; [unrolled: 1-line block ×11, first 2 shown]
	v_cmp_le_u32_e64 s1, s23, v70
	v_cndmask_b32_e64 v29, v25, v29, s3
	s_waitcnt lgkmcnt(0)
	v_cndmask_b32_e64 v49, v52, v69, s12
	v_cndmask_b32_e64 v52, v45, v52, s12
	;; [unrolled: 1-line block ×6, first 2 shown]
	v_cmp_ge_i32_e64 s0, v49, v52
	v_cndmask_b32_e64 v40, v33, v36, s5
	v_cndmask_b32_e64 v33, v31, v33, s5
	s_and_b32 s0, vcc_lo, s0
	s_or_b32 vcc_lo, s1, s0
	v_cndmask_b32_e64 v43, v33, v35, s6
	v_cndmask_b32_e32 v34, v70, v47, vcc_lo
	v_cndmask_b32_e32 v38, s23, v42, vcc_lo
	v_cndmask_b32_e64 v42, v35, v40, s6
	v_cndmask_b32_e64 v35, v27, v29, s4
	v_add_nc_u32_e32 v71, 1, v34
	v_add_nc_u32_e32 v26, -1, v38
	v_cndmask_b32_e64 v34, v56, v28, s4
	v_cndmask_b32_e64 v27, v37, v42, s7
	;; [unrolled: 1-line block ×4, first 2 shown]
	v_min_u32_e32 v26, v71, v26
	v_cndmask_b32_e64 v36, v57, v30, s5
	v_cndmask_b32_e64 v29, v39, v27, s8
	;; [unrolled: 1-line block ×4, first 2 shown]
	v_lshlrev_b32_e32 v26, 3, v26
	v_cndmask_b32_e64 v39, v40, v33, s6
	v_cndmask_b32_e64 v31, v41, v29, s9
	v_cndmask_b32_e64 v32, v30, v41, s9
	v_cndmask_b32_e64 v41, v42, v43, s7
	ds_read_b64 v[54:55], v26
	v_cndmask_b32_e64 v43, v27, v28, s8
	v_cndmask_b32_e64 v33, v44, v31, s10
	;; [unrolled: 1-line block ×9, first 2 shown]
	v_cndmask_b32_e32 v44, v47, v71, vcc_lo
	v_cndmask_b32_e32 v47, v71, v70, vcc_lo
	v_cndmask_b32_e64 v45, v53, v56, s12
	v_cndmask_b32_e64 v33, v56, v46, s12
	;; [unrolled: 1-line block ×3, first 2 shown]
	v_cmp_gt_u32_e64 s0, s15, v44
	v_cmp_le_u32_e64 s2, s23, v47
	v_cndmask_b32_e32 v44, v49, v52, vcc_lo
	v_cndmask_b32_e64 v40, v59, v60, s7
	v_cndmask_b32_e64 v42, v61, v62, s8
	s_waitcnt lgkmcnt(0)
	v_cndmask_b32_e32 v57, v54, v49, vcc_lo
	v_cndmask_b32_e32 v54, v52, v54, vcc_lo
	;; [unrolled: 1-line block ×5, first 2 shown]
	v_cndmask_b32_e64 v26, v63, v64, s9
	v_cmp_ge_i32_e64 s1, v57, v54
	v_cndmask_b32_e64 v28, v65, v66, s10
	v_cndmask_b32_e64 v30, v67, v68, s11
	s_and_b32 s0, s0, s1
	s_or_b32 vcc_lo, s2, s0
	v_cndmask_b32_e32 v47, v53, v47, vcc_lo
	v_cndmask_b32_e32 v46, v57, v54, vcc_lo
.LBB260_106:
	s_or_b32 exec_lo, exec_lo, s21
	v_and_b32_e32 v49, 0x3f8, v50
	s_mov_b32 s21, 0
	s_sub_i32 s4, s22, s20
	s_lshl_b64 s[2:3], s[20:21], 2
	v_lshl_add_u32 v48, v48, 3, v49
	s_add_u32 s0, s18, s2
	s_addc_u32 s1, s19, s3
	s_barrier
	buffer_gl0_inv
	ds_write2_b64 v48, v[16:17], v[20:21] offset1:1
	ds_write2_b64 v48, v[18:19], v[22:23] offset0:2 offset1:3
	ds_write2_b64 v48, v[24:25], v[34:35] offset0:4 offset1:5
	;; [unrolled: 1-line block ×4, first 2 shown]
	v_lshrrev_b32_e32 v40, 2, v1
	v_lshrrev_b32_e32 v39, 2, v2
	;; [unrolled: 1-line block ×15, first 2 shown]
	s_add_u32 s2, s16, s2
	s_addc_u32 s3, s17, s3
	s_cmpk_gt_u32 s4, 0xfff
	ds_write2_b64 v48, v[26:27], v[28:29] offset0:10 offset1:11
	ds_write2_b64 v48, v[30:31], v[32:33] offset0:12 offset1:13
	;; [unrolled: 1-line block ×3, first 2 shown]
	s_waitcnt lgkmcnt(0)
	s_cbranch_scc0 .LBB260_108
; %bb.107:
	v_lshrrev_b32_e32 v16, 2, v0
	v_and_b32_e32 v17, 0x78, v40
	v_and_b32_e32 v26, 0xf8, v39
	;; [unrolled: 1-line block ×5, first 2 shown]
	v_add_nc_u32_e32 v17, v17, v51
	v_and_b32_e32 v42, 0x1f8, v36
	v_add_nc_u32_e32 v30, v26, v51
	v_and_b32_e32 v43, 0x1f8, v35
	v_add_nc_u32_e32 v16, v16, v51
	v_add_nc_u32_e32 v32, v27, v51
	v_and_b32_e32 v44, 0x1f8, v34
	s_barrier
	buffer_gl0_inv
	ds_read_b64 v[26:27], v16
	ds_read_b64 v[28:29], v17 offset:2048
	ds_read_b64 v[30:31], v30 offset:4096
	ds_read_b64 v[32:33], v32 offset:6144
	v_add_nc_u32_e32 v16, v41, v51
	v_and_b32_e32 v52, 0x3f8, v24
	v_add_nc_u32_e32 v17, v42, v51
	v_and_b32_e32 v49, 0x3f8, v25
	v_and_b32_e32 v53, 0x3f8, v23
	v_add_nc_u32_e32 v45, v43, v51
	v_add_nc_u32_e32 v47, v44, v51
	ds_read_b64 v[41:42], v16 offset:8192
	ds_read_b64 v[43:44], v17 offset:10240
	;; [unrolled: 1-line block ×4, first 2 shown]
	v_add_nc_u32_e32 v17, v52, v51
	v_and_b32_e32 v52, 0x3f8, v22
	v_add_nc_u32_e32 v16, v49, v51
	v_add_nc_u32_e32 v49, v53, v51
	v_and_b32_e32 v53, 0x3f8, v21
	v_and_b32_e32 v54, 0x3f8, v20
	;; [unrolled: 1-line block ×4, first 2 shown]
	v_add_nc_u32_e32 v58, v52, v51
	v_add_nc_u32_e32 v60, v53, v51
	;; [unrolled: 1-line block ×5, first 2 shown]
	ds_read_b64 v[52:53], v16 offset:16384
	ds_read_b64 v[54:55], v17 offset:18432
	;; [unrolled: 1-line block ×8, first 2 shown]
	v_add_co_u32 v49, s5, s0, v50
	v_add_co_ci_u32_e64 v70, null, s1, 0, s5
	v_add_co_u32 v71, s5, s2, v50
	s_waitcnt lgkmcnt(15)
	global_store_dword v50, v26, s[0:1]
	global_store_dword v50, v27, s[2:3]
	s_waitcnt lgkmcnt(14)
	global_store_dword v50, v28, s[0:1] offset:1024
	global_store_dword v50, v29, s[2:3] offset:1024
	v_add_co_u32 v26, vcc_lo, 0x800, v49
	v_add_co_ci_u32_e64 v72, null, s3, 0, s5
	v_add_co_ci_u32_e64 v27, null, 0, v70, vcc_lo
	v_add_co_u32 v28, vcc_lo, v49, 0x1000
	v_add_co_ci_u32_e64 v29, null, 0, v70, vcc_lo
	v_add_co_u32 v66, vcc_lo, v71, 0x1000
	;; [unrolled: 2-line block ×3, first 2 shown]
	v_add_co_ci_u32_e64 v69, null, 0, v72, vcc_lo
	s_waitcnt lgkmcnt(13)
	global_store_dword v[28:29], v30, off offset:-2048
	global_store_dword v[66:67], v31, off offset:-2048
	s_waitcnt lgkmcnt(12)
	global_store_dword v[26:27], v32, off offset:1024
	global_store_dword v[68:69], v33, off offset:1024
	v_add_co_u32 v26, vcc_lo, 0x1000, v49
	v_add_co_ci_u32_e64 v27, null, 0, v70, vcc_lo
	s_waitcnt lgkmcnt(11)
	global_store_dword v[28:29], v41, off
	v_add_co_u32 v28, vcc_lo, 0x1000, v71
	v_add_co_ci_u32_e64 v29, null, 0, v72, vcc_lo
	global_store_dword v[66:67], v42, off
	s_waitcnt lgkmcnt(10)
	global_store_dword v[26:27], v43, off offset:1024
	v_add_co_u32 v26, vcc_lo, 0x1800, v49
	v_add_co_ci_u32_e64 v27, null, 0, v70, vcc_lo
	v_add_co_u32 v30, vcc_lo, v49, 0x2000
	v_add_co_ci_u32_e64 v31, null, 0, v70, vcc_lo
	;; [unrolled: 2-line block ×4, first 2 shown]
	global_store_dword v[28:29], v44, off offset:1024
	s_waitcnt lgkmcnt(9)
	global_store_dword v[30:31], v45, off offset:-2048
	global_store_dword v[32:33], v46, off offset:-2048
	s_waitcnt lgkmcnt(8)
	global_store_dword v[26:27], v47, off offset:1024
	global_store_dword v[41:42], v48, off offset:1024
	v_add_co_u32 v26, vcc_lo, 0x2000, v49
	v_add_co_ci_u32_e64 v27, null, 0, v70, vcc_lo
	v_add_co_u32 v28, vcc_lo, 0x2000, v71
	s_waitcnt lgkmcnt(7)
	global_store_dword v[30:31], v52, off
	v_add_co_ci_u32_e64 v29, null, 0, v72, vcc_lo
	global_store_dword v[32:33], v53, off
	s_waitcnt lgkmcnt(6)
	global_store_dword v[26:27], v54, off offset:1024
	v_add_co_u32 v26, vcc_lo, 0x2800, v49
	v_add_co_ci_u32_e64 v27, null, 0, v70, vcc_lo
	v_add_co_u32 v30, vcc_lo, v49, 0x3000
	v_add_co_ci_u32_e64 v31, null, 0, v70, vcc_lo
	;; [unrolled: 2-line block ×4, first 2 shown]
	global_store_dword v[28:29], v55, off offset:1024
	s_waitcnt lgkmcnt(5)
	global_store_dword v[30:31], v56, off offset:-2048
	global_store_dword v[32:33], v57, off offset:-2048
	s_waitcnt lgkmcnt(4)
	global_store_dword v[26:27], v58, off offset:1024
	global_store_dword v[41:42], v59, off offset:1024
	v_add_co_u32 v26, vcc_lo, 0x3000, v49
	v_add_co_ci_u32_e64 v27, null, 0, v70, vcc_lo
	v_add_co_u32 v28, vcc_lo, 0x3000, v71
	s_waitcnt lgkmcnt(3)
	global_store_dword v[30:31], v60, off
	v_add_co_ci_u32_e64 v29, null, 0, v72, vcc_lo
	v_add_co_u32 v30, vcc_lo, 0x3800, v49
	global_store_dword v[32:33], v61, off
	v_add_co_ci_u32_e64 v31, null, 0, v70, vcc_lo
	v_add_co_u32 v32, vcc_lo, 0x3800, v71
	v_add_co_ci_u32_e64 v33, null, 0, v72, vcc_lo
	s_waitcnt lgkmcnt(2)
	global_store_dword v[26:27], v62, off offset:1024
	global_store_dword v[28:29], v63, off offset:1024
	s_waitcnt lgkmcnt(1)
	global_store_dword v[30:31], v64, off
	s_mov_b32 s21, -1
	global_store_dword v[32:33], v65, off
	s_cbranch_execz .LBB260_109
	s_branch .LBB260_126
.LBB260_108:
                                        ; implicit-def: $vgpr17
.LBB260_109:
	s_waitcnt lgkmcnt(0)
	v_and_b32_e32 v16, 0x78, v40
	v_and_b32_e32 v17, 0xf8, v39
	;; [unrolled: 1-line block ×5, first 2 shown]
	v_add_nc_u32_e32 v16, v16, v51
	v_add_nc_u32_e32 v17, v17, v51
	v_and_b32_e32 v29, 0x1f8, v35
	v_add_nc_u32_e32 v26, v26, v51
	v_and_b32_e32 v30, 0x1f8, v34
	;; [unrolled: 2-line block ×3, first 2 shown]
	s_barrier
	s_waitcnt_vscnt null, 0x0
	buffer_gl0_inv
	ds_read_b64 v[48:49], v16 offset:2048
	ds_read_b64 v[46:47], v17 offset:4096
	;; [unrolled: 1-line block ×4, first 2 shown]
	v_add_nc_u32_e32 v16, v28, v51
	v_and_b32_e32 v24, 0x3f8, v24
	v_add_nc_u32_e32 v17, v29, v51
	v_and_b32_e32 v23, 0x3f8, v23
	;; [unrolled: 2-line block ×4, first 2 shown]
	v_and_b32_e32 v20, 0x3f8, v20
	v_and_b32_e32 v19, 0x3f8, v19
	ds_read_b64 v[40:41], v16 offset:10240
	ds_read_b64 v[38:39], v17 offset:12288
	;; [unrolled: 1-line block ×4, first 2 shown]
	v_add_nc_u32_e32 v16, v24, v51
	v_and_b32_e32 v18, 0x3f8, v18
	v_add_nc_u32_e32 v17, v23, v51
	v_add_nc_u32_e32 v22, v22, v51
	;; [unrolled: 1-line block ×6, first 2 shown]
	ds_read_b64 v[34:35], v16 offset:18432
	ds_read_b64 v[30:31], v17 offset:20480
	;; [unrolled: 1-line block ×7, first 2 shown]
	v_add_co_u32 v22, s5, s0, v50
	v_add_co_ci_u32_e64 v23, null, s1, 0, s5
	v_add_co_u32 v20, s5, s2, v50
	v_add_co_ci_u32_e64 v21, null, s3, 0, s5
	s_mov_b32 s5, exec_lo
	v_cmpx_gt_u32_e64 s4, v0
	s_cbranch_execnz .LBB260_129
; %bb.110:
	s_or_b32 exec_lo, exec_lo, s5
	s_mov_b32 s5, exec_lo
	v_cmpx_gt_u32_e64 s4, v1
	s_cbranch_execnz .LBB260_130
.LBB260_111:
	s_or_b32 exec_lo, exec_lo, s5
	s_mov_b32 s5, exec_lo
	v_cmpx_gt_u32_e64 s4, v2
	s_cbranch_execnz .LBB260_131
.LBB260_112:
	s_or_b32 exec_lo, exec_lo, s5
	s_mov_b32 s5, exec_lo
	v_cmpx_gt_u32_e64 s4, v3
	s_cbranch_execnz .LBB260_132
.LBB260_113:
	s_or_b32 exec_lo, exec_lo, s5
	s_mov_b32 s5, exec_lo
	v_cmpx_gt_u32_e64 s4, v4
	s_cbranch_execnz .LBB260_133
.LBB260_114:
	s_or_b32 exec_lo, exec_lo, s5
	s_mov_b32 s5, exec_lo
	v_cmpx_gt_u32_e64 s4, v5
	s_cbranch_execnz .LBB260_134
.LBB260_115:
	s_or_b32 exec_lo, exec_lo, s5
	s_mov_b32 s5, exec_lo
	v_cmpx_gt_u32_e64 s4, v6
	s_cbranch_execnz .LBB260_135
.LBB260_116:
	s_or_b32 exec_lo, exec_lo, s5
	s_mov_b32 s5, exec_lo
	v_cmpx_gt_u32_e64 s4, v7
	s_cbranch_execnz .LBB260_136
.LBB260_117:
	s_or_b32 exec_lo, exec_lo, s5
	s_mov_b32 s5, exec_lo
	v_cmpx_gt_u32_e64 s4, v8
	s_cbranch_execnz .LBB260_137
.LBB260_118:
	s_or_b32 exec_lo, exec_lo, s5
	s_mov_b32 s5, exec_lo
	v_cmpx_gt_u32_e64 s4, v9
	s_cbranch_execnz .LBB260_138
.LBB260_119:
	s_or_b32 exec_lo, exec_lo, s5
	s_mov_b32 s5, exec_lo
	v_cmpx_gt_u32_e64 s4, v10
	s_cbranch_execnz .LBB260_139
.LBB260_120:
	s_or_b32 exec_lo, exec_lo, s5
	s_mov_b32 s5, exec_lo
	v_cmpx_gt_u32_e64 s4, v11
	s_cbranch_execnz .LBB260_140
.LBB260_121:
	s_or_b32 exec_lo, exec_lo, s5
	s_mov_b32 s5, exec_lo
	v_cmpx_gt_u32_e64 s4, v12
	s_cbranch_execnz .LBB260_141
.LBB260_122:
	s_or_b32 exec_lo, exec_lo, s5
	s_mov_b32 s5, exec_lo
	v_cmpx_gt_u32_e64 s4, v13
	s_cbranch_execnz .LBB260_142
.LBB260_123:
	s_or_b32 exec_lo, exec_lo, s5
	s_mov_b32 s5, exec_lo
	v_cmpx_gt_u32_e64 s4, v14
	s_cbranch_execz .LBB260_125
.LBB260_124:
	v_add_co_u32 v0, vcc_lo, 0x3800, v22
	v_add_co_ci_u32_e64 v1, null, 0, v23, vcc_lo
	v_add_co_u32 v2, vcc_lo, 0x3800, v20
	v_add_co_ci_u32_e64 v3, null, 0, v21, vcc_lo
	s_waitcnt lgkmcnt(1)
	global_store_dword v[0:1], v18, off
	global_store_dword v[2:3], v19, off
.LBB260_125:
	s_or_b32 exec_lo, exec_lo, s5
	v_cmp_gt_u32_e64 s21, s4, v15
.LBB260_126:
	s_and_saveexec_b32 s4, s21
	s_cbranch_execnz .LBB260_128
; %bb.127:
	s_endpgm
.LBB260_128:
	v_add_co_u32 v0, s0, s0, v50
	v_add_co_ci_u32_e64 v1, null, s1, 0, s0
	v_add_co_u32 v2, s0, s2, v50
	v_add_co_ci_u32_e64 v3, null, s3, 0, s0
	v_add_co_u32 v0, vcc_lo, 0x3800, v0
	v_add_co_ci_u32_e64 v1, null, 0, v1, vcc_lo
	v_add_co_u32 v2, vcc_lo, 0x3800, v2
	v_add_co_ci_u32_e64 v3, null, 0, v3, vcc_lo
	s_waitcnt lgkmcnt(0)
	global_store_dword v[0:1], v16, off offset:1024
	global_store_dword v[2:3], v17, off offset:1024
	s_endpgm
.LBB260_129:
	v_lshrrev_b32_e32 v51, 2, v0
	v_and_b32_e32 v51, 56, v51
	v_lshl_add_u32 v0, v0, 3, v51
	ds_read_b64 v[51:52], v0
	s_waitcnt lgkmcnt(0)
	global_store_dword v[22:23], v51, off
	global_store_dword v[20:21], v52, off
	s_or_b32 exec_lo, exec_lo, s5
	s_mov_b32 s5, exec_lo
	v_cmpx_gt_u32_e64 s4, v1
	s_cbranch_execz .LBB260_111
.LBB260_130:
	s_waitcnt lgkmcnt(14)
	global_store_dword v[22:23], v48, off offset:1024
	global_store_dword v[20:21], v49, off offset:1024
	s_or_b32 exec_lo, exec_lo, s5
	s_mov_b32 s5, exec_lo
	v_cmpx_gt_u32_e64 s4, v2
	s_cbranch_execz .LBB260_112
.LBB260_131:
	v_add_co_u32 v0, vcc_lo, 0x800, v22
	v_add_co_ci_u32_e64 v1, null, 0, v23, vcc_lo
	s_waitcnt lgkmcnt(14)
	v_add_co_u32 v48, vcc_lo, 0x800, v20
	v_add_co_ci_u32_e64 v49, null, 0, v21, vcc_lo
	s_waitcnt lgkmcnt(13)
	global_store_dword v[0:1], v46, off
	global_store_dword v[48:49], v47, off
	s_or_b32 exec_lo, exec_lo, s5
	s_mov_b32 s5, exec_lo
	v_cmpx_gt_u32_e64 s4, v3
	s_cbranch_execz .LBB260_113
.LBB260_132:
	v_add_co_u32 v0, vcc_lo, 0x800, v22
	v_add_co_ci_u32_e64 v1, null, 0, v23, vcc_lo
	v_add_co_u32 v2, vcc_lo, 0x800, v20
	v_add_co_ci_u32_e64 v3, null, 0, v21, vcc_lo
	s_waitcnt lgkmcnt(12)
	global_store_dword v[0:1], v44, off offset:1024
	global_store_dword v[2:3], v45, off offset:1024
	s_or_b32 exec_lo, exec_lo, s5
	s_mov_b32 s5, exec_lo
	v_cmpx_gt_u32_e64 s4, v4
	s_cbranch_execz .LBB260_114
.LBB260_133:
	v_add_co_u32 v0, vcc_lo, 0x1000, v22
	v_add_co_ci_u32_e64 v1, null, 0, v23, vcc_lo
	v_add_co_u32 v2, vcc_lo, 0x1000, v20
	v_add_co_ci_u32_e64 v3, null, 0, v21, vcc_lo
	s_waitcnt lgkmcnt(11)
	global_store_dword v[0:1], v42, off
	global_store_dword v[2:3], v43, off
	s_or_b32 exec_lo, exec_lo, s5
	s_mov_b32 s5, exec_lo
	v_cmpx_gt_u32_e64 s4, v5
	s_cbranch_execz .LBB260_115
.LBB260_134:
	v_add_co_u32 v0, vcc_lo, 0x1000, v22
	v_add_co_ci_u32_e64 v1, null, 0, v23, vcc_lo
	v_add_co_u32 v2, vcc_lo, 0x1000, v20
	v_add_co_ci_u32_e64 v3, null, 0, v21, vcc_lo
	s_waitcnt lgkmcnt(10)
	global_store_dword v[0:1], v40, off offset:1024
	global_store_dword v[2:3], v41, off offset:1024
	s_or_b32 exec_lo, exec_lo, s5
	s_mov_b32 s5, exec_lo
	v_cmpx_gt_u32_e64 s4, v6
	s_cbranch_execz .LBB260_116
.LBB260_135:
	v_add_co_u32 v0, vcc_lo, 0x1800, v22
	v_add_co_ci_u32_e64 v1, null, 0, v23, vcc_lo
	v_add_co_u32 v2, vcc_lo, 0x1800, v20
	v_add_co_ci_u32_e64 v3, null, 0, v21, vcc_lo
	s_waitcnt lgkmcnt(9)
	global_store_dword v[0:1], v38, off
	global_store_dword v[2:3], v39, off
	s_or_b32 exec_lo, exec_lo, s5
	s_mov_b32 s5, exec_lo
	v_cmpx_gt_u32_e64 s4, v7
	s_cbranch_execz .LBB260_117
.LBB260_136:
	v_add_co_u32 v0, vcc_lo, 0x1800, v22
	v_add_co_ci_u32_e64 v1, null, 0, v23, vcc_lo
	v_add_co_u32 v2, vcc_lo, 0x1800, v20
	v_add_co_ci_u32_e64 v3, null, 0, v21, vcc_lo
	s_waitcnt lgkmcnt(8)
	global_store_dword v[0:1], v36, off offset:1024
	global_store_dword v[2:3], v37, off offset:1024
	s_or_b32 exec_lo, exec_lo, s5
	s_mov_b32 s5, exec_lo
	v_cmpx_gt_u32_e64 s4, v8
	s_cbranch_execz .LBB260_118
.LBB260_137:
	v_add_co_u32 v0, vcc_lo, 0x2000, v22
	v_add_co_ci_u32_e64 v1, null, 0, v23, vcc_lo
	v_add_co_u32 v2, vcc_lo, 0x2000, v20
	v_add_co_ci_u32_e64 v3, null, 0, v21, vcc_lo
	s_waitcnt lgkmcnt(7)
	global_store_dword v[0:1], v32, off
	global_store_dword v[2:3], v33, off
	s_or_b32 exec_lo, exec_lo, s5
	s_mov_b32 s5, exec_lo
	v_cmpx_gt_u32_e64 s4, v9
	s_cbranch_execz .LBB260_119
.LBB260_138:
	v_add_co_u32 v0, vcc_lo, 0x2000, v22
	v_add_co_ci_u32_e64 v1, null, 0, v23, vcc_lo
	v_add_co_u32 v2, vcc_lo, 0x2000, v20
	v_add_co_ci_u32_e64 v3, null, 0, v21, vcc_lo
	s_waitcnt lgkmcnt(6)
	global_store_dword v[0:1], v34, off offset:1024
	global_store_dword v[2:3], v35, off offset:1024
	s_or_b32 exec_lo, exec_lo, s5
	s_mov_b32 s5, exec_lo
	v_cmpx_gt_u32_e64 s4, v10
	s_cbranch_execz .LBB260_120
.LBB260_139:
	v_add_co_u32 v0, vcc_lo, 0x2800, v22
	v_add_co_ci_u32_e64 v1, null, 0, v23, vcc_lo
	v_add_co_u32 v2, vcc_lo, 0x2800, v20
	v_add_co_ci_u32_e64 v3, null, 0, v21, vcc_lo
	s_waitcnt lgkmcnt(5)
	global_store_dword v[0:1], v30, off
	global_store_dword v[2:3], v31, off
	s_or_b32 exec_lo, exec_lo, s5
	s_mov_b32 s5, exec_lo
	v_cmpx_gt_u32_e64 s4, v11
	s_cbranch_execz .LBB260_121
.LBB260_140:
	v_add_co_u32 v0, vcc_lo, 0x2800, v22
	v_add_co_ci_u32_e64 v1, null, 0, v23, vcc_lo
	v_add_co_u32 v2, vcc_lo, 0x2800, v20
	v_add_co_ci_u32_e64 v3, null, 0, v21, vcc_lo
	s_waitcnt lgkmcnt(4)
	global_store_dword v[0:1], v28, off offset:1024
	global_store_dword v[2:3], v29, off offset:1024
	s_or_b32 exec_lo, exec_lo, s5
	s_mov_b32 s5, exec_lo
	v_cmpx_gt_u32_e64 s4, v12
	s_cbranch_execz .LBB260_122
.LBB260_141:
	v_add_co_u32 v0, vcc_lo, 0x3000, v22
	v_add_co_ci_u32_e64 v1, null, 0, v23, vcc_lo
	v_add_co_u32 v2, vcc_lo, 0x3000, v20
	v_add_co_ci_u32_e64 v3, null, 0, v21, vcc_lo
	s_waitcnt lgkmcnt(3)
	global_store_dword v[0:1], v26, off
	global_store_dword v[2:3], v27, off
	s_or_b32 exec_lo, exec_lo, s5
	s_mov_b32 s5, exec_lo
	v_cmpx_gt_u32_e64 s4, v13
	s_cbranch_execz .LBB260_123
.LBB260_142:
	v_add_co_u32 v0, vcc_lo, 0x3000, v22
	v_add_co_ci_u32_e64 v1, null, 0, v23, vcc_lo
	v_add_co_u32 v2, vcc_lo, 0x3000, v20
	v_add_co_ci_u32_e64 v3, null, 0, v21, vcc_lo
	s_waitcnt lgkmcnt(2)
	global_store_dword v[0:1], v24, off offset:1024
	global_store_dword v[2:3], v25, off offset:1024
	s_or_b32 exec_lo, exec_lo, s5
	s_mov_b32 s5, exec_lo
	v_cmpx_gt_u32_e64 s4, v14
	s_cbranch_execnz .LBB260_124
	s_branch .LBB260_125
	.section	.rodata,"a",@progbits
	.p2align	6, 0x0
	.amdhsa_kernel _ZN7rocprim17ROCPRIM_400000_NS6detail17trampoline_kernelINS0_14default_configENS1_21merge_config_selectorINS0_5tupleIJiiEEENS0_10empty_typeEEEZNS1_10merge_implIS3_NS0_12zip_iteratorINS5_IJN6thrust23THRUST_200600_302600_NS6detail15normal_iteratorINSC_10device_ptrIKiEEEESI_EEEEESK_NSA_INS5_IJNSE_INSF_IiEEEESM_EEEEEPS7_SP_SP_NSC_11hip_rocprim7__merge17predicate_wrapperIiiNSC_4lessIiEEEEEE10hipError_tPvRmT0_T1_T2_T3_T4_T5_mmT6_P12ihipStream_tbEUlT_E0_NS1_11comp_targetILNS1_3genE8ELNS1_11target_archE1030ELNS1_3gpuE2ELNS1_3repE0EEENS1_30default_config_static_selectorELNS0_4arch9wavefront6targetE0EEEvS10_
		.amdhsa_group_segment_fixed_size 33792
		.amdhsa_private_segment_fixed_size 0
		.amdhsa_kernarg_size 112
		.amdhsa_user_sgpr_count 6
		.amdhsa_user_sgpr_private_segment_buffer 1
		.amdhsa_user_sgpr_dispatch_ptr 0
		.amdhsa_user_sgpr_queue_ptr 0
		.amdhsa_user_sgpr_kernarg_segment_ptr 1
		.amdhsa_user_sgpr_dispatch_id 0
		.amdhsa_user_sgpr_flat_scratch_init 0
		.amdhsa_user_sgpr_private_segment_size 0
		.amdhsa_wavefront_size32 1
		.amdhsa_uses_dynamic_stack 0
		.amdhsa_system_sgpr_private_segment_wavefront_offset 0
		.amdhsa_system_sgpr_workgroup_id_x 1
		.amdhsa_system_sgpr_workgroup_id_y 0
		.amdhsa_system_sgpr_workgroup_id_z 0
		.amdhsa_system_sgpr_workgroup_info 0
		.amdhsa_system_vgpr_workitem_id 0
		.amdhsa_next_free_vgpr 145
		.amdhsa_next_free_sgpr 28
		.amdhsa_reserve_vcc 1
		.amdhsa_reserve_flat_scratch 0
		.amdhsa_float_round_mode_32 0
		.amdhsa_float_round_mode_16_64 0
		.amdhsa_float_denorm_mode_32 3
		.amdhsa_float_denorm_mode_16_64 3
		.amdhsa_dx10_clamp 1
		.amdhsa_ieee_mode 1
		.amdhsa_fp16_overflow 0
		.amdhsa_workgroup_processor_mode 1
		.amdhsa_memory_ordered 1
		.amdhsa_forward_progress 1
		.amdhsa_shared_vgpr_count 0
		.amdhsa_exception_fp_ieee_invalid_op 0
		.amdhsa_exception_fp_denorm_src 0
		.amdhsa_exception_fp_ieee_div_zero 0
		.amdhsa_exception_fp_ieee_overflow 0
		.amdhsa_exception_fp_ieee_underflow 0
		.amdhsa_exception_fp_ieee_inexact 0
		.amdhsa_exception_int_div_zero 0
	.end_amdhsa_kernel
	.section	.text._ZN7rocprim17ROCPRIM_400000_NS6detail17trampoline_kernelINS0_14default_configENS1_21merge_config_selectorINS0_5tupleIJiiEEENS0_10empty_typeEEEZNS1_10merge_implIS3_NS0_12zip_iteratorINS5_IJN6thrust23THRUST_200600_302600_NS6detail15normal_iteratorINSC_10device_ptrIKiEEEESI_EEEEESK_NSA_INS5_IJNSE_INSF_IiEEEESM_EEEEEPS7_SP_SP_NSC_11hip_rocprim7__merge17predicate_wrapperIiiNSC_4lessIiEEEEEE10hipError_tPvRmT0_T1_T2_T3_T4_T5_mmT6_P12ihipStream_tbEUlT_E0_NS1_11comp_targetILNS1_3genE8ELNS1_11target_archE1030ELNS1_3gpuE2ELNS1_3repE0EEENS1_30default_config_static_selectorELNS0_4arch9wavefront6targetE0EEEvS10_,"axG",@progbits,_ZN7rocprim17ROCPRIM_400000_NS6detail17trampoline_kernelINS0_14default_configENS1_21merge_config_selectorINS0_5tupleIJiiEEENS0_10empty_typeEEEZNS1_10merge_implIS3_NS0_12zip_iteratorINS5_IJN6thrust23THRUST_200600_302600_NS6detail15normal_iteratorINSC_10device_ptrIKiEEEESI_EEEEESK_NSA_INS5_IJNSE_INSF_IiEEEESM_EEEEEPS7_SP_SP_NSC_11hip_rocprim7__merge17predicate_wrapperIiiNSC_4lessIiEEEEEE10hipError_tPvRmT0_T1_T2_T3_T4_T5_mmT6_P12ihipStream_tbEUlT_E0_NS1_11comp_targetILNS1_3genE8ELNS1_11target_archE1030ELNS1_3gpuE2ELNS1_3repE0EEENS1_30default_config_static_selectorELNS0_4arch9wavefront6targetE0EEEvS10_,comdat
.Lfunc_end260:
	.size	_ZN7rocprim17ROCPRIM_400000_NS6detail17trampoline_kernelINS0_14default_configENS1_21merge_config_selectorINS0_5tupleIJiiEEENS0_10empty_typeEEEZNS1_10merge_implIS3_NS0_12zip_iteratorINS5_IJN6thrust23THRUST_200600_302600_NS6detail15normal_iteratorINSC_10device_ptrIKiEEEESI_EEEEESK_NSA_INS5_IJNSE_INSF_IiEEEESM_EEEEEPS7_SP_SP_NSC_11hip_rocprim7__merge17predicate_wrapperIiiNSC_4lessIiEEEEEE10hipError_tPvRmT0_T1_T2_T3_T4_T5_mmT6_P12ihipStream_tbEUlT_E0_NS1_11comp_targetILNS1_3genE8ELNS1_11target_archE1030ELNS1_3gpuE2ELNS1_3repE0EEENS1_30default_config_static_selectorELNS0_4arch9wavefront6targetE0EEEvS10_, .Lfunc_end260-_ZN7rocprim17ROCPRIM_400000_NS6detail17trampoline_kernelINS0_14default_configENS1_21merge_config_selectorINS0_5tupleIJiiEEENS0_10empty_typeEEEZNS1_10merge_implIS3_NS0_12zip_iteratorINS5_IJN6thrust23THRUST_200600_302600_NS6detail15normal_iteratorINSC_10device_ptrIKiEEEESI_EEEEESK_NSA_INS5_IJNSE_INSF_IiEEEESM_EEEEEPS7_SP_SP_NSC_11hip_rocprim7__merge17predicate_wrapperIiiNSC_4lessIiEEEEEE10hipError_tPvRmT0_T1_T2_T3_T4_T5_mmT6_P12ihipStream_tbEUlT_E0_NS1_11comp_targetILNS1_3genE8ELNS1_11target_archE1030ELNS1_3gpuE2ELNS1_3repE0EEENS1_30default_config_static_selectorELNS0_4arch9wavefront6targetE0EEEvS10_
                                        ; -- End function
	.set _ZN7rocprim17ROCPRIM_400000_NS6detail17trampoline_kernelINS0_14default_configENS1_21merge_config_selectorINS0_5tupleIJiiEEENS0_10empty_typeEEEZNS1_10merge_implIS3_NS0_12zip_iteratorINS5_IJN6thrust23THRUST_200600_302600_NS6detail15normal_iteratorINSC_10device_ptrIKiEEEESI_EEEEESK_NSA_INS5_IJNSE_INSF_IiEEEESM_EEEEEPS7_SP_SP_NSC_11hip_rocprim7__merge17predicate_wrapperIiiNSC_4lessIiEEEEEE10hipError_tPvRmT0_T1_T2_T3_T4_T5_mmT6_P12ihipStream_tbEUlT_E0_NS1_11comp_targetILNS1_3genE8ELNS1_11target_archE1030ELNS1_3gpuE2ELNS1_3repE0EEENS1_30default_config_static_selectorELNS0_4arch9wavefront6targetE0EEEvS10_.num_vgpr, 73
	.set _ZN7rocprim17ROCPRIM_400000_NS6detail17trampoline_kernelINS0_14default_configENS1_21merge_config_selectorINS0_5tupleIJiiEEENS0_10empty_typeEEEZNS1_10merge_implIS3_NS0_12zip_iteratorINS5_IJN6thrust23THRUST_200600_302600_NS6detail15normal_iteratorINSC_10device_ptrIKiEEEESI_EEEEESK_NSA_INS5_IJNSE_INSF_IiEEEESM_EEEEEPS7_SP_SP_NSC_11hip_rocprim7__merge17predicate_wrapperIiiNSC_4lessIiEEEEEE10hipError_tPvRmT0_T1_T2_T3_T4_T5_mmT6_P12ihipStream_tbEUlT_E0_NS1_11comp_targetILNS1_3genE8ELNS1_11target_archE1030ELNS1_3gpuE2ELNS1_3repE0EEENS1_30default_config_static_selectorELNS0_4arch9wavefront6targetE0EEEvS10_.num_agpr, 0
	.set _ZN7rocprim17ROCPRIM_400000_NS6detail17trampoline_kernelINS0_14default_configENS1_21merge_config_selectorINS0_5tupleIJiiEEENS0_10empty_typeEEEZNS1_10merge_implIS3_NS0_12zip_iteratorINS5_IJN6thrust23THRUST_200600_302600_NS6detail15normal_iteratorINSC_10device_ptrIKiEEEESI_EEEEESK_NSA_INS5_IJNSE_INSF_IiEEEESM_EEEEEPS7_SP_SP_NSC_11hip_rocprim7__merge17predicate_wrapperIiiNSC_4lessIiEEEEEE10hipError_tPvRmT0_T1_T2_T3_T4_T5_mmT6_P12ihipStream_tbEUlT_E0_NS1_11comp_targetILNS1_3genE8ELNS1_11target_archE1030ELNS1_3gpuE2ELNS1_3repE0EEENS1_30default_config_static_selectorELNS0_4arch9wavefront6targetE0EEEvS10_.numbered_sgpr, 28
	.set _ZN7rocprim17ROCPRIM_400000_NS6detail17trampoline_kernelINS0_14default_configENS1_21merge_config_selectorINS0_5tupleIJiiEEENS0_10empty_typeEEEZNS1_10merge_implIS3_NS0_12zip_iteratorINS5_IJN6thrust23THRUST_200600_302600_NS6detail15normal_iteratorINSC_10device_ptrIKiEEEESI_EEEEESK_NSA_INS5_IJNSE_INSF_IiEEEESM_EEEEEPS7_SP_SP_NSC_11hip_rocprim7__merge17predicate_wrapperIiiNSC_4lessIiEEEEEE10hipError_tPvRmT0_T1_T2_T3_T4_T5_mmT6_P12ihipStream_tbEUlT_E0_NS1_11comp_targetILNS1_3genE8ELNS1_11target_archE1030ELNS1_3gpuE2ELNS1_3repE0EEENS1_30default_config_static_selectorELNS0_4arch9wavefront6targetE0EEEvS10_.num_named_barrier, 0
	.set _ZN7rocprim17ROCPRIM_400000_NS6detail17trampoline_kernelINS0_14default_configENS1_21merge_config_selectorINS0_5tupleIJiiEEENS0_10empty_typeEEEZNS1_10merge_implIS3_NS0_12zip_iteratorINS5_IJN6thrust23THRUST_200600_302600_NS6detail15normal_iteratorINSC_10device_ptrIKiEEEESI_EEEEESK_NSA_INS5_IJNSE_INSF_IiEEEESM_EEEEEPS7_SP_SP_NSC_11hip_rocprim7__merge17predicate_wrapperIiiNSC_4lessIiEEEEEE10hipError_tPvRmT0_T1_T2_T3_T4_T5_mmT6_P12ihipStream_tbEUlT_E0_NS1_11comp_targetILNS1_3genE8ELNS1_11target_archE1030ELNS1_3gpuE2ELNS1_3repE0EEENS1_30default_config_static_selectorELNS0_4arch9wavefront6targetE0EEEvS10_.private_seg_size, 0
	.set _ZN7rocprim17ROCPRIM_400000_NS6detail17trampoline_kernelINS0_14default_configENS1_21merge_config_selectorINS0_5tupleIJiiEEENS0_10empty_typeEEEZNS1_10merge_implIS3_NS0_12zip_iteratorINS5_IJN6thrust23THRUST_200600_302600_NS6detail15normal_iteratorINSC_10device_ptrIKiEEEESI_EEEEESK_NSA_INS5_IJNSE_INSF_IiEEEESM_EEEEEPS7_SP_SP_NSC_11hip_rocprim7__merge17predicate_wrapperIiiNSC_4lessIiEEEEEE10hipError_tPvRmT0_T1_T2_T3_T4_T5_mmT6_P12ihipStream_tbEUlT_E0_NS1_11comp_targetILNS1_3genE8ELNS1_11target_archE1030ELNS1_3gpuE2ELNS1_3repE0EEENS1_30default_config_static_selectorELNS0_4arch9wavefront6targetE0EEEvS10_.uses_vcc, 1
	.set _ZN7rocprim17ROCPRIM_400000_NS6detail17trampoline_kernelINS0_14default_configENS1_21merge_config_selectorINS0_5tupleIJiiEEENS0_10empty_typeEEEZNS1_10merge_implIS3_NS0_12zip_iteratorINS5_IJN6thrust23THRUST_200600_302600_NS6detail15normal_iteratorINSC_10device_ptrIKiEEEESI_EEEEESK_NSA_INS5_IJNSE_INSF_IiEEEESM_EEEEEPS7_SP_SP_NSC_11hip_rocprim7__merge17predicate_wrapperIiiNSC_4lessIiEEEEEE10hipError_tPvRmT0_T1_T2_T3_T4_T5_mmT6_P12ihipStream_tbEUlT_E0_NS1_11comp_targetILNS1_3genE8ELNS1_11target_archE1030ELNS1_3gpuE2ELNS1_3repE0EEENS1_30default_config_static_selectorELNS0_4arch9wavefront6targetE0EEEvS10_.uses_flat_scratch, 0
	.set _ZN7rocprim17ROCPRIM_400000_NS6detail17trampoline_kernelINS0_14default_configENS1_21merge_config_selectorINS0_5tupleIJiiEEENS0_10empty_typeEEEZNS1_10merge_implIS3_NS0_12zip_iteratorINS5_IJN6thrust23THRUST_200600_302600_NS6detail15normal_iteratorINSC_10device_ptrIKiEEEESI_EEEEESK_NSA_INS5_IJNSE_INSF_IiEEEESM_EEEEEPS7_SP_SP_NSC_11hip_rocprim7__merge17predicate_wrapperIiiNSC_4lessIiEEEEEE10hipError_tPvRmT0_T1_T2_T3_T4_T5_mmT6_P12ihipStream_tbEUlT_E0_NS1_11comp_targetILNS1_3genE8ELNS1_11target_archE1030ELNS1_3gpuE2ELNS1_3repE0EEENS1_30default_config_static_selectorELNS0_4arch9wavefront6targetE0EEEvS10_.has_dyn_sized_stack, 0
	.set _ZN7rocprim17ROCPRIM_400000_NS6detail17trampoline_kernelINS0_14default_configENS1_21merge_config_selectorINS0_5tupleIJiiEEENS0_10empty_typeEEEZNS1_10merge_implIS3_NS0_12zip_iteratorINS5_IJN6thrust23THRUST_200600_302600_NS6detail15normal_iteratorINSC_10device_ptrIKiEEEESI_EEEEESK_NSA_INS5_IJNSE_INSF_IiEEEESM_EEEEEPS7_SP_SP_NSC_11hip_rocprim7__merge17predicate_wrapperIiiNSC_4lessIiEEEEEE10hipError_tPvRmT0_T1_T2_T3_T4_T5_mmT6_P12ihipStream_tbEUlT_E0_NS1_11comp_targetILNS1_3genE8ELNS1_11target_archE1030ELNS1_3gpuE2ELNS1_3repE0EEENS1_30default_config_static_selectorELNS0_4arch9wavefront6targetE0EEEvS10_.has_recursion, 0
	.set _ZN7rocprim17ROCPRIM_400000_NS6detail17trampoline_kernelINS0_14default_configENS1_21merge_config_selectorINS0_5tupleIJiiEEENS0_10empty_typeEEEZNS1_10merge_implIS3_NS0_12zip_iteratorINS5_IJN6thrust23THRUST_200600_302600_NS6detail15normal_iteratorINSC_10device_ptrIKiEEEESI_EEEEESK_NSA_INS5_IJNSE_INSF_IiEEEESM_EEEEEPS7_SP_SP_NSC_11hip_rocprim7__merge17predicate_wrapperIiiNSC_4lessIiEEEEEE10hipError_tPvRmT0_T1_T2_T3_T4_T5_mmT6_P12ihipStream_tbEUlT_E0_NS1_11comp_targetILNS1_3genE8ELNS1_11target_archE1030ELNS1_3gpuE2ELNS1_3repE0EEENS1_30default_config_static_selectorELNS0_4arch9wavefront6targetE0EEEvS10_.has_indirect_call, 0
	.section	.AMDGPU.csdata,"",@progbits
; Kernel info:
; codeLenInByte = 8104
; TotalNumSgprs: 30
; NumVgprs: 73
; ScratchSize: 0
; MemoryBound: 0
; FloatMode: 240
; IeeeMode: 1
; LDSByteSize: 33792 bytes/workgroup (compile time only)
; SGPRBlocks: 0
; VGPRBlocks: 18
; NumSGPRsForWavesPerEU: 30
; NumVGPRsForWavesPerEU: 145
; Occupancy: 6
; WaveLimiterHint : 1
; COMPUTE_PGM_RSRC2:SCRATCH_EN: 0
; COMPUTE_PGM_RSRC2:USER_SGPR: 6
; COMPUTE_PGM_RSRC2:TRAP_HANDLER: 0
; COMPUTE_PGM_RSRC2:TGID_X_EN: 1
; COMPUTE_PGM_RSRC2:TGID_Y_EN: 0
; COMPUTE_PGM_RSRC2:TGID_Z_EN: 0
; COMPUTE_PGM_RSRC2:TIDIG_COMP_CNT: 0
	.section	.text._ZN7rocprim17ROCPRIM_400000_NS6detail17trampoline_kernelINS0_14default_configENS1_22reduce_config_selectorIN6thrust23THRUST_200600_302600_NS5tupleIblNS6_9null_typeES8_S8_S8_S8_S8_S8_S8_EEEEZNS1_11reduce_implILb1ES3_NS6_12zip_iteratorINS7_INS6_11hip_rocprim26transform_input_iterator_tIbNSD_35transform_pair_of_input_iterators_tIbNS6_6detail15normal_iteratorINS6_10device_ptrIKiEEEESL_NS6_8equal_toIiEEEENSG_9not_fun_tINSD_8identityEEEEENSD_19counting_iterator_tIlEES8_S8_S8_S8_S8_S8_S8_S8_EEEEPS9_S9_NSD_9__find_if7functorIS9_EEEE10hipError_tPvRmT1_T2_T3_mT4_P12ihipStream_tbEUlT_E0_NS1_11comp_targetILNS1_3genE0ELNS1_11target_archE4294967295ELNS1_3gpuE0ELNS1_3repE0EEENS1_30default_config_static_selectorELNS0_4arch9wavefront6targetE0EEEvS14_,"axG",@progbits,_ZN7rocprim17ROCPRIM_400000_NS6detail17trampoline_kernelINS0_14default_configENS1_22reduce_config_selectorIN6thrust23THRUST_200600_302600_NS5tupleIblNS6_9null_typeES8_S8_S8_S8_S8_S8_S8_EEEEZNS1_11reduce_implILb1ES3_NS6_12zip_iteratorINS7_INS6_11hip_rocprim26transform_input_iterator_tIbNSD_35transform_pair_of_input_iterators_tIbNS6_6detail15normal_iteratorINS6_10device_ptrIKiEEEESL_NS6_8equal_toIiEEEENSG_9not_fun_tINSD_8identityEEEEENSD_19counting_iterator_tIlEES8_S8_S8_S8_S8_S8_S8_S8_EEEEPS9_S9_NSD_9__find_if7functorIS9_EEEE10hipError_tPvRmT1_T2_T3_mT4_P12ihipStream_tbEUlT_E0_NS1_11comp_targetILNS1_3genE0ELNS1_11target_archE4294967295ELNS1_3gpuE0ELNS1_3repE0EEENS1_30default_config_static_selectorELNS0_4arch9wavefront6targetE0EEEvS14_,comdat
	.protected	_ZN7rocprim17ROCPRIM_400000_NS6detail17trampoline_kernelINS0_14default_configENS1_22reduce_config_selectorIN6thrust23THRUST_200600_302600_NS5tupleIblNS6_9null_typeES8_S8_S8_S8_S8_S8_S8_EEEEZNS1_11reduce_implILb1ES3_NS6_12zip_iteratorINS7_INS6_11hip_rocprim26transform_input_iterator_tIbNSD_35transform_pair_of_input_iterators_tIbNS6_6detail15normal_iteratorINS6_10device_ptrIKiEEEESL_NS6_8equal_toIiEEEENSG_9not_fun_tINSD_8identityEEEEENSD_19counting_iterator_tIlEES8_S8_S8_S8_S8_S8_S8_S8_EEEEPS9_S9_NSD_9__find_if7functorIS9_EEEE10hipError_tPvRmT1_T2_T3_mT4_P12ihipStream_tbEUlT_E0_NS1_11comp_targetILNS1_3genE0ELNS1_11target_archE4294967295ELNS1_3gpuE0ELNS1_3repE0EEENS1_30default_config_static_selectorELNS0_4arch9wavefront6targetE0EEEvS14_ ; -- Begin function _ZN7rocprim17ROCPRIM_400000_NS6detail17trampoline_kernelINS0_14default_configENS1_22reduce_config_selectorIN6thrust23THRUST_200600_302600_NS5tupleIblNS6_9null_typeES8_S8_S8_S8_S8_S8_S8_EEEEZNS1_11reduce_implILb1ES3_NS6_12zip_iteratorINS7_INS6_11hip_rocprim26transform_input_iterator_tIbNSD_35transform_pair_of_input_iterators_tIbNS6_6detail15normal_iteratorINS6_10device_ptrIKiEEEESL_NS6_8equal_toIiEEEENSG_9not_fun_tINSD_8identityEEEEENSD_19counting_iterator_tIlEES8_S8_S8_S8_S8_S8_S8_S8_EEEEPS9_S9_NSD_9__find_if7functorIS9_EEEE10hipError_tPvRmT1_T2_T3_mT4_P12ihipStream_tbEUlT_E0_NS1_11comp_targetILNS1_3genE0ELNS1_11target_archE4294967295ELNS1_3gpuE0ELNS1_3repE0EEENS1_30default_config_static_selectorELNS0_4arch9wavefront6targetE0EEEvS14_
	.globl	_ZN7rocprim17ROCPRIM_400000_NS6detail17trampoline_kernelINS0_14default_configENS1_22reduce_config_selectorIN6thrust23THRUST_200600_302600_NS5tupleIblNS6_9null_typeES8_S8_S8_S8_S8_S8_S8_EEEEZNS1_11reduce_implILb1ES3_NS6_12zip_iteratorINS7_INS6_11hip_rocprim26transform_input_iterator_tIbNSD_35transform_pair_of_input_iterators_tIbNS6_6detail15normal_iteratorINS6_10device_ptrIKiEEEESL_NS6_8equal_toIiEEEENSG_9not_fun_tINSD_8identityEEEEENSD_19counting_iterator_tIlEES8_S8_S8_S8_S8_S8_S8_S8_EEEEPS9_S9_NSD_9__find_if7functorIS9_EEEE10hipError_tPvRmT1_T2_T3_mT4_P12ihipStream_tbEUlT_E0_NS1_11comp_targetILNS1_3genE0ELNS1_11target_archE4294967295ELNS1_3gpuE0ELNS1_3repE0EEENS1_30default_config_static_selectorELNS0_4arch9wavefront6targetE0EEEvS14_
	.p2align	8
	.type	_ZN7rocprim17ROCPRIM_400000_NS6detail17trampoline_kernelINS0_14default_configENS1_22reduce_config_selectorIN6thrust23THRUST_200600_302600_NS5tupleIblNS6_9null_typeES8_S8_S8_S8_S8_S8_S8_EEEEZNS1_11reduce_implILb1ES3_NS6_12zip_iteratorINS7_INS6_11hip_rocprim26transform_input_iterator_tIbNSD_35transform_pair_of_input_iterators_tIbNS6_6detail15normal_iteratorINS6_10device_ptrIKiEEEESL_NS6_8equal_toIiEEEENSG_9not_fun_tINSD_8identityEEEEENSD_19counting_iterator_tIlEES8_S8_S8_S8_S8_S8_S8_S8_EEEEPS9_S9_NSD_9__find_if7functorIS9_EEEE10hipError_tPvRmT1_T2_T3_mT4_P12ihipStream_tbEUlT_E0_NS1_11comp_targetILNS1_3genE0ELNS1_11target_archE4294967295ELNS1_3gpuE0ELNS1_3repE0EEENS1_30default_config_static_selectorELNS0_4arch9wavefront6targetE0EEEvS14_,@function
_ZN7rocprim17ROCPRIM_400000_NS6detail17trampoline_kernelINS0_14default_configENS1_22reduce_config_selectorIN6thrust23THRUST_200600_302600_NS5tupleIblNS6_9null_typeES8_S8_S8_S8_S8_S8_S8_EEEEZNS1_11reduce_implILb1ES3_NS6_12zip_iteratorINS7_INS6_11hip_rocprim26transform_input_iterator_tIbNSD_35transform_pair_of_input_iterators_tIbNS6_6detail15normal_iteratorINS6_10device_ptrIKiEEEESL_NS6_8equal_toIiEEEENSG_9not_fun_tINSD_8identityEEEEENSD_19counting_iterator_tIlEES8_S8_S8_S8_S8_S8_S8_S8_EEEEPS9_S9_NSD_9__find_if7functorIS9_EEEE10hipError_tPvRmT1_T2_T3_mT4_P12ihipStream_tbEUlT_E0_NS1_11comp_targetILNS1_3genE0ELNS1_11target_archE4294967295ELNS1_3gpuE0ELNS1_3repE0EEENS1_30default_config_static_selectorELNS0_4arch9wavefront6targetE0EEEvS14_: ; @_ZN7rocprim17ROCPRIM_400000_NS6detail17trampoline_kernelINS0_14default_configENS1_22reduce_config_selectorIN6thrust23THRUST_200600_302600_NS5tupleIblNS6_9null_typeES8_S8_S8_S8_S8_S8_S8_EEEEZNS1_11reduce_implILb1ES3_NS6_12zip_iteratorINS7_INS6_11hip_rocprim26transform_input_iterator_tIbNSD_35transform_pair_of_input_iterators_tIbNS6_6detail15normal_iteratorINS6_10device_ptrIKiEEEESL_NS6_8equal_toIiEEEENSG_9not_fun_tINSD_8identityEEEEENSD_19counting_iterator_tIlEES8_S8_S8_S8_S8_S8_S8_S8_EEEEPS9_S9_NSD_9__find_if7functorIS9_EEEE10hipError_tPvRmT1_T2_T3_mT4_P12ihipStream_tbEUlT_E0_NS1_11comp_targetILNS1_3genE0ELNS1_11target_archE4294967295ELNS1_3gpuE0ELNS1_3repE0EEENS1_30default_config_static_selectorELNS0_4arch9wavefront6targetE0EEEvS14_
; %bb.0:
	.section	.rodata,"a",@progbits
	.p2align	6, 0x0
	.amdhsa_kernel _ZN7rocprim17ROCPRIM_400000_NS6detail17trampoline_kernelINS0_14default_configENS1_22reduce_config_selectorIN6thrust23THRUST_200600_302600_NS5tupleIblNS6_9null_typeES8_S8_S8_S8_S8_S8_S8_EEEEZNS1_11reduce_implILb1ES3_NS6_12zip_iteratorINS7_INS6_11hip_rocprim26transform_input_iterator_tIbNSD_35transform_pair_of_input_iterators_tIbNS6_6detail15normal_iteratorINS6_10device_ptrIKiEEEESL_NS6_8equal_toIiEEEENSG_9not_fun_tINSD_8identityEEEEENSD_19counting_iterator_tIlEES8_S8_S8_S8_S8_S8_S8_S8_EEEEPS9_S9_NSD_9__find_if7functorIS9_EEEE10hipError_tPvRmT1_T2_T3_mT4_P12ihipStream_tbEUlT_E0_NS1_11comp_targetILNS1_3genE0ELNS1_11target_archE4294967295ELNS1_3gpuE0ELNS1_3repE0EEENS1_30default_config_static_selectorELNS0_4arch9wavefront6targetE0EEEvS14_
		.amdhsa_group_segment_fixed_size 0
		.amdhsa_private_segment_fixed_size 0
		.amdhsa_kernarg_size 104
		.amdhsa_user_sgpr_count 6
		.amdhsa_user_sgpr_private_segment_buffer 1
		.amdhsa_user_sgpr_dispatch_ptr 0
		.amdhsa_user_sgpr_queue_ptr 0
		.amdhsa_user_sgpr_kernarg_segment_ptr 1
		.amdhsa_user_sgpr_dispatch_id 0
		.amdhsa_user_sgpr_flat_scratch_init 0
		.amdhsa_user_sgpr_private_segment_size 0
		.amdhsa_wavefront_size32 1
		.amdhsa_uses_dynamic_stack 0
		.amdhsa_system_sgpr_private_segment_wavefront_offset 0
		.amdhsa_system_sgpr_workgroup_id_x 1
		.amdhsa_system_sgpr_workgroup_id_y 0
		.amdhsa_system_sgpr_workgroup_id_z 0
		.amdhsa_system_sgpr_workgroup_info 0
		.amdhsa_system_vgpr_workitem_id 0
		.amdhsa_next_free_vgpr 1
		.amdhsa_next_free_sgpr 1
		.amdhsa_reserve_vcc 0
		.amdhsa_reserve_flat_scratch 0
		.amdhsa_float_round_mode_32 0
		.amdhsa_float_round_mode_16_64 0
		.amdhsa_float_denorm_mode_32 3
		.amdhsa_float_denorm_mode_16_64 3
		.amdhsa_dx10_clamp 1
		.amdhsa_ieee_mode 1
		.amdhsa_fp16_overflow 0
		.amdhsa_workgroup_processor_mode 1
		.amdhsa_memory_ordered 1
		.amdhsa_forward_progress 1
		.amdhsa_shared_vgpr_count 0
		.amdhsa_exception_fp_ieee_invalid_op 0
		.amdhsa_exception_fp_denorm_src 0
		.amdhsa_exception_fp_ieee_div_zero 0
		.amdhsa_exception_fp_ieee_overflow 0
		.amdhsa_exception_fp_ieee_underflow 0
		.amdhsa_exception_fp_ieee_inexact 0
		.amdhsa_exception_int_div_zero 0
	.end_amdhsa_kernel
	.section	.text._ZN7rocprim17ROCPRIM_400000_NS6detail17trampoline_kernelINS0_14default_configENS1_22reduce_config_selectorIN6thrust23THRUST_200600_302600_NS5tupleIblNS6_9null_typeES8_S8_S8_S8_S8_S8_S8_EEEEZNS1_11reduce_implILb1ES3_NS6_12zip_iteratorINS7_INS6_11hip_rocprim26transform_input_iterator_tIbNSD_35transform_pair_of_input_iterators_tIbNS6_6detail15normal_iteratorINS6_10device_ptrIKiEEEESL_NS6_8equal_toIiEEEENSG_9not_fun_tINSD_8identityEEEEENSD_19counting_iterator_tIlEES8_S8_S8_S8_S8_S8_S8_S8_EEEEPS9_S9_NSD_9__find_if7functorIS9_EEEE10hipError_tPvRmT1_T2_T3_mT4_P12ihipStream_tbEUlT_E0_NS1_11comp_targetILNS1_3genE0ELNS1_11target_archE4294967295ELNS1_3gpuE0ELNS1_3repE0EEENS1_30default_config_static_selectorELNS0_4arch9wavefront6targetE0EEEvS14_,"axG",@progbits,_ZN7rocprim17ROCPRIM_400000_NS6detail17trampoline_kernelINS0_14default_configENS1_22reduce_config_selectorIN6thrust23THRUST_200600_302600_NS5tupleIblNS6_9null_typeES8_S8_S8_S8_S8_S8_S8_EEEEZNS1_11reduce_implILb1ES3_NS6_12zip_iteratorINS7_INS6_11hip_rocprim26transform_input_iterator_tIbNSD_35transform_pair_of_input_iterators_tIbNS6_6detail15normal_iteratorINS6_10device_ptrIKiEEEESL_NS6_8equal_toIiEEEENSG_9not_fun_tINSD_8identityEEEEENSD_19counting_iterator_tIlEES8_S8_S8_S8_S8_S8_S8_S8_EEEEPS9_S9_NSD_9__find_if7functorIS9_EEEE10hipError_tPvRmT1_T2_T3_mT4_P12ihipStream_tbEUlT_E0_NS1_11comp_targetILNS1_3genE0ELNS1_11target_archE4294967295ELNS1_3gpuE0ELNS1_3repE0EEENS1_30default_config_static_selectorELNS0_4arch9wavefront6targetE0EEEvS14_,comdat
.Lfunc_end261:
	.size	_ZN7rocprim17ROCPRIM_400000_NS6detail17trampoline_kernelINS0_14default_configENS1_22reduce_config_selectorIN6thrust23THRUST_200600_302600_NS5tupleIblNS6_9null_typeES8_S8_S8_S8_S8_S8_S8_EEEEZNS1_11reduce_implILb1ES3_NS6_12zip_iteratorINS7_INS6_11hip_rocprim26transform_input_iterator_tIbNSD_35transform_pair_of_input_iterators_tIbNS6_6detail15normal_iteratorINS6_10device_ptrIKiEEEESL_NS6_8equal_toIiEEEENSG_9not_fun_tINSD_8identityEEEEENSD_19counting_iterator_tIlEES8_S8_S8_S8_S8_S8_S8_S8_EEEEPS9_S9_NSD_9__find_if7functorIS9_EEEE10hipError_tPvRmT1_T2_T3_mT4_P12ihipStream_tbEUlT_E0_NS1_11comp_targetILNS1_3genE0ELNS1_11target_archE4294967295ELNS1_3gpuE0ELNS1_3repE0EEENS1_30default_config_static_selectorELNS0_4arch9wavefront6targetE0EEEvS14_, .Lfunc_end261-_ZN7rocprim17ROCPRIM_400000_NS6detail17trampoline_kernelINS0_14default_configENS1_22reduce_config_selectorIN6thrust23THRUST_200600_302600_NS5tupleIblNS6_9null_typeES8_S8_S8_S8_S8_S8_S8_EEEEZNS1_11reduce_implILb1ES3_NS6_12zip_iteratorINS7_INS6_11hip_rocprim26transform_input_iterator_tIbNSD_35transform_pair_of_input_iterators_tIbNS6_6detail15normal_iteratorINS6_10device_ptrIKiEEEESL_NS6_8equal_toIiEEEENSG_9not_fun_tINSD_8identityEEEEENSD_19counting_iterator_tIlEES8_S8_S8_S8_S8_S8_S8_S8_EEEEPS9_S9_NSD_9__find_if7functorIS9_EEEE10hipError_tPvRmT1_T2_T3_mT4_P12ihipStream_tbEUlT_E0_NS1_11comp_targetILNS1_3genE0ELNS1_11target_archE4294967295ELNS1_3gpuE0ELNS1_3repE0EEENS1_30default_config_static_selectorELNS0_4arch9wavefront6targetE0EEEvS14_
                                        ; -- End function
	.set _ZN7rocprim17ROCPRIM_400000_NS6detail17trampoline_kernelINS0_14default_configENS1_22reduce_config_selectorIN6thrust23THRUST_200600_302600_NS5tupleIblNS6_9null_typeES8_S8_S8_S8_S8_S8_S8_EEEEZNS1_11reduce_implILb1ES3_NS6_12zip_iteratorINS7_INS6_11hip_rocprim26transform_input_iterator_tIbNSD_35transform_pair_of_input_iterators_tIbNS6_6detail15normal_iteratorINS6_10device_ptrIKiEEEESL_NS6_8equal_toIiEEEENSG_9not_fun_tINSD_8identityEEEEENSD_19counting_iterator_tIlEES8_S8_S8_S8_S8_S8_S8_S8_EEEEPS9_S9_NSD_9__find_if7functorIS9_EEEE10hipError_tPvRmT1_T2_T3_mT4_P12ihipStream_tbEUlT_E0_NS1_11comp_targetILNS1_3genE0ELNS1_11target_archE4294967295ELNS1_3gpuE0ELNS1_3repE0EEENS1_30default_config_static_selectorELNS0_4arch9wavefront6targetE0EEEvS14_.num_vgpr, 0
	.set _ZN7rocprim17ROCPRIM_400000_NS6detail17trampoline_kernelINS0_14default_configENS1_22reduce_config_selectorIN6thrust23THRUST_200600_302600_NS5tupleIblNS6_9null_typeES8_S8_S8_S8_S8_S8_S8_EEEEZNS1_11reduce_implILb1ES3_NS6_12zip_iteratorINS7_INS6_11hip_rocprim26transform_input_iterator_tIbNSD_35transform_pair_of_input_iterators_tIbNS6_6detail15normal_iteratorINS6_10device_ptrIKiEEEESL_NS6_8equal_toIiEEEENSG_9not_fun_tINSD_8identityEEEEENSD_19counting_iterator_tIlEES8_S8_S8_S8_S8_S8_S8_S8_EEEEPS9_S9_NSD_9__find_if7functorIS9_EEEE10hipError_tPvRmT1_T2_T3_mT4_P12ihipStream_tbEUlT_E0_NS1_11comp_targetILNS1_3genE0ELNS1_11target_archE4294967295ELNS1_3gpuE0ELNS1_3repE0EEENS1_30default_config_static_selectorELNS0_4arch9wavefront6targetE0EEEvS14_.num_agpr, 0
	.set _ZN7rocprim17ROCPRIM_400000_NS6detail17trampoline_kernelINS0_14default_configENS1_22reduce_config_selectorIN6thrust23THRUST_200600_302600_NS5tupleIblNS6_9null_typeES8_S8_S8_S8_S8_S8_S8_EEEEZNS1_11reduce_implILb1ES3_NS6_12zip_iteratorINS7_INS6_11hip_rocprim26transform_input_iterator_tIbNSD_35transform_pair_of_input_iterators_tIbNS6_6detail15normal_iteratorINS6_10device_ptrIKiEEEESL_NS6_8equal_toIiEEEENSG_9not_fun_tINSD_8identityEEEEENSD_19counting_iterator_tIlEES8_S8_S8_S8_S8_S8_S8_S8_EEEEPS9_S9_NSD_9__find_if7functorIS9_EEEE10hipError_tPvRmT1_T2_T3_mT4_P12ihipStream_tbEUlT_E0_NS1_11comp_targetILNS1_3genE0ELNS1_11target_archE4294967295ELNS1_3gpuE0ELNS1_3repE0EEENS1_30default_config_static_selectorELNS0_4arch9wavefront6targetE0EEEvS14_.numbered_sgpr, 0
	.set _ZN7rocprim17ROCPRIM_400000_NS6detail17trampoline_kernelINS0_14default_configENS1_22reduce_config_selectorIN6thrust23THRUST_200600_302600_NS5tupleIblNS6_9null_typeES8_S8_S8_S8_S8_S8_S8_EEEEZNS1_11reduce_implILb1ES3_NS6_12zip_iteratorINS7_INS6_11hip_rocprim26transform_input_iterator_tIbNSD_35transform_pair_of_input_iterators_tIbNS6_6detail15normal_iteratorINS6_10device_ptrIKiEEEESL_NS6_8equal_toIiEEEENSG_9not_fun_tINSD_8identityEEEEENSD_19counting_iterator_tIlEES8_S8_S8_S8_S8_S8_S8_S8_EEEEPS9_S9_NSD_9__find_if7functorIS9_EEEE10hipError_tPvRmT1_T2_T3_mT4_P12ihipStream_tbEUlT_E0_NS1_11comp_targetILNS1_3genE0ELNS1_11target_archE4294967295ELNS1_3gpuE0ELNS1_3repE0EEENS1_30default_config_static_selectorELNS0_4arch9wavefront6targetE0EEEvS14_.num_named_barrier, 0
	.set _ZN7rocprim17ROCPRIM_400000_NS6detail17trampoline_kernelINS0_14default_configENS1_22reduce_config_selectorIN6thrust23THRUST_200600_302600_NS5tupleIblNS6_9null_typeES8_S8_S8_S8_S8_S8_S8_EEEEZNS1_11reduce_implILb1ES3_NS6_12zip_iteratorINS7_INS6_11hip_rocprim26transform_input_iterator_tIbNSD_35transform_pair_of_input_iterators_tIbNS6_6detail15normal_iteratorINS6_10device_ptrIKiEEEESL_NS6_8equal_toIiEEEENSG_9not_fun_tINSD_8identityEEEEENSD_19counting_iterator_tIlEES8_S8_S8_S8_S8_S8_S8_S8_EEEEPS9_S9_NSD_9__find_if7functorIS9_EEEE10hipError_tPvRmT1_T2_T3_mT4_P12ihipStream_tbEUlT_E0_NS1_11comp_targetILNS1_3genE0ELNS1_11target_archE4294967295ELNS1_3gpuE0ELNS1_3repE0EEENS1_30default_config_static_selectorELNS0_4arch9wavefront6targetE0EEEvS14_.private_seg_size, 0
	.set _ZN7rocprim17ROCPRIM_400000_NS6detail17trampoline_kernelINS0_14default_configENS1_22reduce_config_selectorIN6thrust23THRUST_200600_302600_NS5tupleIblNS6_9null_typeES8_S8_S8_S8_S8_S8_S8_EEEEZNS1_11reduce_implILb1ES3_NS6_12zip_iteratorINS7_INS6_11hip_rocprim26transform_input_iterator_tIbNSD_35transform_pair_of_input_iterators_tIbNS6_6detail15normal_iteratorINS6_10device_ptrIKiEEEESL_NS6_8equal_toIiEEEENSG_9not_fun_tINSD_8identityEEEEENSD_19counting_iterator_tIlEES8_S8_S8_S8_S8_S8_S8_S8_EEEEPS9_S9_NSD_9__find_if7functorIS9_EEEE10hipError_tPvRmT1_T2_T3_mT4_P12ihipStream_tbEUlT_E0_NS1_11comp_targetILNS1_3genE0ELNS1_11target_archE4294967295ELNS1_3gpuE0ELNS1_3repE0EEENS1_30default_config_static_selectorELNS0_4arch9wavefront6targetE0EEEvS14_.uses_vcc, 0
	.set _ZN7rocprim17ROCPRIM_400000_NS6detail17trampoline_kernelINS0_14default_configENS1_22reduce_config_selectorIN6thrust23THRUST_200600_302600_NS5tupleIblNS6_9null_typeES8_S8_S8_S8_S8_S8_S8_EEEEZNS1_11reduce_implILb1ES3_NS6_12zip_iteratorINS7_INS6_11hip_rocprim26transform_input_iterator_tIbNSD_35transform_pair_of_input_iterators_tIbNS6_6detail15normal_iteratorINS6_10device_ptrIKiEEEESL_NS6_8equal_toIiEEEENSG_9not_fun_tINSD_8identityEEEEENSD_19counting_iterator_tIlEES8_S8_S8_S8_S8_S8_S8_S8_EEEEPS9_S9_NSD_9__find_if7functorIS9_EEEE10hipError_tPvRmT1_T2_T3_mT4_P12ihipStream_tbEUlT_E0_NS1_11comp_targetILNS1_3genE0ELNS1_11target_archE4294967295ELNS1_3gpuE0ELNS1_3repE0EEENS1_30default_config_static_selectorELNS0_4arch9wavefront6targetE0EEEvS14_.uses_flat_scratch, 0
	.set _ZN7rocprim17ROCPRIM_400000_NS6detail17trampoline_kernelINS0_14default_configENS1_22reduce_config_selectorIN6thrust23THRUST_200600_302600_NS5tupleIblNS6_9null_typeES8_S8_S8_S8_S8_S8_S8_EEEEZNS1_11reduce_implILb1ES3_NS6_12zip_iteratorINS7_INS6_11hip_rocprim26transform_input_iterator_tIbNSD_35transform_pair_of_input_iterators_tIbNS6_6detail15normal_iteratorINS6_10device_ptrIKiEEEESL_NS6_8equal_toIiEEEENSG_9not_fun_tINSD_8identityEEEEENSD_19counting_iterator_tIlEES8_S8_S8_S8_S8_S8_S8_S8_EEEEPS9_S9_NSD_9__find_if7functorIS9_EEEE10hipError_tPvRmT1_T2_T3_mT4_P12ihipStream_tbEUlT_E0_NS1_11comp_targetILNS1_3genE0ELNS1_11target_archE4294967295ELNS1_3gpuE0ELNS1_3repE0EEENS1_30default_config_static_selectorELNS0_4arch9wavefront6targetE0EEEvS14_.has_dyn_sized_stack, 0
	.set _ZN7rocprim17ROCPRIM_400000_NS6detail17trampoline_kernelINS0_14default_configENS1_22reduce_config_selectorIN6thrust23THRUST_200600_302600_NS5tupleIblNS6_9null_typeES8_S8_S8_S8_S8_S8_S8_EEEEZNS1_11reduce_implILb1ES3_NS6_12zip_iteratorINS7_INS6_11hip_rocprim26transform_input_iterator_tIbNSD_35transform_pair_of_input_iterators_tIbNS6_6detail15normal_iteratorINS6_10device_ptrIKiEEEESL_NS6_8equal_toIiEEEENSG_9not_fun_tINSD_8identityEEEEENSD_19counting_iterator_tIlEES8_S8_S8_S8_S8_S8_S8_S8_EEEEPS9_S9_NSD_9__find_if7functorIS9_EEEE10hipError_tPvRmT1_T2_T3_mT4_P12ihipStream_tbEUlT_E0_NS1_11comp_targetILNS1_3genE0ELNS1_11target_archE4294967295ELNS1_3gpuE0ELNS1_3repE0EEENS1_30default_config_static_selectorELNS0_4arch9wavefront6targetE0EEEvS14_.has_recursion, 0
	.set _ZN7rocprim17ROCPRIM_400000_NS6detail17trampoline_kernelINS0_14default_configENS1_22reduce_config_selectorIN6thrust23THRUST_200600_302600_NS5tupleIblNS6_9null_typeES8_S8_S8_S8_S8_S8_S8_EEEEZNS1_11reduce_implILb1ES3_NS6_12zip_iteratorINS7_INS6_11hip_rocprim26transform_input_iterator_tIbNSD_35transform_pair_of_input_iterators_tIbNS6_6detail15normal_iteratorINS6_10device_ptrIKiEEEESL_NS6_8equal_toIiEEEENSG_9not_fun_tINSD_8identityEEEEENSD_19counting_iterator_tIlEES8_S8_S8_S8_S8_S8_S8_S8_EEEEPS9_S9_NSD_9__find_if7functorIS9_EEEE10hipError_tPvRmT1_T2_T3_mT4_P12ihipStream_tbEUlT_E0_NS1_11comp_targetILNS1_3genE0ELNS1_11target_archE4294967295ELNS1_3gpuE0ELNS1_3repE0EEENS1_30default_config_static_selectorELNS0_4arch9wavefront6targetE0EEEvS14_.has_indirect_call, 0
	.section	.AMDGPU.csdata,"",@progbits
; Kernel info:
; codeLenInByte = 0
; TotalNumSgprs: 0
; NumVgprs: 0
; ScratchSize: 0
; MemoryBound: 0
; FloatMode: 240
; IeeeMode: 1
; LDSByteSize: 0 bytes/workgroup (compile time only)
; SGPRBlocks: 0
; VGPRBlocks: 0
; NumSGPRsForWavesPerEU: 1
; NumVGPRsForWavesPerEU: 1
; Occupancy: 16
; WaveLimiterHint : 0
; COMPUTE_PGM_RSRC2:SCRATCH_EN: 0
; COMPUTE_PGM_RSRC2:USER_SGPR: 6
; COMPUTE_PGM_RSRC2:TRAP_HANDLER: 0
; COMPUTE_PGM_RSRC2:TGID_X_EN: 1
; COMPUTE_PGM_RSRC2:TGID_Y_EN: 0
; COMPUTE_PGM_RSRC2:TGID_Z_EN: 0
; COMPUTE_PGM_RSRC2:TIDIG_COMP_CNT: 0
	.section	.text._ZN7rocprim17ROCPRIM_400000_NS6detail17trampoline_kernelINS0_14default_configENS1_22reduce_config_selectorIN6thrust23THRUST_200600_302600_NS5tupleIblNS6_9null_typeES8_S8_S8_S8_S8_S8_S8_EEEEZNS1_11reduce_implILb1ES3_NS6_12zip_iteratorINS7_INS6_11hip_rocprim26transform_input_iterator_tIbNSD_35transform_pair_of_input_iterators_tIbNS6_6detail15normal_iteratorINS6_10device_ptrIKiEEEESL_NS6_8equal_toIiEEEENSG_9not_fun_tINSD_8identityEEEEENSD_19counting_iterator_tIlEES8_S8_S8_S8_S8_S8_S8_S8_EEEEPS9_S9_NSD_9__find_if7functorIS9_EEEE10hipError_tPvRmT1_T2_T3_mT4_P12ihipStream_tbEUlT_E0_NS1_11comp_targetILNS1_3genE5ELNS1_11target_archE942ELNS1_3gpuE9ELNS1_3repE0EEENS1_30default_config_static_selectorELNS0_4arch9wavefront6targetE0EEEvS14_,"axG",@progbits,_ZN7rocprim17ROCPRIM_400000_NS6detail17trampoline_kernelINS0_14default_configENS1_22reduce_config_selectorIN6thrust23THRUST_200600_302600_NS5tupleIblNS6_9null_typeES8_S8_S8_S8_S8_S8_S8_EEEEZNS1_11reduce_implILb1ES3_NS6_12zip_iteratorINS7_INS6_11hip_rocprim26transform_input_iterator_tIbNSD_35transform_pair_of_input_iterators_tIbNS6_6detail15normal_iteratorINS6_10device_ptrIKiEEEESL_NS6_8equal_toIiEEEENSG_9not_fun_tINSD_8identityEEEEENSD_19counting_iterator_tIlEES8_S8_S8_S8_S8_S8_S8_S8_EEEEPS9_S9_NSD_9__find_if7functorIS9_EEEE10hipError_tPvRmT1_T2_T3_mT4_P12ihipStream_tbEUlT_E0_NS1_11comp_targetILNS1_3genE5ELNS1_11target_archE942ELNS1_3gpuE9ELNS1_3repE0EEENS1_30default_config_static_selectorELNS0_4arch9wavefront6targetE0EEEvS14_,comdat
	.protected	_ZN7rocprim17ROCPRIM_400000_NS6detail17trampoline_kernelINS0_14default_configENS1_22reduce_config_selectorIN6thrust23THRUST_200600_302600_NS5tupleIblNS6_9null_typeES8_S8_S8_S8_S8_S8_S8_EEEEZNS1_11reduce_implILb1ES3_NS6_12zip_iteratorINS7_INS6_11hip_rocprim26transform_input_iterator_tIbNSD_35transform_pair_of_input_iterators_tIbNS6_6detail15normal_iteratorINS6_10device_ptrIKiEEEESL_NS6_8equal_toIiEEEENSG_9not_fun_tINSD_8identityEEEEENSD_19counting_iterator_tIlEES8_S8_S8_S8_S8_S8_S8_S8_EEEEPS9_S9_NSD_9__find_if7functorIS9_EEEE10hipError_tPvRmT1_T2_T3_mT4_P12ihipStream_tbEUlT_E0_NS1_11comp_targetILNS1_3genE5ELNS1_11target_archE942ELNS1_3gpuE9ELNS1_3repE0EEENS1_30default_config_static_selectorELNS0_4arch9wavefront6targetE0EEEvS14_ ; -- Begin function _ZN7rocprim17ROCPRIM_400000_NS6detail17trampoline_kernelINS0_14default_configENS1_22reduce_config_selectorIN6thrust23THRUST_200600_302600_NS5tupleIblNS6_9null_typeES8_S8_S8_S8_S8_S8_S8_EEEEZNS1_11reduce_implILb1ES3_NS6_12zip_iteratorINS7_INS6_11hip_rocprim26transform_input_iterator_tIbNSD_35transform_pair_of_input_iterators_tIbNS6_6detail15normal_iteratorINS6_10device_ptrIKiEEEESL_NS6_8equal_toIiEEEENSG_9not_fun_tINSD_8identityEEEEENSD_19counting_iterator_tIlEES8_S8_S8_S8_S8_S8_S8_S8_EEEEPS9_S9_NSD_9__find_if7functorIS9_EEEE10hipError_tPvRmT1_T2_T3_mT4_P12ihipStream_tbEUlT_E0_NS1_11comp_targetILNS1_3genE5ELNS1_11target_archE942ELNS1_3gpuE9ELNS1_3repE0EEENS1_30default_config_static_selectorELNS0_4arch9wavefront6targetE0EEEvS14_
	.globl	_ZN7rocprim17ROCPRIM_400000_NS6detail17trampoline_kernelINS0_14default_configENS1_22reduce_config_selectorIN6thrust23THRUST_200600_302600_NS5tupleIblNS6_9null_typeES8_S8_S8_S8_S8_S8_S8_EEEEZNS1_11reduce_implILb1ES3_NS6_12zip_iteratorINS7_INS6_11hip_rocprim26transform_input_iterator_tIbNSD_35transform_pair_of_input_iterators_tIbNS6_6detail15normal_iteratorINS6_10device_ptrIKiEEEESL_NS6_8equal_toIiEEEENSG_9not_fun_tINSD_8identityEEEEENSD_19counting_iterator_tIlEES8_S8_S8_S8_S8_S8_S8_S8_EEEEPS9_S9_NSD_9__find_if7functorIS9_EEEE10hipError_tPvRmT1_T2_T3_mT4_P12ihipStream_tbEUlT_E0_NS1_11comp_targetILNS1_3genE5ELNS1_11target_archE942ELNS1_3gpuE9ELNS1_3repE0EEENS1_30default_config_static_selectorELNS0_4arch9wavefront6targetE0EEEvS14_
	.p2align	8
	.type	_ZN7rocprim17ROCPRIM_400000_NS6detail17trampoline_kernelINS0_14default_configENS1_22reduce_config_selectorIN6thrust23THRUST_200600_302600_NS5tupleIblNS6_9null_typeES8_S8_S8_S8_S8_S8_S8_EEEEZNS1_11reduce_implILb1ES3_NS6_12zip_iteratorINS7_INS6_11hip_rocprim26transform_input_iterator_tIbNSD_35transform_pair_of_input_iterators_tIbNS6_6detail15normal_iteratorINS6_10device_ptrIKiEEEESL_NS6_8equal_toIiEEEENSG_9not_fun_tINSD_8identityEEEEENSD_19counting_iterator_tIlEES8_S8_S8_S8_S8_S8_S8_S8_EEEEPS9_S9_NSD_9__find_if7functorIS9_EEEE10hipError_tPvRmT1_T2_T3_mT4_P12ihipStream_tbEUlT_E0_NS1_11comp_targetILNS1_3genE5ELNS1_11target_archE942ELNS1_3gpuE9ELNS1_3repE0EEENS1_30default_config_static_selectorELNS0_4arch9wavefront6targetE0EEEvS14_,@function
_ZN7rocprim17ROCPRIM_400000_NS6detail17trampoline_kernelINS0_14default_configENS1_22reduce_config_selectorIN6thrust23THRUST_200600_302600_NS5tupleIblNS6_9null_typeES8_S8_S8_S8_S8_S8_S8_EEEEZNS1_11reduce_implILb1ES3_NS6_12zip_iteratorINS7_INS6_11hip_rocprim26transform_input_iterator_tIbNSD_35transform_pair_of_input_iterators_tIbNS6_6detail15normal_iteratorINS6_10device_ptrIKiEEEESL_NS6_8equal_toIiEEEENSG_9not_fun_tINSD_8identityEEEEENSD_19counting_iterator_tIlEES8_S8_S8_S8_S8_S8_S8_S8_EEEEPS9_S9_NSD_9__find_if7functorIS9_EEEE10hipError_tPvRmT1_T2_T3_mT4_P12ihipStream_tbEUlT_E0_NS1_11comp_targetILNS1_3genE5ELNS1_11target_archE942ELNS1_3gpuE9ELNS1_3repE0EEENS1_30default_config_static_selectorELNS0_4arch9wavefront6targetE0EEEvS14_: ; @_ZN7rocprim17ROCPRIM_400000_NS6detail17trampoline_kernelINS0_14default_configENS1_22reduce_config_selectorIN6thrust23THRUST_200600_302600_NS5tupleIblNS6_9null_typeES8_S8_S8_S8_S8_S8_S8_EEEEZNS1_11reduce_implILb1ES3_NS6_12zip_iteratorINS7_INS6_11hip_rocprim26transform_input_iterator_tIbNSD_35transform_pair_of_input_iterators_tIbNS6_6detail15normal_iteratorINS6_10device_ptrIKiEEEESL_NS6_8equal_toIiEEEENSG_9not_fun_tINSD_8identityEEEEENSD_19counting_iterator_tIlEES8_S8_S8_S8_S8_S8_S8_S8_EEEEPS9_S9_NSD_9__find_if7functorIS9_EEEE10hipError_tPvRmT1_T2_T3_mT4_P12ihipStream_tbEUlT_E0_NS1_11comp_targetILNS1_3genE5ELNS1_11target_archE942ELNS1_3gpuE9ELNS1_3repE0EEENS1_30default_config_static_selectorELNS0_4arch9wavefront6targetE0EEEvS14_
; %bb.0:
	.section	.rodata,"a",@progbits
	.p2align	6, 0x0
	.amdhsa_kernel _ZN7rocprim17ROCPRIM_400000_NS6detail17trampoline_kernelINS0_14default_configENS1_22reduce_config_selectorIN6thrust23THRUST_200600_302600_NS5tupleIblNS6_9null_typeES8_S8_S8_S8_S8_S8_S8_EEEEZNS1_11reduce_implILb1ES3_NS6_12zip_iteratorINS7_INS6_11hip_rocprim26transform_input_iterator_tIbNSD_35transform_pair_of_input_iterators_tIbNS6_6detail15normal_iteratorINS6_10device_ptrIKiEEEESL_NS6_8equal_toIiEEEENSG_9not_fun_tINSD_8identityEEEEENSD_19counting_iterator_tIlEES8_S8_S8_S8_S8_S8_S8_S8_EEEEPS9_S9_NSD_9__find_if7functorIS9_EEEE10hipError_tPvRmT1_T2_T3_mT4_P12ihipStream_tbEUlT_E0_NS1_11comp_targetILNS1_3genE5ELNS1_11target_archE942ELNS1_3gpuE9ELNS1_3repE0EEENS1_30default_config_static_selectorELNS0_4arch9wavefront6targetE0EEEvS14_
		.amdhsa_group_segment_fixed_size 0
		.amdhsa_private_segment_fixed_size 0
		.amdhsa_kernarg_size 104
		.amdhsa_user_sgpr_count 6
		.amdhsa_user_sgpr_private_segment_buffer 1
		.amdhsa_user_sgpr_dispatch_ptr 0
		.amdhsa_user_sgpr_queue_ptr 0
		.amdhsa_user_sgpr_kernarg_segment_ptr 1
		.amdhsa_user_sgpr_dispatch_id 0
		.amdhsa_user_sgpr_flat_scratch_init 0
		.amdhsa_user_sgpr_private_segment_size 0
		.amdhsa_wavefront_size32 1
		.amdhsa_uses_dynamic_stack 0
		.amdhsa_system_sgpr_private_segment_wavefront_offset 0
		.amdhsa_system_sgpr_workgroup_id_x 1
		.amdhsa_system_sgpr_workgroup_id_y 0
		.amdhsa_system_sgpr_workgroup_id_z 0
		.amdhsa_system_sgpr_workgroup_info 0
		.amdhsa_system_vgpr_workitem_id 0
		.amdhsa_next_free_vgpr 1
		.amdhsa_next_free_sgpr 1
		.amdhsa_reserve_vcc 0
		.amdhsa_reserve_flat_scratch 0
		.amdhsa_float_round_mode_32 0
		.amdhsa_float_round_mode_16_64 0
		.amdhsa_float_denorm_mode_32 3
		.amdhsa_float_denorm_mode_16_64 3
		.amdhsa_dx10_clamp 1
		.amdhsa_ieee_mode 1
		.amdhsa_fp16_overflow 0
		.amdhsa_workgroup_processor_mode 1
		.amdhsa_memory_ordered 1
		.amdhsa_forward_progress 1
		.amdhsa_shared_vgpr_count 0
		.amdhsa_exception_fp_ieee_invalid_op 0
		.amdhsa_exception_fp_denorm_src 0
		.amdhsa_exception_fp_ieee_div_zero 0
		.amdhsa_exception_fp_ieee_overflow 0
		.amdhsa_exception_fp_ieee_underflow 0
		.amdhsa_exception_fp_ieee_inexact 0
		.amdhsa_exception_int_div_zero 0
	.end_amdhsa_kernel
	.section	.text._ZN7rocprim17ROCPRIM_400000_NS6detail17trampoline_kernelINS0_14default_configENS1_22reduce_config_selectorIN6thrust23THRUST_200600_302600_NS5tupleIblNS6_9null_typeES8_S8_S8_S8_S8_S8_S8_EEEEZNS1_11reduce_implILb1ES3_NS6_12zip_iteratorINS7_INS6_11hip_rocprim26transform_input_iterator_tIbNSD_35transform_pair_of_input_iterators_tIbNS6_6detail15normal_iteratorINS6_10device_ptrIKiEEEESL_NS6_8equal_toIiEEEENSG_9not_fun_tINSD_8identityEEEEENSD_19counting_iterator_tIlEES8_S8_S8_S8_S8_S8_S8_S8_EEEEPS9_S9_NSD_9__find_if7functorIS9_EEEE10hipError_tPvRmT1_T2_T3_mT4_P12ihipStream_tbEUlT_E0_NS1_11comp_targetILNS1_3genE5ELNS1_11target_archE942ELNS1_3gpuE9ELNS1_3repE0EEENS1_30default_config_static_selectorELNS0_4arch9wavefront6targetE0EEEvS14_,"axG",@progbits,_ZN7rocprim17ROCPRIM_400000_NS6detail17trampoline_kernelINS0_14default_configENS1_22reduce_config_selectorIN6thrust23THRUST_200600_302600_NS5tupleIblNS6_9null_typeES8_S8_S8_S8_S8_S8_S8_EEEEZNS1_11reduce_implILb1ES3_NS6_12zip_iteratorINS7_INS6_11hip_rocprim26transform_input_iterator_tIbNSD_35transform_pair_of_input_iterators_tIbNS6_6detail15normal_iteratorINS6_10device_ptrIKiEEEESL_NS6_8equal_toIiEEEENSG_9not_fun_tINSD_8identityEEEEENSD_19counting_iterator_tIlEES8_S8_S8_S8_S8_S8_S8_S8_EEEEPS9_S9_NSD_9__find_if7functorIS9_EEEE10hipError_tPvRmT1_T2_T3_mT4_P12ihipStream_tbEUlT_E0_NS1_11comp_targetILNS1_3genE5ELNS1_11target_archE942ELNS1_3gpuE9ELNS1_3repE0EEENS1_30default_config_static_selectorELNS0_4arch9wavefront6targetE0EEEvS14_,comdat
.Lfunc_end262:
	.size	_ZN7rocprim17ROCPRIM_400000_NS6detail17trampoline_kernelINS0_14default_configENS1_22reduce_config_selectorIN6thrust23THRUST_200600_302600_NS5tupleIblNS6_9null_typeES8_S8_S8_S8_S8_S8_S8_EEEEZNS1_11reduce_implILb1ES3_NS6_12zip_iteratorINS7_INS6_11hip_rocprim26transform_input_iterator_tIbNSD_35transform_pair_of_input_iterators_tIbNS6_6detail15normal_iteratorINS6_10device_ptrIKiEEEESL_NS6_8equal_toIiEEEENSG_9not_fun_tINSD_8identityEEEEENSD_19counting_iterator_tIlEES8_S8_S8_S8_S8_S8_S8_S8_EEEEPS9_S9_NSD_9__find_if7functorIS9_EEEE10hipError_tPvRmT1_T2_T3_mT4_P12ihipStream_tbEUlT_E0_NS1_11comp_targetILNS1_3genE5ELNS1_11target_archE942ELNS1_3gpuE9ELNS1_3repE0EEENS1_30default_config_static_selectorELNS0_4arch9wavefront6targetE0EEEvS14_, .Lfunc_end262-_ZN7rocprim17ROCPRIM_400000_NS6detail17trampoline_kernelINS0_14default_configENS1_22reduce_config_selectorIN6thrust23THRUST_200600_302600_NS5tupleIblNS6_9null_typeES8_S8_S8_S8_S8_S8_S8_EEEEZNS1_11reduce_implILb1ES3_NS6_12zip_iteratorINS7_INS6_11hip_rocprim26transform_input_iterator_tIbNSD_35transform_pair_of_input_iterators_tIbNS6_6detail15normal_iteratorINS6_10device_ptrIKiEEEESL_NS6_8equal_toIiEEEENSG_9not_fun_tINSD_8identityEEEEENSD_19counting_iterator_tIlEES8_S8_S8_S8_S8_S8_S8_S8_EEEEPS9_S9_NSD_9__find_if7functorIS9_EEEE10hipError_tPvRmT1_T2_T3_mT4_P12ihipStream_tbEUlT_E0_NS1_11comp_targetILNS1_3genE5ELNS1_11target_archE942ELNS1_3gpuE9ELNS1_3repE0EEENS1_30default_config_static_selectorELNS0_4arch9wavefront6targetE0EEEvS14_
                                        ; -- End function
	.set _ZN7rocprim17ROCPRIM_400000_NS6detail17trampoline_kernelINS0_14default_configENS1_22reduce_config_selectorIN6thrust23THRUST_200600_302600_NS5tupleIblNS6_9null_typeES8_S8_S8_S8_S8_S8_S8_EEEEZNS1_11reduce_implILb1ES3_NS6_12zip_iteratorINS7_INS6_11hip_rocprim26transform_input_iterator_tIbNSD_35transform_pair_of_input_iterators_tIbNS6_6detail15normal_iteratorINS6_10device_ptrIKiEEEESL_NS6_8equal_toIiEEEENSG_9not_fun_tINSD_8identityEEEEENSD_19counting_iterator_tIlEES8_S8_S8_S8_S8_S8_S8_S8_EEEEPS9_S9_NSD_9__find_if7functorIS9_EEEE10hipError_tPvRmT1_T2_T3_mT4_P12ihipStream_tbEUlT_E0_NS1_11comp_targetILNS1_3genE5ELNS1_11target_archE942ELNS1_3gpuE9ELNS1_3repE0EEENS1_30default_config_static_selectorELNS0_4arch9wavefront6targetE0EEEvS14_.num_vgpr, 0
	.set _ZN7rocprim17ROCPRIM_400000_NS6detail17trampoline_kernelINS0_14default_configENS1_22reduce_config_selectorIN6thrust23THRUST_200600_302600_NS5tupleIblNS6_9null_typeES8_S8_S8_S8_S8_S8_S8_EEEEZNS1_11reduce_implILb1ES3_NS6_12zip_iteratorINS7_INS6_11hip_rocprim26transform_input_iterator_tIbNSD_35transform_pair_of_input_iterators_tIbNS6_6detail15normal_iteratorINS6_10device_ptrIKiEEEESL_NS6_8equal_toIiEEEENSG_9not_fun_tINSD_8identityEEEEENSD_19counting_iterator_tIlEES8_S8_S8_S8_S8_S8_S8_S8_EEEEPS9_S9_NSD_9__find_if7functorIS9_EEEE10hipError_tPvRmT1_T2_T3_mT4_P12ihipStream_tbEUlT_E0_NS1_11comp_targetILNS1_3genE5ELNS1_11target_archE942ELNS1_3gpuE9ELNS1_3repE0EEENS1_30default_config_static_selectorELNS0_4arch9wavefront6targetE0EEEvS14_.num_agpr, 0
	.set _ZN7rocprim17ROCPRIM_400000_NS6detail17trampoline_kernelINS0_14default_configENS1_22reduce_config_selectorIN6thrust23THRUST_200600_302600_NS5tupleIblNS6_9null_typeES8_S8_S8_S8_S8_S8_S8_EEEEZNS1_11reduce_implILb1ES3_NS6_12zip_iteratorINS7_INS6_11hip_rocprim26transform_input_iterator_tIbNSD_35transform_pair_of_input_iterators_tIbNS6_6detail15normal_iteratorINS6_10device_ptrIKiEEEESL_NS6_8equal_toIiEEEENSG_9not_fun_tINSD_8identityEEEEENSD_19counting_iterator_tIlEES8_S8_S8_S8_S8_S8_S8_S8_EEEEPS9_S9_NSD_9__find_if7functorIS9_EEEE10hipError_tPvRmT1_T2_T3_mT4_P12ihipStream_tbEUlT_E0_NS1_11comp_targetILNS1_3genE5ELNS1_11target_archE942ELNS1_3gpuE9ELNS1_3repE0EEENS1_30default_config_static_selectorELNS0_4arch9wavefront6targetE0EEEvS14_.numbered_sgpr, 0
	.set _ZN7rocprim17ROCPRIM_400000_NS6detail17trampoline_kernelINS0_14default_configENS1_22reduce_config_selectorIN6thrust23THRUST_200600_302600_NS5tupleIblNS6_9null_typeES8_S8_S8_S8_S8_S8_S8_EEEEZNS1_11reduce_implILb1ES3_NS6_12zip_iteratorINS7_INS6_11hip_rocprim26transform_input_iterator_tIbNSD_35transform_pair_of_input_iterators_tIbNS6_6detail15normal_iteratorINS6_10device_ptrIKiEEEESL_NS6_8equal_toIiEEEENSG_9not_fun_tINSD_8identityEEEEENSD_19counting_iterator_tIlEES8_S8_S8_S8_S8_S8_S8_S8_EEEEPS9_S9_NSD_9__find_if7functorIS9_EEEE10hipError_tPvRmT1_T2_T3_mT4_P12ihipStream_tbEUlT_E0_NS1_11comp_targetILNS1_3genE5ELNS1_11target_archE942ELNS1_3gpuE9ELNS1_3repE0EEENS1_30default_config_static_selectorELNS0_4arch9wavefront6targetE0EEEvS14_.num_named_barrier, 0
	.set _ZN7rocprim17ROCPRIM_400000_NS6detail17trampoline_kernelINS0_14default_configENS1_22reduce_config_selectorIN6thrust23THRUST_200600_302600_NS5tupleIblNS6_9null_typeES8_S8_S8_S8_S8_S8_S8_EEEEZNS1_11reduce_implILb1ES3_NS6_12zip_iteratorINS7_INS6_11hip_rocprim26transform_input_iterator_tIbNSD_35transform_pair_of_input_iterators_tIbNS6_6detail15normal_iteratorINS6_10device_ptrIKiEEEESL_NS6_8equal_toIiEEEENSG_9not_fun_tINSD_8identityEEEEENSD_19counting_iterator_tIlEES8_S8_S8_S8_S8_S8_S8_S8_EEEEPS9_S9_NSD_9__find_if7functorIS9_EEEE10hipError_tPvRmT1_T2_T3_mT4_P12ihipStream_tbEUlT_E0_NS1_11comp_targetILNS1_3genE5ELNS1_11target_archE942ELNS1_3gpuE9ELNS1_3repE0EEENS1_30default_config_static_selectorELNS0_4arch9wavefront6targetE0EEEvS14_.private_seg_size, 0
	.set _ZN7rocprim17ROCPRIM_400000_NS6detail17trampoline_kernelINS0_14default_configENS1_22reduce_config_selectorIN6thrust23THRUST_200600_302600_NS5tupleIblNS6_9null_typeES8_S8_S8_S8_S8_S8_S8_EEEEZNS1_11reduce_implILb1ES3_NS6_12zip_iteratorINS7_INS6_11hip_rocprim26transform_input_iterator_tIbNSD_35transform_pair_of_input_iterators_tIbNS6_6detail15normal_iteratorINS6_10device_ptrIKiEEEESL_NS6_8equal_toIiEEEENSG_9not_fun_tINSD_8identityEEEEENSD_19counting_iterator_tIlEES8_S8_S8_S8_S8_S8_S8_S8_EEEEPS9_S9_NSD_9__find_if7functorIS9_EEEE10hipError_tPvRmT1_T2_T3_mT4_P12ihipStream_tbEUlT_E0_NS1_11comp_targetILNS1_3genE5ELNS1_11target_archE942ELNS1_3gpuE9ELNS1_3repE0EEENS1_30default_config_static_selectorELNS0_4arch9wavefront6targetE0EEEvS14_.uses_vcc, 0
	.set _ZN7rocprim17ROCPRIM_400000_NS6detail17trampoline_kernelINS0_14default_configENS1_22reduce_config_selectorIN6thrust23THRUST_200600_302600_NS5tupleIblNS6_9null_typeES8_S8_S8_S8_S8_S8_S8_EEEEZNS1_11reduce_implILb1ES3_NS6_12zip_iteratorINS7_INS6_11hip_rocprim26transform_input_iterator_tIbNSD_35transform_pair_of_input_iterators_tIbNS6_6detail15normal_iteratorINS6_10device_ptrIKiEEEESL_NS6_8equal_toIiEEEENSG_9not_fun_tINSD_8identityEEEEENSD_19counting_iterator_tIlEES8_S8_S8_S8_S8_S8_S8_S8_EEEEPS9_S9_NSD_9__find_if7functorIS9_EEEE10hipError_tPvRmT1_T2_T3_mT4_P12ihipStream_tbEUlT_E0_NS1_11comp_targetILNS1_3genE5ELNS1_11target_archE942ELNS1_3gpuE9ELNS1_3repE0EEENS1_30default_config_static_selectorELNS0_4arch9wavefront6targetE0EEEvS14_.uses_flat_scratch, 0
	.set _ZN7rocprim17ROCPRIM_400000_NS6detail17trampoline_kernelINS0_14default_configENS1_22reduce_config_selectorIN6thrust23THRUST_200600_302600_NS5tupleIblNS6_9null_typeES8_S8_S8_S8_S8_S8_S8_EEEEZNS1_11reduce_implILb1ES3_NS6_12zip_iteratorINS7_INS6_11hip_rocprim26transform_input_iterator_tIbNSD_35transform_pair_of_input_iterators_tIbNS6_6detail15normal_iteratorINS6_10device_ptrIKiEEEESL_NS6_8equal_toIiEEEENSG_9not_fun_tINSD_8identityEEEEENSD_19counting_iterator_tIlEES8_S8_S8_S8_S8_S8_S8_S8_EEEEPS9_S9_NSD_9__find_if7functorIS9_EEEE10hipError_tPvRmT1_T2_T3_mT4_P12ihipStream_tbEUlT_E0_NS1_11comp_targetILNS1_3genE5ELNS1_11target_archE942ELNS1_3gpuE9ELNS1_3repE0EEENS1_30default_config_static_selectorELNS0_4arch9wavefront6targetE0EEEvS14_.has_dyn_sized_stack, 0
	.set _ZN7rocprim17ROCPRIM_400000_NS6detail17trampoline_kernelINS0_14default_configENS1_22reduce_config_selectorIN6thrust23THRUST_200600_302600_NS5tupleIblNS6_9null_typeES8_S8_S8_S8_S8_S8_S8_EEEEZNS1_11reduce_implILb1ES3_NS6_12zip_iteratorINS7_INS6_11hip_rocprim26transform_input_iterator_tIbNSD_35transform_pair_of_input_iterators_tIbNS6_6detail15normal_iteratorINS6_10device_ptrIKiEEEESL_NS6_8equal_toIiEEEENSG_9not_fun_tINSD_8identityEEEEENSD_19counting_iterator_tIlEES8_S8_S8_S8_S8_S8_S8_S8_EEEEPS9_S9_NSD_9__find_if7functorIS9_EEEE10hipError_tPvRmT1_T2_T3_mT4_P12ihipStream_tbEUlT_E0_NS1_11comp_targetILNS1_3genE5ELNS1_11target_archE942ELNS1_3gpuE9ELNS1_3repE0EEENS1_30default_config_static_selectorELNS0_4arch9wavefront6targetE0EEEvS14_.has_recursion, 0
	.set _ZN7rocprim17ROCPRIM_400000_NS6detail17trampoline_kernelINS0_14default_configENS1_22reduce_config_selectorIN6thrust23THRUST_200600_302600_NS5tupleIblNS6_9null_typeES8_S8_S8_S8_S8_S8_S8_EEEEZNS1_11reduce_implILb1ES3_NS6_12zip_iteratorINS7_INS6_11hip_rocprim26transform_input_iterator_tIbNSD_35transform_pair_of_input_iterators_tIbNS6_6detail15normal_iteratorINS6_10device_ptrIKiEEEESL_NS6_8equal_toIiEEEENSG_9not_fun_tINSD_8identityEEEEENSD_19counting_iterator_tIlEES8_S8_S8_S8_S8_S8_S8_S8_EEEEPS9_S9_NSD_9__find_if7functorIS9_EEEE10hipError_tPvRmT1_T2_T3_mT4_P12ihipStream_tbEUlT_E0_NS1_11comp_targetILNS1_3genE5ELNS1_11target_archE942ELNS1_3gpuE9ELNS1_3repE0EEENS1_30default_config_static_selectorELNS0_4arch9wavefront6targetE0EEEvS14_.has_indirect_call, 0
	.section	.AMDGPU.csdata,"",@progbits
; Kernel info:
; codeLenInByte = 0
; TotalNumSgprs: 0
; NumVgprs: 0
; ScratchSize: 0
; MemoryBound: 0
; FloatMode: 240
; IeeeMode: 1
; LDSByteSize: 0 bytes/workgroup (compile time only)
; SGPRBlocks: 0
; VGPRBlocks: 0
; NumSGPRsForWavesPerEU: 1
; NumVGPRsForWavesPerEU: 1
; Occupancy: 16
; WaveLimiterHint : 0
; COMPUTE_PGM_RSRC2:SCRATCH_EN: 0
; COMPUTE_PGM_RSRC2:USER_SGPR: 6
; COMPUTE_PGM_RSRC2:TRAP_HANDLER: 0
; COMPUTE_PGM_RSRC2:TGID_X_EN: 1
; COMPUTE_PGM_RSRC2:TGID_Y_EN: 0
; COMPUTE_PGM_RSRC2:TGID_Z_EN: 0
; COMPUTE_PGM_RSRC2:TIDIG_COMP_CNT: 0
	.section	.text._ZN7rocprim17ROCPRIM_400000_NS6detail17trampoline_kernelINS0_14default_configENS1_22reduce_config_selectorIN6thrust23THRUST_200600_302600_NS5tupleIblNS6_9null_typeES8_S8_S8_S8_S8_S8_S8_EEEEZNS1_11reduce_implILb1ES3_NS6_12zip_iteratorINS7_INS6_11hip_rocprim26transform_input_iterator_tIbNSD_35transform_pair_of_input_iterators_tIbNS6_6detail15normal_iteratorINS6_10device_ptrIKiEEEESL_NS6_8equal_toIiEEEENSG_9not_fun_tINSD_8identityEEEEENSD_19counting_iterator_tIlEES8_S8_S8_S8_S8_S8_S8_S8_EEEEPS9_S9_NSD_9__find_if7functorIS9_EEEE10hipError_tPvRmT1_T2_T3_mT4_P12ihipStream_tbEUlT_E0_NS1_11comp_targetILNS1_3genE4ELNS1_11target_archE910ELNS1_3gpuE8ELNS1_3repE0EEENS1_30default_config_static_selectorELNS0_4arch9wavefront6targetE0EEEvS14_,"axG",@progbits,_ZN7rocprim17ROCPRIM_400000_NS6detail17trampoline_kernelINS0_14default_configENS1_22reduce_config_selectorIN6thrust23THRUST_200600_302600_NS5tupleIblNS6_9null_typeES8_S8_S8_S8_S8_S8_S8_EEEEZNS1_11reduce_implILb1ES3_NS6_12zip_iteratorINS7_INS6_11hip_rocprim26transform_input_iterator_tIbNSD_35transform_pair_of_input_iterators_tIbNS6_6detail15normal_iteratorINS6_10device_ptrIKiEEEESL_NS6_8equal_toIiEEEENSG_9not_fun_tINSD_8identityEEEEENSD_19counting_iterator_tIlEES8_S8_S8_S8_S8_S8_S8_S8_EEEEPS9_S9_NSD_9__find_if7functorIS9_EEEE10hipError_tPvRmT1_T2_T3_mT4_P12ihipStream_tbEUlT_E0_NS1_11comp_targetILNS1_3genE4ELNS1_11target_archE910ELNS1_3gpuE8ELNS1_3repE0EEENS1_30default_config_static_selectorELNS0_4arch9wavefront6targetE0EEEvS14_,comdat
	.protected	_ZN7rocprim17ROCPRIM_400000_NS6detail17trampoline_kernelINS0_14default_configENS1_22reduce_config_selectorIN6thrust23THRUST_200600_302600_NS5tupleIblNS6_9null_typeES8_S8_S8_S8_S8_S8_S8_EEEEZNS1_11reduce_implILb1ES3_NS6_12zip_iteratorINS7_INS6_11hip_rocprim26transform_input_iterator_tIbNSD_35transform_pair_of_input_iterators_tIbNS6_6detail15normal_iteratorINS6_10device_ptrIKiEEEESL_NS6_8equal_toIiEEEENSG_9not_fun_tINSD_8identityEEEEENSD_19counting_iterator_tIlEES8_S8_S8_S8_S8_S8_S8_S8_EEEEPS9_S9_NSD_9__find_if7functorIS9_EEEE10hipError_tPvRmT1_T2_T3_mT4_P12ihipStream_tbEUlT_E0_NS1_11comp_targetILNS1_3genE4ELNS1_11target_archE910ELNS1_3gpuE8ELNS1_3repE0EEENS1_30default_config_static_selectorELNS0_4arch9wavefront6targetE0EEEvS14_ ; -- Begin function _ZN7rocprim17ROCPRIM_400000_NS6detail17trampoline_kernelINS0_14default_configENS1_22reduce_config_selectorIN6thrust23THRUST_200600_302600_NS5tupleIblNS6_9null_typeES8_S8_S8_S8_S8_S8_S8_EEEEZNS1_11reduce_implILb1ES3_NS6_12zip_iteratorINS7_INS6_11hip_rocprim26transform_input_iterator_tIbNSD_35transform_pair_of_input_iterators_tIbNS6_6detail15normal_iteratorINS6_10device_ptrIKiEEEESL_NS6_8equal_toIiEEEENSG_9not_fun_tINSD_8identityEEEEENSD_19counting_iterator_tIlEES8_S8_S8_S8_S8_S8_S8_S8_EEEEPS9_S9_NSD_9__find_if7functorIS9_EEEE10hipError_tPvRmT1_T2_T3_mT4_P12ihipStream_tbEUlT_E0_NS1_11comp_targetILNS1_3genE4ELNS1_11target_archE910ELNS1_3gpuE8ELNS1_3repE0EEENS1_30default_config_static_selectorELNS0_4arch9wavefront6targetE0EEEvS14_
	.globl	_ZN7rocprim17ROCPRIM_400000_NS6detail17trampoline_kernelINS0_14default_configENS1_22reduce_config_selectorIN6thrust23THRUST_200600_302600_NS5tupleIblNS6_9null_typeES8_S8_S8_S8_S8_S8_S8_EEEEZNS1_11reduce_implILb1ES3_NS6_12zip_iteratorINS7_INS6_11hip_rocprim26transform_input_iterator_tIbNSD_35transform_pair_of_input_iterators_tIbNS6_6detail15normal_iteratorINS6_10device_ptrIKiEEEESL_NS6_8equal_toIiEEEENSG_9not_fun_tINSD_8identityEEEEENSD_19counting_iterator_tIlEES8_S8_S8_S8_S8_S8_S8_S8_EEEEPS9_S9_NSD_9__find_if7functorIS9_EEEE10hipError_tPvRmT1_T2_T3_mT4_P12ihipStream_tbEUlT_E0_NS1_11comp_targetILNS1_3genE4ELNS1_11target_archE910ELNS1_3gpuE8ELNS1_3repE0EEENS1_30default_config_static_selectorELNS0_4arch9wavefront6targetE0EEEvS14_
	.p2align	8
	.type	_ZN7rocprim17ROCPRIM_400000_NS6detail17trampoline_kernelINS0_14default_configENS1_22reduce_config_selectorIN6thrust23THRUST_200600_302600_NS5tupleIblNS6_9null_typeES8_S8_S8_S8_S8_S8_S8_EEEEZNS1_11reduce_implILb1ES3_NS6_12zip_iteratorINS7_INS6_11hip_rocprim26transform_input_iterator_tIbNSD_35transform_pair_of_input_iterators_tIbNS6_6detail15normal_iteratorINS6_10device_ptrIKiEEEESL_NS6_8equal_toIiEEEENSG_9not_fun_tINSD_8identityEEEEENSD_19counting_iterator_tIlEES8_S8_S8_S8_S8_S8_S8_S8_EEEEPS9_S9_NSD_9__find_if7functorIS9_EEEE10hipError_tPvRmT1_T2_T3_mT4_P12ihipStream_tbEUlT_E0_NS1_11comp_targetILNS1_3genE4ELNS1_11target_archE910ELNS1_3gpuE8ELNS1_3repE0EEENS1_30default_config_static_selectorELNS0_4arch9wavefront6targetE0EEEvS14_,@function
_ZN7rocprim17ROCPRIM_400000_NS6detail17trampoline_kernelINS0_14default_configENS1_22reduce_config_selectorIN6thrust23THRUST_200600_302600_NS5tupleIblNS6_9null_typeES8_S8_S8_S8_S8_S8_S8_EEEEZNS1_11reduce_implILb1ES3_NS6_12zip_iteratorINS7_INS6_11hip_rocprim26transform_input_iterator_tIbNSD_35transform_pair_of_input_iterators_tIbNS6_6detail15normal_iteratorINS6_10device_ptrIKiEEEESL_NS6_8equal_toIiEEEENSG_9not_fun_tINSD_8identityEEEEENSD_19counting_iterator_tIlEES8_S8_S8_S8_S8_S8_S8_S8_EEEEPS9_S9_NSD_9__find_if7functorIS9_EEEE10hipError_tPvRmT1_T2_T3_mT4_P12ihipStream_tbEUlT_E0_NS1_11comp_targetILNS1_3genE4ELNS1_11target_archE910ELNS1_3gpuE8ELNS1_3repE0EEENS1_30default_config_static_selectorELNS0_4arch9wavefront6targetE0EEEvS14_: ; @_ZN7rocprim17ROCPRIM_400000_NS6detail17trampoline_kernelINS0_14default_configENS1_22reduce_config_selectorIN6thrust23THRUST_200600_302600_NS5tupleIblNS6_9null_typeES8_S8_S8_S8_S8_S8_S8_EEEEZNS1_11reduce_implILb1ES3_NS6_12zip_iteratorINS7_INS6_11hip_rocprim26transform_input_iterator_tIbNSD_35transform_pair_of_input_iterators_tIbNS6_6detail15normal_iteratorINS6_10device_ptrIKiEEEESL_NS6_8equal_toIiEEEENSG_9not_fun_tINSD_8identityEEEEENSD_19counting_iterator_tIlEES8_S8_S8_S8_S8_S8_S8_S8_EEEEPS9_S9_NSD_9__find_if7functorIS9_EEEE10hipError_tPvRmT1_T2_T3_mT4_P12ihipStream_tbEUlT_E0_NS1_11comp_targetILNS1_3genE4ELNS1_11target_archE910ELNS1_3gpuE8ELNS1_3repE0EEENS1_30default_config_static_selectorELNS0_4arch9wavefront6targetE0EEEvS14_
; %bb.0:
	.section	.rodata,"a",@progbits
	.p2align	6, 0x0
	.amdhsa_kernel _ZN7rocprim17ROCPRIM_400000_NS6detail17trampoline_kernelINS0_14default_configENS1_22reduce_config_selectorIN6thrust23THRUST_200600_302600_NS5tupleIblNS6_9null_typeES8_S8_S8_S8_S8_S8_S8_EEEEZNS1_11reduce_implILb1ES3_NS6_12zip_iteratorINS7_INS6_11hip_rocprim26transform_input_iterator_tIbNSD_35transform_pair_of_input_iterators_tIbNS6_6detail15normal_iteratorINS6_10device_ptrIKiEEEESL_NS6_8equal_toIiEEEENSG_9not_fun_tINSD_8identityEEEEENSD_19counting_iterator_tIlEES8_S8_S8_S8_S8_S8_S8_S8_EEEEPS9_S9_NSD_9__find_if7functorIS9_EEEE10hipError_tPvRmT1_T2_T3_mT4_P12ihipStream_tbEUlT_E0_NS1_11comp_targetILNS1_3genE4ELNS1_11target_archE910ELNS1_3gpuE8ELNS1_3repE0EEENS1_30default_config_static_selectorELNS0_4arch9wavefront6targetE0EEEvS14_
		.amdhsa_group_segment_fixed_size 0
		.amdhsa_private_segment_fixed_size 0
		.amdhsa_kernarg_size 104
		.amdhsa_user_sgpr_count 6
		.amdhsa_user_sgpr_private_segment_buffer 1
		.amdhsa_user_sgpr_dispatch_ptr 0
		.amdhsa_user_sgpr_queue_ptr 0
		.amdhsa_user_sgpr_kernarg_segment_ptr 1
		.amdhsa_user_sgpr_dispatch_id 0
		.amdhsa_user_sgpr_flat_scratch_init 0
		.amdhsa_user_sgpr_private_segment_size 0
		.amdhsa_wavefront_size32 1
		.amdhsa_uses_dynamic_stack 0
		.amdhsa_system_sgpr_private_segment_wavefront_offset 0
		.amdhsa_system_sgpr_workgroup_id_x 1
		.amdhsa_system_sgpr_workgroup_id_y 0
		.amdhsa_system_sgpr_workgroup_id_z 0
		.amdhsa_system_sgpr_workgroup_info 0
		.amdhsa_system_vgpr_workitem_id 0
		.amdhsa_next_free_vgpr 1
		.amdhsa_next_free_sgpr 1
		.amdhsa_reserve_vcc 0
		.amdhsa_reserve_flat_scratch 0
		.amdhsa_float_round_mode_32 0
		.amdhsa_float_round_mode_16_64 0
		.amdhsa_float_denorm_mode_32 3
		.amdhsa_float_denorm_mode_16_64 3
		.amdhsa_dx10_clamp 1
		.amdhsa_ieee_mode 1
		.amdhsa_fp16_overflow 0
		.amdhsa_workgroup_processor_mode 1
		.amdhsa_memory_ordered 1
		.amdhsa_forward_progress 1
		.amdhsa_shared_vgpr_count 0
		.amdhsa_exception_fp_ieee_invalid_op 0
		.amdhsa_exception_fp_denorm_src 0
		.amdhsa_exception_fp_ieee_div_zero 0
		.amdhsa_exception_fp_ieee_overflow 0
		.amdhsa_exception_fp_ieee_underflow 0
		.amdhsa_exception_fp_ieee_inexact 0
		.amdhsa_exception_int_div_zero 0
	.end_amdhsa_kernel
	.section	.text._ZN7rocprim17ROCPRIM_400000_NS6detail17trampoline_kernelINS0_14default_configENS1_22reduce_config_selectorIN6thrust23THRUST_200600_302600_NS5tupleIblNS6_9null_typeES8_S8_S8_S8_S8_S8_S8_EEEEZNS1_11reduce_implILb1ES3_NS6_12zip_iteratorINS7_INS6_11hip_rocprim26transform_input_iterator_tIbNSD_35transform_pair_of_input_iterators_tIbNS6_6detail15normal_iteratorINS6_10device_ptrIKiEEEESL_NS6_8equal_toIiEEEENSG_9not_fun_tINSD_8identityEEEEENSD_19counting_iterator_tIlEES8_S8_S8_S8_S8_S8_S8_S8_EEEEPS9_S9_NSD_9__find_if7functorIS9_EEEE10hipError_tPvRmT1_T2_T3_mT4_P12ihipStream_tbEUlT_E0_NS1_11comp_targetILNS1_3genE4ELNS1_11target_archE910ELNS1_3gpuE8ELNS1_3repE0EEENS1_30default_config_static_selectorELNS0_4arch9wavefront6targetE0EEEvS14_,"axG",@progbits,_ZN7rocprim17ROCPRIM_400000_NS6detail17trampoline_kernelINS0_14default_configENS1_22reduce_config_selectorIN6thrust23THRUST_200600_302600_NS5tupleIblNS6_9null_typeES8_S8_S8_S8_S8_S8_S8_EEEEZNS1_11reduce_implILb1ES3_NS6_12zip_iteratorINS7_INS6_11hip_rocprim26transform_input_iterator_tIbNSD_35transform_pair_of_input_iterators_tIbNS6_6detail15normal_iteratorINS6_10device_ptrIKiEEEESL_NS6_8equal_toIiEEEENSG_9not_fun_tINSD_8identityEEEEENSD_19counting_iterator_tIlEES8_S8_S8_S8_S8_S8_S8_S8_EEEEPS9_S9_NSD_9__find_if7functorIS9_EEEE10hipError_tPvRmT1_T2_T3_mT4_P12ihipStream_tbEUlT_E0_NS1_11comp_targetILNS1_3genE4ELNS1_11target_archE910ELNS1_3gpuE8ELNS1_3repE0EEENS1_30default_config_static_selectorELNS0_4arch9wavefront6targetE0EEEvS14_,comdat
.Lfunc_end263:
	.size	_ZN7rocprim17ROCPRIM_400000_NS6detail17trampoline_kernelINS0_14default_configENS1_22reduce_config_selectorIN6thrust23THRUST_200600_302600_NS5tupleIblNS6_9null_typeES8_S8_S8_S8_S8_S8_S8_EEEEZNS1_11reduce_implILb1ES3_NS6_12zip_iteratorINS7_INS6_11hip_rocprim26transform_input_iterator_tIbNSD_35transform_pair_of_input_iterators_tIbNS6_6detail15normal_iteratorINS6_10device_ptrIKiEEEESL_NS6_8equal_toIiEEEENSG_9not_fun_tINSD_8identityEEEEENSD_19counting_iterator_tIlEES8_S8_S8_S8_S8_S8_S8_S8_EEEEPS9_S9_NSD_9__find_if7functorIS9_EEEE10hipError_tPvRmT1_T2_T3_mT4_P12ihipStream_tbEUlT_E0_NS1_11comp_targetILNS1_3genE4ELNS1_11target_archE910ELNS1_3gpuE8ELNS1_3repE0EEENS1_30default_config_static_selectorELNS0_4arch9wavefront6targetE0EEEvS14_, .Lfunc_end263-_ZN7rocprim17ROCPRIM_400000_NS6detail17trampoline_kernelINS0_14default_configENS1_22reduce_config_selectorIN6thrust23THRUST_200600_302600_NS5tupleIblNS6_9null_typeES8_S8_S8_S8_S8_S8_S8_EEEEZNS1_11reduce_implILb1ES3_NS6_12zip_iteratorINS7_INS6_11hip_rocprim26transform_input_iterator_tIbNSD_35transform_pair_of_input_iterators_tIbNS6_6detail15normal_iteratorINS6_10device_ptrIKiEEEESL_NS6_8equal_toIiEEEENSG_9not_fun_tINSD_8identityEEEEENSD_19counting_iterator_tIlEES8_S8_S8_S8_S8_S8_S8_S8_EEEEPS9_S9_NSD_9__find_if7functorIS9_EEEE10hipError_tPvRmT1_T2_T3_mT4_P12ihipStream_tbEUlT_E0_NS1_11comp_targetILNS1_3genE4ELNS1_11target_archE910ELNS1_3gpuE8ELNS1_3repE0EEENS1_30default_config_static_selectorELNS0_4arch9wavefront6targetE0EEEvS14_
                                        ; -- End function
	.set _ZN7rocprim17ROCPRIM_400000_NS6detail17trampoline_kernelINS0_14default_configENS1_22reduce_config_selectorIN6thrust23THRUST_200600_302600_NS5tupleIblNS6_9null_typeES8_S8_S8_S8_S8_S8_S8_EEEEZNS1_11reduce_implILb1ES3_NS6_12zip_iteratorINS7_INS6_11hip_rocprim26transform_input_iterator_tIbNSD_35transform_pair_of_input_iterators_tIbNS6_6detail15normal_iteratorINS6_10device_ptrIKiEEEESL_NS6_8equal_toIiEEEENSG_9not_fun_tINSD_8identityEEEEENSD_19counting_iterator_tIlEES8_S8_S8_S8_S8_S8_S8_S8_EEEEPS9_S9_NSD_9__find_if7functorIS9_EEEE10hipError_tPvRmT1_T2_T3_mT4_P12ihipStream_tbEUlT_E0_NS1_11comp_targetILNS1_3genE4ELNS1_11target_archE910ELNS1_3gpuE8ELNS1_3repE0EEENS1_30default_config_static_selectorELNS0_4arch9wavefront6targetE0EEEvS14_.num_vgpr, 0
	.set _ZN7rocprim17ROCPRIM_400000_NS6detail17trampoline_kernelINS0_14default_configENS1_22reduce_config_selectorIN6thrust23THRUST_200600_302600_NS5tupleIblNS6_9null_typeES8_S8_S8_S8_S8_S8_S8_EEEEZNS1_11reduce_implILb1ES3_NS6_12zip_iteratorINS7_INS6_11hip_rocprim26transform_input_iterator_tIbNSD_35transform_pair_of_input_iterators_tIbNS6_6detail15normal_iteratorINS6_10device_ptrIKiEEEESL_NS6_8equal_toIiEEEENSG_9not_fun_tINSD_8identityEEEEENSD_19counting_iterator_tIlEES8_S8_S8_S8_S8_S8_S8_S8_EEEEPS9_S9_NSD_9__find_if7functorIS9_EEEE10hipError_tPvRmT1_T2_T3_mT4_P12ihipStream_tbEUlT_E0_NS1_11comp_targetILNS1_3genE4ELNS1_11target_archE910ELNS1_3gpuE8ELNS1_3repE0EEENS1_30default_config_static_selectorELNS0_4arch9wavefront6targetE0EEEvS14_.num_agpr, 0
	.set _ZN7rocprim17ROCPRIM_400000_NS6detail17trampoline_kernelINS0_14default_configENS1_22reduce_config_selectorIN6thrust23THRUST_200600_302600_NS5tupleIblNS6_9null_typeES8_S8_S8_S8_S8_S8_S8_EEEEZNS1_11reduce_implILb1ES3_NS6_12zip_iteratorINS7_INS6_11hip_rocprim26transform_input_iterator_tIbNSD_35transform_pair_of_input_iterators_tIbNS6_6detail15normal_iteratorINS6_10device_ptrIKiEEEESL_NS6_8equal_toIiEEEENSG_9not_fun_tINSD_8identityEEEEENSD_19counting_iterator_tIlEES8_S8_S8_S8_S8_S8_S8_S8_EEEEPS9_S9_NSD_9__find_if7functorIS9_EEEE10hipError_tPvRmT1_T2_T3_mT4_P12ihipStream_tbEUlT_E0_NS1_11comp_targetILNS1_3genE4ELNS1_11target_archE910ELNS1_3gpuE8ELNS1_3repE0EEENS1_30default_config_static_selectorELNS0_4arch9wavefront6targetE0EEEvS14_.numbered_sgpr, 0
	.set _ZN7rocprim17ROCPRIM_400000_NS6detail17trampoline_kernelINS0_14default_configENS1_22reduce_config_selectorIN6thrust23THRUST_200600_302600_NS5tupleIblNS6_9null_typeES8_S8_S8_S8_S8_S8_S8_EEEEZNS1_11reduce_implILb1ES3_NS6_12zip_iteratorINS7_INS6_11hip_rocprim26transform_input_iterator_tIbNSD_35transform_pair_of_input_iterators_tIbNS6_6detail15normal_iteratorINS6_10device_ptrIKiEEEESL_NS6_8equal_toIiEEEENSG_9not_fun_tINSD_8identityEEEEENSD_19counting_iterator_tIlEES8_S8_S8_S8_S8_S8_S8_S8_EEEEPS9_S9_NSD_9__find_if7functorIS9_EEEE10hipError_tPvRmT1_T2_T3_mT4_P12ihipStream_tbEUlT_E0_NS1_11comp_targetILNS1_3genE4ELNS1_11target_archE910ELNS1_3gpuE8ELNS1_3repE0EEENS1_30default_config_static_selectorELNS0_4arch9wavefront6targetE0EEEvS14_.num_named_barrier, 0
	.set _ZN7rocprim17ROCPRIM_400000_NS6detail17trampoline_kernelINS0_14default_configENS1_22reduce_config_selectorIN6thrust23THRUST_200600_302600_NS5tupleIblNS6_9null_typeES8_S8_S8_S8_S8_S8_S8_EEEEZNS1_11reduce_implILb1ES3_NS6_12zip_iteratorINS7_INS6_11hip_rocprim26transform_input_iterator_tIbNSD_35transform_pair_of_input_iterators_tIbNS6_6detail15normal_iteratorINS6_10device_ptrIKiEEEESL_NS6_8equal_toIiEEEENSG_9not_fun_tINSD_8identityEEEEENSD_19counting_iterator_tIlEES8_S8_S8_S8_S8_S8_S8_S8_EEEEPS9_S9_NSD_9__find_if7functorIS9_EEEE10hipError_tPvRmT1_T2_T3_mT4_P12ihipStream_tbEUlT_E0_NS1_11comp_targetILNS1_3genE4ELNS1_11target_archE910ELNS1_3gpuE8ELNS1_3repE0EEENS1_30default_config_static_selectorELNS0_4arch9wavefront6targetE0EEEvS14_.private_seg_size, 0
	.set _ZN7rocprim17ROCPRIM_400000_NS6detail17trampoline_kernelINS0_14default_configENS1_22reduce_config_selectorIN6thrust23THRUST_200600_302600_NS5tupleIblNS6_9null_typeES8_S8_S8_S8_S8_S8_S8_EEEEZNS1_11reduce_implILb1ES3_NS6_12zip_iteratorINS7_INS6_11hip_rocprim26transform_input_iterator_tIbNSD_35transform_pair_of_input_iterators_tIbNS6_6detail15normal_iteratorINS6_10device_ptrIKiEEEESL_NS6_8equal_toIiEEEENSG_9not_fun_tINSD_8identityEEEEENSD_19counting_iterator_tIlEES8_S8_S8_S8_S8_S8_S8_S8_EEEEPS9_S9_NSD_9__find_if7functorIS9_EEEE10hipError_tPvRmT1_T2_T3_mT4_P12ihipStream_tbEUlT_E0_NS1_11comp_targetILNS1_3genE4ELNS1_11target_archE910ELNS1_3gpuE8ELNS1_3repE0EEENS1_30default_config_static_selectorELNS0_4arch9wavefront6targetE0EEEvS14_.uses_vcc, 0
	.set _ZN7rocprim17ROCPRIM_400000_NS6detail17trampoline_kernelINS0_14default_configENS1_22reduce_config_selectorIN6thrust23THRUST_200600_302600_NS5tupleIblNS6_9null_typeES8_S8_S8_S8_S8_S8_S8_EEEEZNS1_11reduce_implILb1ES3_NS6_12zip_iteratorINS7_INS6_11hip_rocprim26transform_input_iterator_tIbNSD_35transform_pair_of_input_iterators_tIbNS6_6detail15normal_iteratorINS6_10device_ptrIKiEEEESL_NS6_8equal_toIiEEEENSG_9not_fun_tINSD_8identityEEEEENSD_19counting_iterator_tIlEES8_S8_S8_S8_S8_S8_S8_S8_EEEEPS9_S9_NSD_9__find_if7functorIS9_EEEE10hipError_tPvRmT1_T2_T3_mT4_P12ihipStream_tbEUlT_E0_NS1_11comp_targetILNS1_3genE4ELNS1_11target_archE910ELNS1_3gpuE8ELNS1_3repE0EEENS1_30default_config_static_selectorELNS0_4arch9wavefront6targetE0EEEvS14_.uses_flat_scratch, 0
	.set _ZN7rocprim17ROCPRIM_400000_NS6detail17trampoline_kernelINS0_14default_configENS1_22reduce_config_selectorIN6thrust23THRUST_200600_302600_NS5tupleIblNS6_9null_typeES8_S8_S8_S8_S8_S8_S8_EEEEZNS1_11reduce_implILb1ES3_NS6_12zip_iteratorINS7_INS6_11hip_rocprim26transform_input_iterator_tIbNSD_35transform_pair_of_input_iterators_tIbNS6_6detail15normal_iteratorINS6_10device_ptrIKiEEEESL_NS6_8equal_toIiEEEENSG_9not_fun_tINSD_8identityEEEEENSD_19counting_iterator_tIlEES8_S8_S8_S8_S8_S8_S8_S8_EEEEPS9_S9_NSD_9__find_if7functorIS9_EEEE10hipError_tPvRmT1_T2_T3_mT4_P12ihipStream_tbEUlT_E0_NS1_11comp_targetILNS1_3genE4ELNS1_11target_archE910ELNS1_3gpuE8ELNS1_3repE0EEENS1_30default_config_static_selectorELNS0_4arch9wavefront6targetE0EEEvS14_.has_dyn_sized_stack, 0
	.set _ZN7rocprim17ROCPRIM_400000_NS6detail17trampoline_kernelINS0_14default_configENS1_22reduce_config_selectorIN6thrust23THRUST_200600_302600_NS5tupleIblNS6_9null_typeES8_S8_S8_S8_S8_S8_S8_EEEEZNS1_11reduce_implILb1ES3_NS6_12zip_iteratorINS7_INS6_11hip_rocprim26transform_input_iterator_tIbNSD_35transform_pair_of_input_iterators_tIbNS6_6detail15normal_iteratorINS6_10device_ptrIKiEEEESL_NS6_8equal_toIiEEEENSG_9not_fun_tINSD_8identityEEEEENSD_19counting_iterator_tIlEES8_S8_S8_S8_S8_S8_S8_S8_EEEEPS9_S9_NSD_9__find_if7functorIS9_EEEE10hipError_tPvRmT1_T2_T3_mT4_P12ihipStream_tbEUlT_E0_NS1_11comp_targetILNS1_3genE4ELNS1_11target_archE910ELNS1_3gpuE8ELNS1_3repE0EEENS1_30default_config_static_selectorELNS0_4arch9wavefront6targetE0EEEvS14_.has_recursion, 0
	.set _ZN7rocprim17ROCPRIM_400000_NS6detail17trampoline_kernelINS0_14default_configENS1_22reduce_config_selectorIN6thrust23THRUST_200600_302600_NS5tupleIblNS6_9null_typeES8_S8_S8_S8_S8_S8_S8_EEEEZNS1_11reduce_implILb1ES3_NS6_12zip_iteratorINS7_INS6_11hip_rocprim26transform_input_iterator_tIbNSD_35transform_pair_of_input_iterators_tIbNS6_6detail15normal_iteratorINS6_10device_ptrIKiEEEESL_NS6_8equal_toIiEEEENSG_9not_fun_tINSD_8identityEEEEENSD_19counting_iterator_tIlEES8_S8_S8_S8_S8_S8_S8_S8_EEEEPS9_S9_NSD_9__find_if7functorIS9_EEEE10hipError_tPvRmT1_T2_T3_mT4_P12ihipStream_tbEUlT_E0_NS1_11comp_targetILNS1_3genE4ELNS1_11target_archE910ELNS1_3gpuE8ELNS1_3repE0EEENS1_30default_config_static_selectorELNS0_4arch9wavefront6targetE0EEEvS14_.has_indirect_call, 0
	.section	.AMDGPU.csdata,"",@progbits
; Kernel info:
; codeLenInByte = 0
; TotalNumSgprs: 0
; NumVgprs: 0
; ScratchSize: 0
; MemoryBound: 0
; FloatMode: 240
; IeeeMode: 1
; LDSByteSize: 0 bytes/workgroup (compile time only)
; SGPRBlocks: 0
; VGPRBlocks: 0
; NumSGPRsForWavesPerEU: 1
; NumVGPRsForWavesPerEU: 1
; Occupancy: 16
; WaveLimiterHint : 0
; COMPUTE_PGM_RSRC2:SCRATCH_EN: 0
; COMPUTE_PGM_RSRC2:USER_SGPR: 6
; COMPUTE_PGM_RSRC2:TRAP_HANDLER: 0
; COMPUTE_PGM_RSRC2:TGID_X_EN: 1
; COMPUTE_PGM_RSRC2:TGID_Y_EN: 0
; COMPUTE_PGM_RSRC2:TGID_Z_EN: 0
; COMPUTE_PGM_RSRC2:TIDIG_COMP_CNT: 0
	.section	.text._ZN7rocprim17ROCPRIM_400000_NS6detail17trampoline_kernelINS0_14default_configENS1_22reduce_config_selectorIN6thrust23THRUST_200600_302600_NS5tupleIblNS6_9null_typeES8_S8_S8_S8_S8_S8_S8_EEEEZNS1_11reduce_implILb1ES3_NS6_12zip_iteratorINS7_INS6_11hip_rocprim26transform_input_iterator_tIbNSD_35transform_pair_of_input_iterators_tIbNS6_6detail15normal_iteratorINS6_10device_ptrIKiEEEESL_NS6_8equal_toIiEEEENSG_9not_fun_tINSD_8identityEEEEENSD_19counting_iterator_tIlEES8_S8_S8_S8_S8_S8_S8_S8_EEEEPS9_S9_NSD_9__find_if7functorIS9_EEEE10hipError_tPvRmT1_T2_T3_mT4_P12ihipStream_tbEUlT_E0_NS1_11comp_targetILNS1_3genE3ELNS1_11target_archE908ELNS1_3gpuE7ELNS1_3repE0EEENS1_30default_config_static_selectorELNS0_4arch9wavefront6targetE0EEEvS14_,"axG",@progbits,_ZN7rocprim17ROCPRIM_400000_NS6detail17trampoline_kernelINS0_14default_configENS1_22reduce_config_selectorIN6thrust23THRUST_200600_302600_NS5tupleIblNS6_9null_typeES8_S8_S8_S8_S8_S8_S8_EEEEZNS1_11reduce_implILb1ES3_NS6_12zip_iteratorINS7_INS6_11hip_rocprim26transform_input_iterator_tIbNSD_35transform_pair_of_input_iterators_tIbNS6_6detail15normal_iteratorINS6_10device_ptrIKiEEEESL_NS6_8equal_toIiEEEENSG_9not_fun_tINSD_8identityEEEEENSD_19counting_iterator_tIlEES8_S8_S8_S8_S8_S8_S8_S8_EEEEPS9_S9_NSD_9__find_if7functorIS9_EEEE10hipError_tPvRmT1_T2_T3_mT4_P12ihipStream_tbEUlT_E0_NS1_11comp_targetILNS1_3genE3ELNS1_11target_archE908ELNS1_3gpuE7ELNS1_3repE0EEENS1_30default_config_static_selectorELNS0_4arch9wavefront6targetE0EEEvS14_,comdat
	.protected	_ZN7rocprim17ROCPRIM_400000_NS6detail17trampoline_kernelINS0_14default_configENS1_22reduce_config_selectorIN6thrust23THRUST_200600_302600_NS5tupleIblNS6_9null_typeES8_S8_S8_S8_S8_S8_S8_EEEEZNS1_11reduce_implILb1ES3_NS6_12zip_iteratorINS7_INS6_11hip_rocprim26transform_input_iterator_tIbNSD_35transform_pair_of_input_iterators_tIbNS6_6detail15normal_iteratorINS6_10device_ptrIKiEEEESL_NS6_8equal_toIiEEEENSG_9not_fun_tINSD_8identityEEEEENSD_19counting_iterator_tIlEES8_S8_S8_S8_S8_S8_S8_S8_EEEEPS9_S9_NSD_9__find_if7functorIS9_EEEE10hipError_tPvRmT1_T2_T3_mT4_P12ihipStream_tbEUlT_E0_NS1_11comp_targetILNS1_3genE3ELNS1_11target_archE908ELNS1_3gpuE7ELNS1_3repE0EEENS1_30default_config_static_selectorELNS0_4arch9wavefront6targetE0EEEvS14_ ; -- Begin function _ZN7rocprim17ROCPRIM_400000_NS6detail17trampoline_kernelINS0_14default_configENS1_22reduce_config_selectorIN6thrust23THRUST_200600_302600_NS5tupleIblNS6_9null_typeES8_S8_S8_S8_S8_S8_S8_EEEEZNS1_11reduce_implILb1ES3_NS6_12zip_iteratorINS7_INS6_11hip_rocprim26transform_input_iterator_tIbNSD_35transform_pair_of_input_iterators_tIbNS6_6detail15normal_iteratorINS6_10device_ptrIKiEEEESL_NS6_8equal_toIiEEEENSG_9not_fun_tINSD_8identityEEEEENSD_19counting_iterator_tIlEES8_S8_S8_S8_S8_S8_S8_S8_EEEEPS9_S9_NSD_9__find_if7functorIS9_EEEE10hipError_tPvRmT1_T2_T3_mT4_P12ihipStream_tbEUlT_E0_NS1_11comp_targetILNS1_3genE3ELNS1_11target_archE908ELNS1_3gpuE7ELNS1_3repE0EEENS1_30default_config_static_selectorELNS0_4arch9wavefront6targetE0EEEvS14_
	.globl	_ZN7rocprim17ROCPRIM_400000_NS6detail17trampoline_kernelINS0_14default_configENS1_22reduce_config_selectorIN6thrust23THRUST_200600_302600_NS5tupleIblNS6_9null_typeES8_S8_S8_S8_S8_S8_S8_EEEEZNS1_11reduce_implILb1ES3_NS6_12zip_iteratorINS7_INS6_11hip_rocprim26transform_input_iterator_tIbNSD_35transform_pair_of_input_iterators_tIbNS6_6detail15normal_iteratorINS6_10device_ptrIKiEEEESL_NS6_8equal_toIiEEEENSG_9not_fun_tINSD_8identityEEEEENSD_19counting_iterator_tIlEES8_S8_S8_S8_S8_S8_S8_S8_EEEEPS9_S9_NSD_9__find_if7functorIS9_EEEE10hipError_tPvRmT1_T2_T3_mT4_P12ihipStream_tbEUlT_E0_NS1_11comp_targetILNS1_3genE3ELNS1_11target_archE908ELNS1_3gpuE7ELNS1_3repE0EEENS1_30default_config_static_selectorELNS0_4arch9wavefront6targetE0EEEvS14_
	.p2align	8
	.type	_ZN7rocprim17ROCPRIM_400000_NS6detail17trampoline_kernelINS0_14default_configENS1_22reduce_config_selectorIN6thrust23THRUST_200600_302600_NS5tupleIblNS6_9null_typeES8_S8_S8_S8_S8_S8_S8_EEEEZNS1_11reduce_implILb1ES3_NS6_12zip_iteratorINS7_INS6_11hip_rocprim26transform_input_iterator_tIbNSD_35transform_pair_of_input_iterators_tIbNS6_6detail15normal_iteratorINS6_10device_ptrIKiEEEESL_NS6_8equal_toIiEEEENSG_9not_fun_tINSD_8identityEEEEENSD_19counting_iterator_tIlEES8_S8_S8_S8_S8_S8_S8_S8_EEEEPS9_S9_NSD_9__find_if7functorIS9_EEEE10hipError_tPvRmT1_T2_T3_mT4_P12ihipStream_tbEUlT_E0_NS1_11comp_targetILNS1_3genE3ELNS1_11target_archE908ELNS1_3gpuE7ELNS1_3repE0EEENS1_30default_config_static_selectorELNS0_4arch9wavefront6targetE0EEEvS14_,@function
_ZN7rocprim17ROCPRIM_400000_NS6detail17trampoline_kernelINS0_14default_configENS1_22reduce_config_selectorIN6thrust23THRUST_200600_302600_NS5tupleIblNS6_9null_typeES8_S8_S8_S8_S8_S8_S8_EEEEZNS1_11reduce_implILb1ES3_NS6_12zip_iteratorINS7_INS6_11hip_rocprim26transform_input_iterator_tIbNSD_35transform_pair_of_input_iterators_tIbNS6_6detail15normal_iteratorINS6_10device_ptrIKiEEEESL_NS6_8equal_toIiEEEENSG_9not_fun_tINSD_8identityEEEEENSD_19counting_iterator_tIlEES8_S8_S8_S8_S8_S8_S8_S8_EEEEPS9_S9_NSD_9__find_if7functorIS9_EEEE10hipError_tPvRmT1_T2_T3_mT4_P12ihipStream_tbEUlT_E0_NS1_11comp_targetILNS1_3genE3ELNS1_11target_archE908ELNS1_3gpuE7ELNS1_3repE0EEENS1_30default_config_static_selectorELNS0_4arch9wavefront6targetE0EEEvS14_: ; @_ZN7rocprim17ROCPRIM_400000_NS6detail17trampoline_kernelINS0_14default_configENS1_22reduce_config_selectorIN6thrust23THRUST_200600_302600_NS5tupleIblNS6_9null_typeES8_S8_S8_S8_S8_S8_S8_EEEEZNS1_11reduce_implILb1ES3_NS6_12zip_iteratorINS7_INS6_11hip_rocprim26transform_input_iterator_tIbNSD_35transform_pair_of_input_iterators_tIbNS6_6detail15normal_iteratorINS6_10device_ptrIKiEEEESL_NS6_8equal_toIiEEEENSG_9not_fun_tINSD_8identityEEEEENSD_19counting_iterator_tIlEES8_S8_S8_S8_S8_S8_S8_S8_EEEEPS9_S9_NSD_9__find_if7functorIS9_EEEE10hipError_tPvRmT1_T2_T3_mT4_P12ihipStream_tbEUlT_E0_NS1_11comp_targetILNS1_3genE3ELNS1_11target_archE908ELNS1_3gpuE7ELNS1_3repE0EEENS1_30default_config_static_selectorELNS0_4arch9wavefront6targetE0EEEvS14_
; %bb.0:
	.section	.rodata,"a",@progbits
	.p2align	6, 0x0
	.amdhsa_kernel _ZN7rocprim17ROCPRIM_400000_NS6detail17trampoline_kernelINS0_14default_configENS1_22reduce_config_selectorIN6thrust23THRUST_200600_302600_NS5tupleIblNS6_9null_typeES8_S8_S8_S8_S8_S8_S8_EEEEZNS1_11reduce_implILb1ES3_NS6_12zip_iteratorINS7_INS6_11hip_rocprim26transform_input_iterator_tIbNSD_35transform_pair_of_input_iterators_tIbNS6_6detail15normal_iteratorINS6_10device_ptrIKiEEEESL_NS6_8equal_toIiEEEENSG_9not_fun_tINSD_8identityEEEEENSD_19counting_iterator_tIlEES8_S8_S8_S8_S8_S8_S8_S8_EEEEPS9_S9_NSD_9__find_if7functorIS9_EEEE10hipError_tPvRmT1_T2_T3_mT4_P12ihipStream_tbEUlT_E0_NS1_11comp_targetILNS1_3genE3ELNS1_11target_archE908ELNS1_3gpuE7ELNS1_3repE0EEENS1_30default_config_static_selectorELNS0_4arch9wavefront6targetE0EEEvS14_
		.amdhsa_group_segment_fixed_size 0
		.amdhsa_private_segment_fixed_size 0
		.amdhsa_kernarg_size 104
		.amdhsa_user_sgpr_count 6
		.amdhsa_user_sgpr_private_segment_buffer 1
		.amdhsa_user_sgpr_dispatch_ptr 0
		.amdhsa_user_sgpr_queue_ptr 0
		.amdhsa_user_sgpr_kernarg_segment_ptr 1
		.amdhsa_user_sgpr_dispatch_id 0
		.amdhsa_user_sgpr_flat_scratch_init 0
		.amdhsa_user_sgpr_private_segment_size 0
		.amdhsa_wavefront_size32 1
		.amdhsa_uses_dynamic_stack 0
		.amdhsa_system_sgpr_private_segment_wavefront_offset 0
		.amdhsa_system_sgpr_workgroup_id_x 1
		.amdhsa_system_sgpr_workgroup_id_y 0
		.amdhsa_system_sgpr_workgroup_id_z 0
		.amdhsa_system_sgpr_workgroup_info 0
		.amdhsa_system_vgpr_workitem_id 0
		.amdhsa_next_free_vgpr 1
		.amdhsa_next_free_sgpr 1
		.amdhsa_reserve_vcc 0
		.amdhsa_reserve_flat_scratch 0
		.amdhsa_float_round_mode_32 0
		.amdhsa_float_round_mode_16_64 0
		.amdhsa_float_denorm_mode_32 3
		.amdhsa_float_denorm_mode_16_64 3
		.amdhsa_dx10_clamp 1
		.amdhsa_ieee_mode 1
		.amdhsa_fp16_overflow 0
		.amdhsa_workgroup_processor_mode 1
		.amdhsa_memory_ordered 1
		.amdhsa_forward_progress 1
		.amdhsa_shared_vgpr_count 0
		.amdhsa_exception_fp_ieee_invalid_op 0
		.amdhsa_exception_fp_denorm_src 0
		.amdhsa_exception_fp_ieee_div_zero 0
		.amdhsa_exception_fp_ieee_overflow 0
		.amdhsa_exception_fp_ieee_underflow 0
		.amdhsa_exception_fp_ieee_inexact 0
		.amdhsa_exception_int_div_zero 0
	.end_amdhsa_kernel
	.section	.text._ZN7rocprim17ROCPRIM_400000_NS6detail17trampoline_kernelINS0_14default_configENS1_22reduce_config_selectorIN6thrust23THRUST_200600_302600_NS5tupleIblNS6_9null_typeES8_S8_S8_S8_S8_S8_S8_EEEEZNS1_11reduce_implILb1ES3_NS6_12zip_iteratorINS7_INS6_11hip_rocprim26transform_input_iterator_tIbNSD_35transform_pair_of_input_iterators_tIbNS6_6detail15normal_iteratorINS6_10device_ptrIKiEEEESL_NS6_8equal_toIiEEEENSG_9not_fun_tINSD_8identityEEEEENSD_19counting_iterator_tIlEES8_S8_S8_S8_S8_S8_S8_S8_EEEEPS9_S9_NSD_9__find_if7functorIS9_EEEE10hipError_tPvRmT1_T2_T3_mT4_P12ihipStream_tbEUlT_E0_NS1_11comp_targetILNS1_3genE3ELNS1_11target_archE908ELNS1_3gpuE7ELNS1_3repE0EEENS1_30default_config_static_selectorELNS0_4arch9wavefront6targetE0EEEvS14_,"axG",@progbits,_ZN7rocprim17ROCPRIM_400000_NS6detail17trampoline_kernelINS0_14default_configENS1_22reduce_config_selectorIN6thrust23THRUST_200600_302600_NS5tupleIblNS6_9null_typeES8_S8_S8_S8_S8_S8_S8_EEEEZNS1_11reduce_implILb1ES3_NS6_12zip_iteratorINS7_INS6_11hip_rocprim26transform_input_iterator_tIbNSD_35transform_pair_of_input_iterators_tIbNS6_6detail15normal_iteratorINS6_10device_ptrIKiEEEESL_NS6_8equal_toIiEEEENSG_9not_fun_tINSD_8identityEEEEENSD_19counting_iterator_tIlEES8_S8_S8_S8_S8_S8_S8_S8_EEEEPS9_S9_NSD_9__find_if7functorIS9_EEEE10hipError_tPvRmT1_T2_T3_mT4_P12ihipStream_tbEUlT_E0_NS1_11comp_targetILNS1_3genE3ELNS1_11target_archE908ELNS1_3gpuE7ELNS1_3repE0EEENS1_30default_config_static_selectorELNS0_4arch9wavefront6targetE0EEEvS14_,comdat
.Lfunc_end264:
	.size	_ZN7rocprim17ROCPRIM_400000_NS6detail17trampoline_kernelINS0_14default_configENS1_22reduce_config_selectorIN6thrust23THRUST_200600_302600_NS5tupleIblNS6_9null_typeES8_S8_S8_S8_S8_S8_S8_EEEEZNS1_11reduce_implILb1ES3_NS6_12zip_iteratorINS7_INS6_11hip_rocprim26transform_input_iterator_tIbNSD_35transform_pair_of_input_iterators_tIbNS6_6detail15normal_iteratorINS6_10device_ptrIKiEEEESL_NS6_8equal_toIiEEEENSG_9not_fun_tINSD_8identityEEEEENSD_19counting_iterator_tIlEES8_S8_S8_S8_S8_S8_S8_S8_EEEEPS9_S9_NSD_9__find_if7functorIS9_EEEE10hipError_tPvRmT1_T2_T3_mT4_P12ihipStream_tbEUlT_E0_NS1_11comp_targetILNS1_3genE3ELNS1_11target_archE908ELNS1_3gpuE7ELNS1_3repE0EEENS1_30default_config_static_selectorELNS0_4arch9wavefront6targetE0EEEvS14_, .Lfunc_end264-_ZN7rocprim17ROCPRIM_400000_NS6detail17trampoline_kernelINS0_14default_configENS1_22reduce_config_selectorIN6thrust23THRUST_200600_302600_NS5tupleIblNS6_9null_typeES8_S8_S8_S8_S8_S8_S8_EEEEZNS1_11reduce_implILb1ES3_NS6_12zip_iteratorINS7_INS6_11hip_rocprim26transform_input_iterator_tIbNSD_35transform_pair_of_input_iterators_tIbNS6_6detail15normal_iteratorINS6_10device_ptrIKiEEEESL_NS6_8equal_toIiEEEENSG_9not_fun_tINSD_8identityEEEEENSD_19counting_iterator_tIlEES8_S8_S8_S8_S8_S8_S8_S8_EEEEPS9_S9_NSD_9__find_if7functorIS9_EEEE10hipError_tPvRmT1_T2_T3_mT4_P12ihipStream_tbEUlT_E0_NS1_11comp_targetILNS1_3genE3ELNS1_11target_archE908ELNS1_3gpuE7ELNS1_3repE0EEENS1_30default_config_static_selectorELNS0_4arch9wavefront6targetE0EEEvS14_
                                        ; -- End function
	.set _ZN7rocprim17ROCPRIM_400000_NS6detail17trampoline_kernelINS0_14default_configENS1_22reduce_config_selectorIN6thrust23THRUST_200600_302600_NS5tupleIblNS6_9null_typeES8_S8_S8_S8_S8_S8_S8_EEEEZNS1_11reduce_implILb1ES3_NS6_12zip_iteratorINS7_INS6_11hip_rocprim26transform_input_iterator_tIbNSD_35transform_pair_of_input_iterators_tIbNS6_6detail15normal_iteratorINS6_10device_ptrIKiEEEESL_NS6_8equal_toIiEEEENSG_9not_fun_tINSD_8identityEEEEENSD_19counting_iterator_tIlEES8_S8_S8_S8_S8_S8_S8_S8_EEEEPS9_S9_NSD_9__find_if7functorIS9_EEEE10hipError_tPvRmT1_T2_T3_mT4_P12ihipStream_tbEUlT_E0_NS1_11comp_targetILNS1_3genE3ELNS1_11target_archE908ELNS1_3gpuE7ELNS1_3repE0EEENS1_30default_config_static_selectorELNS0_4arch9wavefront6targetE0EEEvS14_.num_vgpr, 0
	.set _ZN7rocprim17ROCPRIM_400000_NS6detail17trampoline_kernelINS0_14default_configENS1_22reduce_config_selectorIN6thrust23THRUST_200600_302600_NS5tupleIblNS6_9null_typeES8_S8_S8_S8_S8_S8_S8_EEEEZNS1_11reduce_implILb1ES3_NS6_12zip_iteratorINS7_INS6_11hip_rocprim26transform_input_iterator_tIbNSD_35transform_pair_of_input_iterators_tIbNS6_6detail15normal_iteratorINS6_10device_ptrIKiEEEESL_NS6_8equal_toIiEEEENSG_9not_fun_tINSD_8identityEEEEENSD_19counting_iterator_tIlEES8_S8_S8_S8_S8_S8_S8_S8_EEEEPS9_S9_NSD_9__find_if7functorIS9_EEEE10hipError_tPvRmT1_T2_T3_mT4_P12ihipStream_tbEUlT_E0_NS1_11comp_targetILNS1_3genE3ELNS1_11target_archE908ELNS1_3gpuE7ELNS1_3repE0EEENS1_30default_config_static_selectorELNS0_4arch9wavefront6targetE0EEEvS14_.num_agpr, 0
	.set _ZN7rocprim17ROCPRIM_400000_NS6detail17trampoline_kernelINS0_14default_configENS1_22reduce_config_selectorIN6thrust23THRUST_200600_302600_NS5tupleIblNS6_9null_typeES8_S8_S8_S8_S8_S8_S8_EEEEZNS1_11reduce_implILb1ES3_NS6_12zip_iteratorINS7_INS6_11hip_rocprim26transform_input_iterator_tIbNSD_35transform_pair_of_input_iterators_tIbNS6_6detail15normal_iteratorINS6_10device_ptrIKiEEEESL_NS6_8equal_toIiEEEENSG_9not_fun_tINSD_8identityEEEEENSD_19counting_iterator_tIlEES8_S8_S8_S8_S8_S8_S8_S8_EEEEPS9_S9_NSD_9__find_if7functorIS9_EEEE10hipError_tPvRmT1_T2_T3_mT4_P12ihipStream_tbEUlT_E0_NS1_11comp_targetILNS1_3genE3ELNS1_11target_archE908ELNS1_3gpuE7ELNS1_3repE0EEENS1_30default_config_static_selectorELNS0_4arch9wavefront6targetE0EEEvS14_.numbered_sgpr, 0
	.set _ZN7rocprim17ROCPRIM_400000_NS6detail17trampoline_kernelINS0_14default_configENS1_22reduce_config_selectorIN6thrust23THRUST_200600_302600_NS5tupleIblNS6_9null_typeES8_S8_S8_S8_S8_S8_S8_EEEEZNS1_11reduce_implILb1ES3_NS6_12zip_iteratorINS7_INS6_11hip_rocprim26transform_input_iterator_tIbNSD_35transform_pair_of_input_iterators_tIbNS6_6detail15normal_iteratorINS6_10device_ptrIKiEEEESL_NS6_8equal_toIiEEEENSG_9not_fun_tINSD_8identityEEEEENSD_19counting_iterator_tIlEES8_S8_S8_S8_S8_S8_S8_S8_EEEEPS9_S9_NSD_9__find_if7functorIS9_EEEE10hipError_tPvRmT1_T2_T3_mT4_P12ihipStream_tbEUlT_E0_NS1_11comp_targetILNS1_3genE3ELNS1_11target_archE908ELNS1_3gpuE7ELNS1_3repE0EEENS1_30default_config_static_selectorELNS0_4arch9wavefront6targetE0EEEvS14_.num_named_barrier, 0
	.set _ZN7rocprim17ROCPRIM_400000_NS6detail17trampoline_kernelINS0_14default_configENS1_22reduce_config_selectorIN6thrust23THRUST_200600_302600_NS5tupleIblNS6_9null_typeES8_S8_S8_S8_S8_S8_S8_EEEEZNS1_11reduce_implILb1ES3_NS6_12zip_iteratorINS7_INS6_11hip_rocprim26transform_input_iterator_tIbNSD_35transform_pair_of_input_iterators_tIbNS6_6detail15normal_iteratorINS6_10device_ptrIKiEEEESL_NS6_8equal_toIiEEEENSG_9not_fun_tINSD_8identityEEEEENSD_19counting_iterator_tIlEES8_S8_S8_S8_S8_S8_S8_S8_EEEEPS9_S9_NSD_9__find_if7functorIS9_EEEE10hipError_tPvRmT1_T2_T3_mT4_P12ihipStream_tbEUlT_E0_NS1_11comp_targetILNS1_3genE3ELNS1_11target_archE908ELNS1_3gpuE7ELNS1_3repE0EEENS1_30default_config_static_selectorELNS0_4arch9wavefront6targetE0EEEvS14_.private_seg_size, 0
	.set _ZN7rocprim17ROCPRIM_400000_NS6detail17trampoline_kernelINS0_14default_configENS1_22reduce_config_selectorIN6thrust23THRUST_200600_302600_NS5tupleIblNS6_9null_typeES8_S8_S8_S8_S8_S8_S8_EEEEZNS1_11reduce_implILb1ES3_NS6_12zip_iteratorINS7_INS6_11hip_rocprim26transform_input_iterator_tIbNSD_35transform_pair_of_input_iterators_tIbNS6_6detail15normal_iteratorINS6_10device_ptrIKiEEEESL_NS6_8equal_toIiEEEENSG_9not_fun_tINSD_8identityEEEEENSD_19counting_iterator_tIlEES8_S8_S8_S8_S8_S8_S8_S8_EEEEPS9_S9_NSD_9__find_if7functorIS9_EEEE10hipError_tPvRmT1_T2_T3_mT4_P12ihipStream_tbEUlT_E0_NS1_11comp_targetILNS1_3genE3ELNS1_11target_archE908ELNS1_3gpuE7ELNS1_3repE0EEENS1_30default_config_static_selectorELNS0_4arch9wavefront6targetE0EEEvS14_.uses_vcc, 0
	.set _ZN7rocprim17ROCPRIM_400000_NS6detail17trampoline_kernelINS0_14default_configENS1_22reduce_config_selectorIN6thrust23THRUST_200600_302600_NS5tupleIblNS6_9null_typeES8_S8_S8_S8_S8_S8_S8_EEEEZNS1_11reduce_implILb1ES3_NS6_12zip_iteratorINS7_INS6_11hip_rocprim26transform_input_iterator_tIbNSD_35transform_pair_of_input_iterators_tIbNS6_6detail15normal_iteratorINS6_10device_ptrIKiEEEESL_NS6_8equal_toIiEEEENSG_9not_fun_tINSD_8identityEEEEENSD_19counting_iterator_tIlEES8_S8_S8_S8_S8_S8_S8_S8_EEEEPS9_S9_NSD_9__find_if7functorIS9_EEEE10hipError_tPvRmT1_T2_T3_mT4_P12ihipStream_tbEUlT_E0_NS1_11comp_targetILNS1_3genE3ELNS1_11target_archE908ELNS1_3gpuE7ELNS1_3repE0EEENS1_30default_config_static_selectorELNS0_4arch9wavefront6targetE0EEEvS14_.uses_flat_scratch, 0
	.set _ZN7rocprim17ROCPRIM_400000_NS6detail17trampoline_kernelINS0_14default_configENS1_22reduce_config_selectorIN6thrust23THRUST_200600_302600_NS5tupleIblNS6_9null_typeES8_S8_S8_S8_S8_S8_S8_EEEEZNS1_11reduce_implILb1ES3_NS6_12zip_iteratorINS7_INS6_11hip_rocprim26transform_input_iterator_tIbNSD_35transform_pair_of_input_iterators_tIbNS6_6detail15normal_iteratorINS6_10device_ptrIKiEEEESL_NS6_8equal_toIiEEEENSG_9not_fun_tINSD_8identityEEEEENSD_19counting_iterator_tIlEES8_S8_S8_S8_S8_S8_S8_S8_EEEEPS9_S9_NSD_9__find_if7functorIS9_EEEE10hipError_tPvRmT1_T2_T3_mT4_P12ihipStream_tbEUlT_E0_NS1_11comp_targetILNS1_3genE3ELNS1_11target_archE908ELNS1_3gpuE7ELNS1_3repE0EEENS1_30default_config_static_selectorELNS0_4arch9wavefront6targetE0EEEvS14_.has_dyn_sized_stack, 0
	.set _ZN7rocprim17ROCPRIM_400000_NS6detail17trampoline_kernelINS0_14default_configENS1_22reduce_config_selectorIN6thrust23THRUST_200600_302600_NS5tupleIblNS6_9null_typeES8_S8_S8_S8_S8_S8_S8_EEEEZNS1_11reduce_implILb1ES3_NS6_12zip_iteratorINS7_INS6_11hip_rocprim26transform_input_iterator_tIbNSD_35transform_pair_of_input_iterators_tIbNS6_6detail15normal_iteratorINS6_10device_ptrIKiEEEESL_NS6_8equal_toIiEEEENSG_9not_fun_tINSD_8identityEEEEENSD_19counting_iterator_tIlEES8_S8_S8_S8_S8_S8_S8_S8_EEEEPS9_S9_NSD_9__find_if7functorIS9_EEEE10hipError_tPvRmT1_T2_T3_mT4_P12ihipStream_tbEUlT_E0_NS1_11comp_targetILNS1_3genE3ELNS1_11target_archE908ELNS1_3gpuE7ELNS1_3repE0EEENS1_30default_config_static_selectorELNS0_4arch9wavefront6targetE0EEEvS14_.has_recursion, 0
	.set _ZN7rocprim17ROCPRIM_400000_NS6detail17trampoline_kernelINS0_14default_configENS1_22reduce_config_selectorIN6thrust23THRUST_200600_302600_NS5tupleIblNS6_9null_typeES8_S8_S8_S8_S8_S8_S8_EEEEZNS1_11reduce_implILb1ES3_NS6_12zip_iteratorINS7_INS6_11hip_rocprim26transform_input_iterator_tIbNSD_35transform_pair_of_input_iterators_tIbNS6_6detail15normal_iteratorINS6_10device_ptrIKiEEEESL_NS6_8equal_toIiEEEENSG_9not_fun_tINSD_8identityEEEEENSD_19counting_iterator_tIlEES8_S8_S8_S8_S8_S8_S8_S8_EEEEPS9_S9_NSD_9__find_if7functorIS9_EEEE10hipError_tPvRmT1_T2_T3_mT4_P12ihipStream_tbEUlT_E0_NS1_11comp_targetILNS1_3genE3ELNS1_11target_archE908ELNS1_3gpuE7ELNS1_3repE0EEENS1_30default_config_static_selectorELNS0_4arch9wavefront6targetE0EEEvS14_.has_indirect_call, 0
	.section	.AMDGPU.csdata,"",@progbits
; Kernel info:
; codeLenInByte = 0
; TotalNumSgprs: 0
; NumVgprs: 0
; ScratchSize: 0
; MemoryBound: 0
; FloatMode: 240
; IeeeMode: 1
; LDSByteSize: 0 bytes/workgroup (compile time only)
; SGPRBlocks: 0
; VGPRBlocks: 0
; NumSGPRsForWavesPerEU: 1
; NumVGPRsForWavesPerEU: 1
; Occupancy: 16
; WaveLimiterHint : 0
; COMPUTE_PGM_RSRC2:SCRATCH_EN: 0
; COMPUTE_PGM_RSRC2:USER_SGPR: 6
; COMPUTE_PGM_RSRC2:TRAP_HANDLER: 0
; COMPUTE_PGM_RSRC2:TGID_X_EN: 1
; COMPUTE_PGM_RSRC2:TGID_Y_EN: 0
; COMPUTE_PGM_RSRC2:TGID_Z_EN: 0
; COMPUTE_PGM_RSRC2:TIDIG_COMP_CNT: 0
	.section	.text._ZN7rocprim17ROCPRIM_400000_NS6detail17trampoline_kernelINS0_14default_configENS1_22reduce_config_selectorIN6thrust23THRUST_200600_302600_NS5tupleIblNS6_9null_typeES8_S8_S8_S8_S8_S8_S8_EEEEZNS1_11reduce_implILb1ES3_NS6_12zip_iteratorINS7_INS6_11hip_rocprim26transform_input_iterator_tIbNSD_35transform_pair_of_input_iterators_tIbNS6_6detail15normal_iteratorINS6_10device_ptrIKiEEEESL_NS6_8equal_toIiEEEENSG_9not_fun_tINSD_8identityEEEEENSD_19counting_iterator_tIlEES8_S8_S8_S8_S8_S8_S8_S8_EEEEPS9_S9_NSD_9__find_if7functorIS9_EEEE10hipError_tPvRmT1_T2_T3_mT4_P12ihipStream_tbEUlT_E0_NS1_11comp_targetILNS1_3genE2ELNS1_11target_archE906ELNS1_3gpuE6ELNS1_3repE0EEENS1_30default_config_static_selectorELNS0_4arch9wavefront6targetE0EEEvS14_,"axG",@progbits,_ZN7rocprim17ROCPRIM_400000_NS6detail17trampoline_kernelINS0_14default_configENS1_22reduce_config_selectorIN6thrust23THRUST_200600_302600_NS5tupleIblNS6_9null_typeES8_S8_S8_S8_S8_S8_S8_EEEEZNS1_11reduce_implILb1ES3_NS6_12zip_iteratorINS7_INS6_11hip_rocprim26transform_input_iterator_tIbNSD_35transform_pair_of_input_iterators_tIbNS6_6detail15normal_iteratorINS6_10device_ptrIKiEEEESL_NS6_8equal_toIiEEEENSG_9not_fun_tINSD_8identityEEEEENSD_19counting_iterator_tIlEES8_S8_S8_S8_S8_S8_S8_S8_EEEEPS9_S9_NSD_9__find_if7functorIS9_EEEE10hipError_tPvRmT1_T2_T3_mT4_P12ihipStream_tbEUlT_E0_NS1_11comp_targetILNS1_3genE2ELNS1_11target_archE906ELNS1_3gpuE6ELNS1_3repE0EEENS1_30default_config_static_selectorELNS0_4arch9wavefront6targetE0EEEvS14_,comdat
	.protected	_ZN7rocprim17ROCPRIM_400000_NS6detail17trampoline_kernelINS0_14default_configENS1_22reduce_config_selectorIN6thrust23THRUST_200600_302600_NS5tupleIblNS6_9null_typeES8_S8_S8_S8_S8_S8_S8_EEEEZNS1_11reduce_implILb1ES3_NS6_12zip_iteratorINS7_INS6_11hip_rocprim26transform_input_iterator_tIbNSD_35transform_pair_of_input_iterators_tIbNS6_6detail15normal_iteratorINS6_10device_ptrIKiEEEESL_NS6_8equal_toIiEEEENSG_9not_fun_tINSD_8identityEEEEENSD_19counting_iterator_tIlEES8_S8_S8_S8_S8_S8_S8_S8_EEEEPS9_S9_NSD_9__find_if7functorIS9_EEEE10hipError_tPvRmT1_T2_T3_mT4_P12ihipStream_tbEUlT_E0_NS1_11comp_targetILNS1_3genE2ELNS1_11target_archE906ELNS1_3gpuE6ELNS1_3repE0EEENS1_30default_config_static_selectorELNS0_4arch9wavefront6targetE0EEEvS14_ ; -- Begin function _ZN7rocprim17ROCPRIM_400000_NS6detail17trampoline_kernelINS0_14default_configENS1_22reduce_config_selectorIN6thrust23THRUST_200600_302600_NS5tupleIblNS6_9null_typeES8_S8_S8_S8_S8_S8_S8_EEEEZNS1_11reduce_implILb1ES3_NS6_12zip_iteratorINS7_INS6_11hip_rocprim26transform_input_iterator_tIbNSD_35transform_pair_of_input_iterators_tIbNS6_6detail15normal_iteratorINS6_10device_ptrIKiEEEESL_NS6_8equal_toIiEEEENSG_9not_fun_tINSD_8identityEEEEENSD_19counting_iterator_tIlEES8_S8_S8_S8_S8_S8_S8_S8_EEEEPS9_S9_NSD_9__find_if7functorIS9_EEEE10hipError_tPvRmT1_T2_T3_mT4_P12ihipStream_tbEUlT_E0_NS1_11comp_targetILNS1_3genE2ELNS1_11target_archE906ELNS1_3gpuE6ELNS1_3repE0EEENS1_30default_config_static_selectorELNS0_4arch9wavefront6targetE0EEEvS14_
	.globl	_ZN7rocprim17ROCPRIM_400000_NS6detail17trampoline_kernelINS0_14default_configENS1_22reduce_config_selectorIN6thrust23THRUST_200600_302600_NS5tupleIblNS6_9null_typeES8_S8_S8_S8_S8_S8_S8_EEEEZNS1_11reduce_implILb1ES3_NS6_12zip_iteratorINS7_INS6_11hip_rocprim26transform_input_iterator_tIbNSD_35transform_pair_of_input_iterators_tIbNS6_6detail15normal_iteratorINS6_10device_ptrIKiEEEESL_NS6_8equal_toIiEEEENSG_9not_fun_tINSD_8identityEEEEENSD_19counting_iterator_tIlEES8_S8_S8_S8_S8_S8_S8_S8_EEEEPS9_S9_NSD_9__find_if7functorIS9_EEEE10hipError_tPvRmT1_T2_T3_mT4_P12ihipStream_tbEUlT_E0_NS1_11comp_targetILNS1_3genE2ELNS1_11target_archE906ELNS1_3gpuE6ELNS1_3repE0EEENS1_30default_config_static_selectorELNS0_4arch9wavefront6targetE0EEEvS14_
	.p2align	8
	.type	_ZN7rocprim17ROCPRIM_400000_NS6detail17trampoline_kernelINS0_14default_configENS1_22reduce_config_selectorIN6thrust23THRUST_200600_302600_NS5tupleIblNS6_9null_typeES8_S8_S8_S8_S8_S8_S8_EEEEZNS1_11reduce_implILb1ES3_NS6_12zip_iteratorINS7_INS6_11hip_rocprim26transform_input_iterator_tIbNSD_35transform_pair_of_input_iterators_tIbNS6_6detail15normal_iteratorINS6_10device_ptrIKiEEEESL_NS6_8equal_toIiEEEENSG_9not_fun_tINSD_8identityEEEEENSD_19counting_iterator_tIlEES8_S8_S8_S8_S8_S8_S8_S8_EEEEPS9_S9_NSD_9__find_if7functorIS9_EEEE10hipError_tPvRmT1_T2_T3_mT4_P12ihipStream_tbEUlT_E0_NS1_11comp_targetILNS1_3genE2ELNS1_11target_archE906ELNS1_3gpuE6ELNS1_3repE0EEENS1_30default_config_static_selectorELNS0_4arch9wavefront6targetE0EEEvS14_,@function
_ZN7rocprim17ROCPRIM_400000_NS6detail17trampoline_kernelINS0_14default_configENS1_22reduce_config_selectorIN6thrust23THRUST_200600_302600_NS5tupleIblNS6_9null_typeES8_S8_S8_S8_S8_S8_S8_EEEEZNS1_11reduce_implILb1ES3_NS6_12zip_iteratorINS7_INS6_11hip_rocprim26transform_input_iterator_tIbNSD_35transform_pair_of_input_iterators_tIbNS6_6detail15normal_iteratorINS6_10device_ptrIKiEEEESL_NS6_8equal_toIiEEEENSG_9not_fun_tINSD_8identityEEEEENSD_19counting_iterator_tIlEES8_S8_S8_S8_S8_S8_S8_S8_EEEEPS9_S9_NSD_9__find_if7functorIS9_EEEE10hipError_tPvRmT1_T2_T3_mT4_P12ihipStream_tbEUlT_E0_NS1_11comp_targetILNS1_3genE2ELNS1_11target_archE906ELNS1_3gpuE6ELNS1_3repE0EEENS1_30default_config_static_selectorELNS0_4arch9wavefront6targetE0EEEvS14_: ; @_ZN7rocprim17ROCPRIM_400000_NS6detail17trampoline_kernelINS0_14default_configENS1_22reduce_config_selectorIN6thrust23THRUST_200600_302600_NS5tupleIblNS6_9null_typeES8_S8_S8_S8_S8_S8_S8_EEEEZNS1_11reduce_implILb1ES3_NS6_12zip_iteratorINS7_INS6_11hip_rocprim26transform_input_iterator_tIbNSD_35transform_pair_of_input_iterators_tIbNS6_6detail15normal_iteratorINS6_10device_ptrIKiEEEESL_NS6_8equal_toIiEEEENSG_9not_fun_tINSD_8identityEEEEENSD_19counting_iterator_tIlEES8_S8_S8_S8_S8_S8_S8_S8_EEEEPS9_S9_NSD_9__find_if7functorIS9_EEEE10hipError_tPvRmT1_T2_T3_mT4_P12ihipStream_tbEUlT_E0_NS1_11comp_targetILNS1_3genE2ELNS1_11target_archE906ELNS1_3gpuE6ELNS1_3repE0EEENS1_30default_config_static_selectorELNS0_4arch9wavefront6targetE0EEEvS14_
; %bb.0:
	.section	.rodata,"a",@progbits
	.p2align	6, 0x0
	.amdhsa_kernel _ZN7rocprim17ROCPRIM_400000_NS6detail17trampoline_kernelINS0_14default_configENS1_22reduce_config_selectorIN6thrust23THRUST_200600_302600_NS5tupleIblNS6_9null_typeES8_S8_S8_S8_S8_S8_S8_EEEEZNS1_11reduce_implILb1ES3_NS6_12zip_iteratorINS7_INS6_11hip_rocprim26transform_input_iterator_tIbNSD_35transform_pair_of_input_iterators_tIbNS6_6detail15normal_iteratorINS6_10device_ptrIKiEEEESL_NS6_8equal_toIiEEEENSG_9not_fun_tINSD_8identityEEEEENSD_19counting_iterator_tIlEES8_S8_S8_S8_S8_S8_S8_S8_EEEEPS9_S9_NSD_9__find_if7functorIS9_EEEE10hipError_tPvRmT1_T2_T3_mT4_P12ihipStream_tbEUlT_E0_NS1_11comp_targetILNS1_3genE2ELNS1_11target_archE906ELNS1_3gpuE6ELNS1_3repE0EEENS1_30default_config_static_selectorELNS0_4arch9wavefront6targetE0EEEvS14_
		.amdhsa_group_segment_fixed_size 0
		.amdhsa_private_segment_fixed_size 0
		.amdhsa_kernarg_size 104
		.amdhsa_user_sgpr_count 6
		.amdhsa_user_sgpr_private_segment_buffer 1
		.amdhsa_user_sgpr_dispatch_ptr 0
		.amdhsa_user_sgpr_queue_ptr 0
		.amdhsa_user_sgpr_kernarg_segment_ptr 1
		.amdhsa_user_sgpr_dispatch_id 0
		.amdhsa_user_sgpr_flat_scratch_init 0
		.amdhsa_user_sgpr_private_segment_size 0
		.amdhsa_wavefront_size32 1
		.amdhsa_uses_dynamic_stack 0
		.amdhsa_system_sgpr_private_segment_wavefront_offset 0
		.amdhsa_system_sgpr_workgroup_id_x 1
		.amdhsa_system_sgpr_workgroup_id_y 0
		.amdhsa_system_sgpr_workgroup_id_z 0
		.amdhsa_system_sgpr_workgroup_info 0
		.amdhsa_system_vgpr_workitem_id 0
		.amdhsa_next_free_vgpr 1
		.amdhsa_next_free_sgpr 1
		.amdhsa_reserve_vcc 0
		.amdhsa_reserve_flat_scratch 0
		.amdhsa_float_round_mode_32 0
		.amdhsa_float_round_mode_16_64 0
		.amdhsa_float_denorm_mode_32 3
		.amdhsa_float_denorm_mode_16_64 3
		.amdhsa_dx10_clamp 1
		.amdhsa_ieee_mode 1
		.amdhsa_fp16_overflow 0
		.amdhsa_workgroup_processor_mode 1
		.amdhsa_memory_ordered 1
		.amdhsa_forward_progress 1
		.amdhsa_shared_vgpr_count 0
		.amdhsa_exception_fp_ieee_invalid_op 0
		.amdhsa_exception_fp_denorm_src 0
		.amdhsa_exception_fp_ieee_div_zero 0
		.amdhsa_exception_fp_ieee_overflow 0
		.amdhsa_exception_fp_ieee_underflow 0
		.amdhsa_exception_fp_ieee_inexact 0
		.amdhsa_exception_int_div_zero 0
	.end_amdhsa_kernel
	.section	.text._ZN7rocprim17ROCPRIM_400000_NS6detail17trampoline_kernelINS0_14default_configENS1_22reduce_config_selectorIN6thrust23THRUST_200600_302600_NS5tupleIblNS6_9null_typeES8_S8_S8_S8_S8_S8_S8_EEEEZNS1_11reduce_implILb1ES3_NS6_12zip_iteratorINS7_INS6_11hip_rocprim26transform_input_iterator_tIbNSD_35transform_pair_of_input_iterators_tIbNS6_6detail15normal_iteratorINS6_10device_ptrIKiEEEESL_NS6_8equal_toIiEEEENSG_9not_fun_tINSD_8identityEEEEENSD_19counting_iterator_tIlEES8_S8_S8_S8_S8_S8_S8_S8_EEEEPS9_S9_NSD_9__find_if7functorIS9_EEEE10hipError_tPvRmT1_T2_T3_mT4_P12ihipStream_tbEUlT_E0_NS1_11comp_targetILNS1_3genE2ELNS1_11target_archE906ELNS1_3gpuE6ELNS1_3repE0EEENS1_30default_config_static_selectorELNS0_4arch9wavefront6targetE0EEEvS14_,"axG",@progbits,_ZN7rocprim17ROCPRIM_400000_NS6detail17trampoline_kernelINS0_14default_configENS1_22reduce_config_selectorIN6thrust23THRUST_200600_302600_NS5tupleIblNS6_9null_typeES8_S8_S8_S8_S8_S8_S8_EEEEZNS1_11reduce_implILb1ES3_NS6_12zip_iteratorINS7_INS6_11hip_rocprim26transform_input_iterator_tIbNSD_35transform_pair_of_input_iterators_tIbNS6_6detail15normal_iteratorINS6_10device_ptrIKiEEEESL_NS6_8equal_toIiEEEENSG_9not_fun_tINSD_8identityEEEEENSD_19counting_iterator_tIlEES8_S8_S8_S8_S8_S8_S8_S8_EEEEPS9_S9_NSD_9__find_if7functorIS9_EEEE10hipError_tPvRmT1_T2_T3_mT4_P12ihipStream_tbEUlT_E0_NS1_11comp_targetILNS1_3genE2ELNS1_11target_archE906ELNS1_3gpuE6ELNS1_3repE0EEENS1_30default_config_static_selectorELNS0_4arch9wavefront6targetE0EEEvS14_,comdat
.Lfunc_end265:
	.size	_ZN7rocprim17ROCPRIM_400000_NS6detail17trampoline_kernelINS0_14default_configENS1_22reduce_config_selectorIN6thrust23THRUST_200600_302600_NS5tupleIblNS6_9null_typeES8_S8_S8_S8_S8_S8_S8_EEEEZNS1_11reduce_implILb1ES3_NS6_12zip_iteratorINS7_INS6_11hip_rocprim26transform_input_iterator_tIbNSD_35transform_pair_of_input_iterators_tIbNS6_6detail15normal_iteratorINS6_10device_ptrIKiEEEESL_NS6_8equal_toIiEEEENSG_9not_fun_tINSD_8identityEEEEENSD_19counting_iterator_tIlEES8_S8_S8_S8_S8_S8_S8_S8_EEEEPS9_S9_NSD_9__find_if7functorIS9_EEEE10hipError_tPvRmT1_T2_T3_mT4_P12ihipStream_tbEUlT_E0_NS1_11comp_targetILNS1_3genE2ELNS1_11target_archE906ELNS1_3gpuE6ELNS1_3repE0EEENS1_30default_config_static_selectorELNS0_4arch9wavefront6targetE0EEEvS14_, .Lfunc_end265-_ZN7rocprim17ROCPRIM_400000_NS6detail17trampoline_kernelINS0_14default_configENS1_22reduce_config_selectorIN6thrust23THRUST_200600_302600_NS5tupleIblNS6_9null_typeES8_S8_S8_S8_S8_S8_S8_EEEEZNS1_11reduce_implILb1ES3_NS6_12zip_iteratorINS7_INS6_11hip_rocprim26transform_input_iterator_tIbNSD_35transform_pair_of_input_iterators_tIbNS6_6detail15normal_iteratorINS6_10device_ptrIKiEEEESL_NS6_8equal_toIiEEEENSG_9not_fun_tINSD_8identityEEEEENSD_19counting_iterator_tIlEES8_S8_S8_S8_S8_S8_S8_S8_EEEEPS9_S9_NSD_9__find_if7functorIS9_EEEE10hipError_tPvRmT1_T2_T3_mT4_P12ihipStream_tbEUlT_E0_NS1_11comp_targetILNS1_3genE2ELNS1_11target_archE906ELNS1_3gpuE6ELNS1_3repE0EEENS1_30default_config_static_selectorELNS0_4arch9wavefront6targetE0EEEvS14_
                                        ; -- End function
	.set _ZN7rocprim17ROCPRIM_400000_NS6detail17trampoline_kernelINS0_14default_configENS1_22reduce_config_selectorIN6thrust23THRUST_200600_302600_NS5tupleIblNS6_9null_typeES8_S8_S8_S8_S8_S8_S8_EEEEZNS1_11reduce_implILb1ES3_NS6_12zip_iteratorINS7_INS6_11hip_rocprim26transform_input_iterator_tIbNSD_35transform_pair_of_input_iterators_tIbNS6_6detail15normal_iteratorINS6_10device_ptrIKiEEEESL_NS6_8equal_toIiEEEENSG_9not_fun_tINSD_8identityEEEEENSD_19counting_iterator_tIlEES8_S8_S8_S8_S8_S8_S8_S8_EEEEPS9_S9_NSD_9__find_if7functorIS9_EEEE10hipError_tPvRmT1_T2_T3_mT4_P12ihipStream_tbEUlT_E0_NS1_11comp_targetILNS1_3genE2ELNS1_11target_archE906ELNS1_3gpuE6ELNS1_3repE0EEENS1_30default_config_static_selectorELNS0_4arch9wavefront6targetE0EEEvS14_.num_vgpr, 0
	.set _ZN7rocprim17ROCPRIM_400000_NS6detail17trampoline_kernelINS0_14default_configENS1_22reduce_config_selectorIN6thrust23THRUST_200600_302600_NS5tupleIblNS6_9null_typeES8_S8_S8_S8_S8_S8_S8_EEEEZNS1_11reduce_implILb1ES3_NS6_12zip_iteratorINS7_INS6_11hip_rocprim26transform_input_iterator_tIbNSD_35transform_pair_of_input_iterators_tIbNS6_6detail15normal_iteratorINS6_10device_ptrIKiEEEESL_NS6_8equal_toIiEEEENSG_9not_fun_tINSD_8identityEEEEENSD_19counting_iterator_tIlEES8_S8_S8_S8_S8_S8_S8_S8_EEEEPS9_S9_NSD_9__find_if7functorIS9_EEEE10hipError_tPvRmT1_T2_T3_mT4_P12ihipStream_tbEUlT_E0_NS1_11comp_targetILNS1_3genE2ELNS1_11target_archE906ELNS1_3gpuE6ELNS1_3repE0EEENS1_30default_config_static_selectorELNS0_4arch9wavefront6targetE0EEEvS14_.num_agpr, 0
	.set _ZN7rocprim17ROCPRIM_400000_NS6detail17trampoline_kernelINS0_14default_configENS1_22reduce_config_selectorIN6thrust23THRUST_200600_302600_NS5tupleIblNS6_9null_typeES8_S8_S8_S8_S8_S8_S8_EEEEZNS1_11reduce_implILb1ES3_NS6_12zip_iteratorINS7_INS6_11hip_rocprim26transform_input_iterator_tIbNSD_35transform_pair_of_input_iterators_tIbNS6_6detail15normal_iteratorINS6_10device_ptrIKiEEEESL_NS6_8equal_toIiEEEENSG_9not_fun_tINSD_8identityEEEEENSD_19counting_iterator_tIlEES8_S8_S8_S8_S8_S8_S8_S8_EEEEPS9_S9_NSD_9__find_if7functorIS9_EEEE10hipError_tPvRmT1_T2_T3_mT4_P12ihipStream_tbEUlT_E0_NS1_11comp_targetILNS1_3genE2ELNS1_11target_archE906ELNS1_3gpuE6ELNS1_3repE0EEENS1_30default_config_static_selectorELNS0_4arch9wavefront6targetE0EEEvS14_.numbered_sgpr, 0
	.set _ZN7rocprim17ROCPRIM_400000_NS6detail17trampoline_kernelINS0_14default_configENS1_22reduce_config_selectorIN6thrust23THRUST_200600_302600_NS5tupleIblNS6_9null_typeES8_S8_S8_S8_S8_S8_S8_EEEEZNS1_11reduce_implILb1ES3_NS6_12zip_iteratorINS7_INS6_11hip_rocprim26transform_input_iterator_tIbNSD_35transform_pair_of_input_iterators_tIbNS6_6detail15normal_iteratorINS6_10device_ptrIKiEEEESL_NS6_8equal_toIiEEEENSG_9not_fun_tINSD_8identityEEEEENSD_19counting_iterator_tIlEES8_S8_S8_S8_S8_S8_S8_S8_EEEEPS9_S9_NSD_9__find_if7functorIS9_EEEE10hipError_tPvRmT1_T2_T3_mT4_P12ihipStream_tbEUlT_E0_NS1_11comp_targetILNS1_3genE2ELNS1_11target_archE906ELNS1_3gpuE6ELNS1_3repE0EEENS1_30default_config_static_selectorELNS0_4arch9wavefront6targetE0EEEvS14_.num_named_barrier, 0
	.set _ZN7rocprim17ROCPRIM_400000_NS6detail17trampoline_kernelINS0_14default_configENS1_22reduce_config_selectorIN6thrust23THRUST_200600_302600_NS5tupleIblNS6_9null_typeES8_S8_S8_S8_S8_S8_S8_EEEEZNS1_11reduce_implILb1ES3_NS6_12zip_iteratorINS7_INS6_11hip_rocprim26transform_input_iterator_tIbNSD_35transform_pair_of_input_iterators_tIbNS6_6detail15normal_iteratorINS6_10device_ptrIKiEEEESL_NS6_8equal_toIiEEEENSG_9not_fun_tINSD_8identityEEEEENSD_19counting_iterator_tIlEES8_S8_S8_S8_S8_S8_S8_S8_EEEEPS9_S9_NSD_9__find_if7functorIS9_EEEE10hipError_tPvRmT1_T2_T3_mT4_P12ihipStream_tbEUlT_E0_NS1_11comp_targetILNS1_3genE2ELNS1_11target_archE906ELNS1_3gpuE6ELNS1_3repE0EEENS1_30default_config_static_selectorELNS0_4arch9wavefront6targetE0EEEvS14_.private_seg_size, 0
	.set _ZN7rocprim17ROCPRIM_400000_NS6detail17trampoline_kernelINS0_14default_configENS1_22reduce_config_selectorIN6thrust23THRUST_200600_302600_NS5tupleIblNS6_9null_typeES8_S8_S8_S8_S8_S8_S8_EEEEZNS1_11reduce_implILb1ES3_NS6_12zip_iteratorINS7_INS6_11hip_rocprim26transform_input_iterator_tIbNSD_35transform_pair_of_input_iterators_tIbNS6_6detail15normal_iteratorINS6_10device_ptrIKiEEEESL_NS6_8equal_toIiEEEENSG_9not_fun_tINSD_8identityEEEEENSD_19counting_iterator_tIlEES8_S8_S8_S8_S8_S8_S8_S8_EEEEPS9_S9_NSD_9__find_if7functorIS9_EEEE10hipError_tPvRmT1_T2_T3_mT4_P12ihipStream_tbEUlT_E0_NS1_11comp_targetILNS1_3genE2ELNS1_11target_archE906ELNS1_3gpuE6ELNS1_3repE0EEENS1_30default_config_static_selectorELNS0_4arch9wavefront6targetE0EEEvS14_.uses_vcc, 0
	.set _ZN7rocprim17ROCPRIM_400000_NS6detail17trampoline_kernelINS0_14default_configENS1_22reduce_config_selectorIN6thrust23THRUST_200600_302600_NS5tupleIblNS6_9null_typeES8_S8_S8_S8_S8_S8_S8_EEEEZNS1_11reduce_implILb1ES3_NS6_12zip_iteratorINS7_INS6_11hip_rocprim26transform_input_iterator_tIbNSD_35transform_pair_of_input_iterators_tIbNS6_6detail15normal_iteratorINS6_10device_ptrIKiEEEESL_NS6_8equal_toIiEEEENSG_9not_fun_tINSD_8identityEEEEENSD_19counting_iterator_tIlEES8_S8_S8_S8_S8_S8_S8_S8_EEEEPS9_S9_NSD_9__find_if7functorIS9_EEEE10hipError_tPvRmT1_T2_T3_mT4_P12ihipStream_tbEUlT_E0_NS1_11comp_targetILNS1_3genE2ELNS1_11target_archE906ELNS1_3gpuE6ELNS1_3repE0EEENS1_30default_config_static_selectorELNS0_4arch9wavefront6targetE0EEEvS14_.uses_flat_scratch, 0
	.set _ZN7rocprim17ROCPRIM_400000_NS6detail17trampoline_kernelINS0_14default_configENS1_22reduce_config_selectorIN6thrust23THRUST_200600_302600_NS5tupleIblNS6_9null_typeES8_S8_S8_S8_S8_S8_S8_EEEEZNS1_11reduce_implILb1ES3_NS6_12zip_iteratorINS7_INS6_11hip_rocprim26transform_input_iterator_tIbNSD_35transform_pair_of_input_iterators_tIbNS6_6detail15normal_iteratorINS6_10device_ptrIKiEEEESL_NS6_8equal_toIiEEEENSG_9not_fun_tINSD_8identityEEEEENSD_19counting_iterator_tIlEES8_S8_S8_S8_S8_S8_S8_S8_EEEEPS9_S9_NSD_9__find_if7functorIS9_EEEE10hipError_tPvRmT1_T2_T3_mT4_P12ihipStream_tbEUlT_E0_NS1_11comp_targetILNS1_3genE2ELNS1_11target_archE906ELNS1_3gpuE6ELNS1_3repE0EEENS1_30default_config_static_selectorELNS0_4arch9wavefront6targetE0EEEvS14_.has_dyn_sized_stack, 0
	.set _ZN7rocprim17ROCPRIM_400000_NS6detail17trampoline_kernelINS0_14default_configENS1_22reduce_config_selectorIN6thrust23THRUST_200600_302600_NS5tupleIblNS6_9null_typeES8_S8_S8_S8_S8_S8_S8_EEEEZNS1_11reduce_implILb1ES3_NS6_12zip_iteratorINS7_INS6_11hip_rocprim26transform_input_iterator_tIbNSD_35transform_pair_of_input_iterators_tIbNS6_6detail15normal_iteratorINS6_10device_ptrIKiEEEESL_NS6_8equal_toIiEEEENSG_9not_fun_tINSD_8identityEEEEENSD_19counting_iterator_tIlEES8_S8_S8_S8_S8_S8_S8_S8_EEEEPS9_S9_NSD_9__find_if7functorIS9_EEEE10hipError_tPvRmT1_T2_T3_mT4_P12ihipStream_tbEUlT_E0_NS1_11comp_targetILNS1_3genE2ELNS1_11target_archE906ELNS1_3gpuE6ELNS1_3repE0EEENS1_30default_config_static_selectorELNS0_4arch9wavefront6targetE0EEEvS14_.has_recursion, 0
	.set _ZN7rocprim17ROCPRIM_400000_NS6detail17trampoline_kernelINS0_14default_configENS1_22reduce_config_selectorIN6thrust23THRUST_200600_302600_NS5tupleIblNS6_9null_typeES8_S8_S8_S8_S8_S8_S8_EEEEZNS1_11reduce_implILb1ES3_NS6_12zip_iteratorINS7_INS6_11hip_rocprim26transform_input_iterator_tIbNSD_35transform_pair_of_input_iterators_tIbNS6_6detail15normal_iteratorINS6_10device_ptrIKiEEEESL_NS6_8equal_toIiEEEENSG_9not_fun_tINSD_8identityEEEEENSD_19counting_iterator_tIlEES8_S8_S8_S8_S8_S8_S8_S8_EEEEPS9_S9_NSD_9__find_if7functorIS9_EEEE10hipError_tPvRmT1_T2_T3_mT4_P12ihipStream_tbEUlT_E0_NS1_11comp_targetILNS1_3genE2ELNS1_11target_archE906ELNS1_3gpuE6ELNS1_3repE0EEENS1_30default_config_static_selectorELNS0_4arch9wavefront6targetE0EEEvS14_.has_indirect_call, 0
	.section	.AMDGPU.csdata,"",@progbits
; Kernel info:
; codeLenInByte = 0
; TotalNumSgprs: 0
; NumVgprs: 0
; ScratchSize: 0
; MemoryBound: 0
; FloatMode: 240
; IeeeMode: 1
; LDSByteSize: 0 bytes/workgroup (compile time only)
; SGPRBlocks: 0
; VGPRBlocks: 0
; NumSGPRsForWavesPerEU: 1
; NumVGPRsForWavesPerEU: 1
; Occupancy: 16
; WaveLimiterHint : 0
; COMPUTE_PGM_RSRC2:SCRATCH_EN: 0
; COMPUTE_PGM_RSRC2:USER_SGPR: 6
; COMPUTE_PGM_RSRC2:TRAP_HANDLER: 0
; COMPUTE_PGM_RSRC2:TGID_X_EN: 1
; COMPUTE_PGM_RSRC2:TGID_Y_EN: 0
; COMPUTE_PGM_RSRC2:TGID_Z_EN: 0
; COMPUTE_PGM_RSRC2:TIDIG_COMP_CNT: 0
	.section	.text._ZN7rocprim17ROCPRIM_400000_NS6detail17trampoline_kernelINS0_14default_configENS1_22reduce_config_selectorIN6thrust23THRUST_200600_302600_NS5tupleIblNS6_9null_typeES8_S8_S8_S8_S8_S8_S8_EEEEZNS1_11reduce_implILb1ES3_NS6_12zip_iteratorINS7_INS6_11hip_rocprim26transform_input_iterator_tIbNSD_35transform_pair_of_input_iterators_tIbNS6_6detail15normal_iteratorINS6_10device_ptrIKiEEEESL_NS6_8equal_toIiEEEENSG_9not_fun_tINSD_8identityEEEEENSD_19counting_iterator_tIlEES8_S8_S8_S8_S8_S8_S8_S8_EEEEPS9_S9_NSD_9__find_if7functorIS9_EEEE10hipError_tPvRmT1_T2_T3_mT4_P12ihipStream_tbEUlT_E0_NS1_11comp_targetILNS1_3genE10ELNS1_11target_archE1201ELNS1_3gpuE5ELNS1_3repE0EEENS1_30default_config_static_selectorELNS0_4arch9wavefront6targetE0EEEvS14_,"axG",@progbits,_ZN7rocprim17ROCPRIM_400000_NS6detail17trampoline_kernelINS0_14default_configENS1_22reduce_config_selectorIN6thrust23THRUST_200600_302600_NS5tupleIblNS6_9null_typeES8_S8_S8_S8_S8_S8_S8_EEEEZNS1_11reduce_implILb1ES3_NS6_12zip_iteratorINS7_INS6_11hip_rocprim26transform_input_iterator_tIbNSD_35transform_pair_of_input_iterators_tIbNS6_6detail15normal_iteratorINS6_10device_ptrIKiEEEESL_NS6_8equal_toIiEEEENSG_9not_fun_tINSD_8identityEEEEENSD_19counting_iterator_tIlEES8_S8_S8_S8_S8_S8_S8_S8_EEEEPS9_S9_NSD_9__find_if7functorIS9_EEEE10hipError_tPvRmT1_T2_T3_mT4_P12ihipStream_tbEUlT_E0_NS1_11comp_targetILNS1_3genE10ELNS1_11target_archE1201ELNS1_3gpuE5ELNS1_3repE0EEENS1_30default_config_static_selectorELNS0_4arch9wavefront6targetE0EEEvS14_,comdat
	.protected	_ZN7rocprim17ROCPRIM_400000_NS6detail17trampoline_kernelINS0_14default_configENS1_22reduce_config_selectorIN6thrust23THRUST_200600_302600_NS5tupleIblNS6_9null_typeES8_S8_S8_S8_S8_S8_S8_EEEEZNS1_11reduce_implILb1ES3_NS6_12zip_iteratorINS7_INS6_11hip_rocprim26transform_input_iterator_tIbNSD_35transform_pair_of_input_iterators_tIbNS6_6detail15normal_iteratorINS6_10device_ptrIKiEEEESL_NS6_8equal_toIiEEEENSG_9not_fun_tINSD_8identityEEEEENSD_19counting_iterator_tIlEES8_S8_S8_S8_S8_S8_S8_S8_EEEEPS9_S9_NSD_9__find_if7functorIS9_EEEE10hipError_tPvRmT1_T2_T3_mT4_P12ihipStream_tbEUlT_E0_NS1_11comp_targetILNS1_3genE10ELNS1_11target_archE1201ELNS1_3gpuE5ELNS1_3repE0EEENS1_30default_config_static_selectorELNS0_4arch9wavefront6targetE0EEEvS14_ ; -- Begin function _ZN7rocprim17ROCPRIM_400000_NS6detail17trampoline_kernelINS0_14default_configENS1_22reduce_config_selectorIN6thrust23THRUST_200600_302600_NS5tupleIblNS6_9null_typeES8_S8_S8_S8_S8_S8_S8_EEEEZNS1_11reduce_implILb1ES3_NS6_12zip_iteratorINS7_INS6_11hip_rocprim26transform_input_iterator_tIbNSD_35transform_pair_of_input_iterators_tIbNS6_6detail15normal_iteratorINS6_10device_ptrIKiEEEESL_NS6_8equal_toIiEEEENSG_9not_fun_tINSD_8identityEEEEENSD_19counting_iterator_tIlEES8_S8_S8_S8_S8_S8_S8_S8_EEEEPS9_S9_NSD_9__find_if7functorIS9_EEEE10hipError_tPvRmT1_T2_T3_mT4_P12ihipStream_tbEUlT_E0_NS1_11comp_targetILNS1_3genE10ELNS1_11target_archE1201ELNS1_3gpuE5ELNS1_3repE0EEENS1_30default_config_static_selectorELNS0_4arch9wavefront6targetE0EEEvS14_
	.globl	_ZN7rocprim17ROCPRIM_400000_NS6detail17trampoline_kernelINS0_14default_configENS1_22reduce_config_selectorIN6thrust23THRUST_200600_302600_NS5tupleIblNS6_9null_typeES8_S8_S8_S8_S8_S8_S8_EEEEZNS1_11reduce_implILb1ES3_NS6_12zip_iteratorINS7_INS6_11hip_rocprim26transform_input_iterator_tIbNSD_35transform_pair_of_input_iterators_tIbNS6_6detail15normal_iteratorINS6_10device_ptrIKiEEEESL_NS6_8equal_toIiEEEENSG_9not_fun_tINSD_8identityEEEEENSD_19counting_iterator_tIlEES8_S8_S8_S8_S8_S8_S8_S8_EEEEPS9_S9_NSD_9__find_if7functorIS9_EEEE10hipError_tPvRmT1_T2_T3_mT4_P12ihipStream_tbEUlT_E0_NS1_11comp_targetILNS1_3genE10ELNS1_11target_archE1201ELNS1_3gpuE5ELNS1_3repE0EEENS1_30default_config_static_selectorELNS0_4arch9wavefront6targetE0EEEvS14_
	.p2align	8
	.type	_ZN7rocprim17ROCPRIM_400000_NS6detail17trampoline_kernelINS0_14default_configENS1_22reduce_config_selectorIN6thrust23THRUST_200600_302600_NS5tupleIblNS6_9null_typeES8_S8_S8_S8_S8_S8_S8_EEEEZNS1_11reduce_implILb1ES3_NS6_12zip_iteratorINS7_INS6_11hip_rocprim26transform_input_iterator_tIbNSD_35transform_pair_of_input_iterators_tIbNS6_6detail15normal_iteratorINS6_10device_ptrIKiEEEESL_NS6_8equal_toIiEEEENSG_9not_fun_tINSD_8identityEEEEENSD_19counting_iterator_tIlEES8_S8_S8_S8_S8_S8_S8_S8_EEEEPS9_S9_NSD_9__find_if7functorIS9_EEEE10hipError_tPvRmT1_T2_T3_mT4_P12ihipStream_tbEUlT_E0_NS1_11comp_targetILNS1_3genE10ELNS1_11target_archE1201ELNS1_3gpuE5ELNS1_3repE0EEENS1_30default_config_static_selectorELNS0_4arch9wavefront6targetE0EEEvS14_,@function
_ZN7rocprim17ROCPRIM_400000_NS6detail17trampoline_kernelINS0_14default_configENS1_22reduce_config_selectorIN6thrust23THRUST_200600_302600_NS5tupleIblNS6_9null_typeES8_S8_S8_S8_S8_S8_S8_EEEEZNS1_11reduce_implILb1ES3_NS6_12zip_iteratorINS7_INS6_11hip_rocprim26transform_input_iterator_tIbNSD_35transform_pair_of_input_iterators_tIbNS6_6detail15normal_iteratorINS6_10device_ptrIKiEEEESL_NS6_8equal_toIiEEEENSG_9not_fun_tINSD_8identityEEEEENSD_19counting_iterator_tIlEES8_S8_S8_S8_S8_S8_S8_S8_EEEEPS9_S9_NSD_9__find_if7functorIS9_EEEE10hipError_tPvRmT1_T2_T3_mT4_P12ihipStream_tbEUlT_E0_NS1_11comp_targetILNS1_3genE10ELNS1_11target_archE1201ELNS1_3gpuE5ELNS1_3repE0EEENS1_30default_config_static_selectorELNS0_4arch9wavefront6targetE0EEEvS14_: ; @_ZN7rocprim17ROCPRIM_400000_NS6detail17trampoline_kernelINS0_14default_configENS1_22reduce_config_selectorIN6thrust23THRUST_200600_302600_NS5tupleIblNS6_9null_typeES8_S8_S8_S8_S8_S8_S8_EEEEZNS1_11reduce_implILb1ES3_NS6_12zip_iteratorINS7_INS6_11hip_rocprim26transform_input_iterator_tIbNSD_35transform_pair_of_input_iterators_tIbNS6_6detail15normal_iteratorINS6_10device_ptrIKiEEEESL_NS6_8equal_toIiEEEENSG_9not_fun_tINSD_8identityEEEEENSD_19counting_iterator_tIlEES8_S8_S8_S8_S8_S8_S8_S8_EEEEPS9_S9_NSD_9__find_if7functorIS9_EEEE10hipError_tPvRmT1_T2_T3_mT4_P12ihipStream_tbEUlT_E0_NS1_11comp_targetILNS1_3genE10ELNS1_11target_archE1201ELNS1_3gpuE5ELNS1_3repE0EEENS1_30default_config_static_selectorELNS0_4arch9wavefront6targetE0EEEvS14_
; %bb.0:
	.section	.rodata,"a",@progbits
	.p2align	6, 0x0
	.amdhsa_kernel _ZN7rocprim17ROCPRIM_400000_NS6detail17trampoline_kernelINS0_14default_configENS1_22reduce_config_selectorIN6thrust23THRUST_200600_302600_NS5tupleIblNS6_9null_typeES8_S8_S8_S8_S8_S8_S8_EEEEZNS1_11reduce_implILb1ES3_NS6_12zip_iteratorINS7_INS6_11hip_rocprim26transform_input_iterator_tIbNSD_35transform_pair_of_input_iterators_tIbNS6_6detail15normal_iteratorINS6_10device_ptrIKiEEEESL_NS6_8equal_toIiEEEENSG_9not_fun_tINSD_8identityEEEEENSD_19counting_iterator_tIlEES8_S8_S8_S8_S8_S8_S8_S8_EEEEPS9_S9_NSD_9__find_if7functorIS9_EEEE10hipError_tPvRmT1_T2_T3_mT4_P12ihipStream_tbEUlT_E0_NS1_11comp_targetILNS1_3genE10ELNS1_11target_archE1201ELNS1_3gpuE5ELNS1_3repE0EEENS1_30default_config_static_selectorELNS0_4arch9wavefront6targetE0EEEvS14_
		.amdhsa_group_segment_fixed_size 0
		.amdhsa_private_segment_fixed_size 0
		.amdhsa_kernarg_size 104
		.amdhsa_user_sgpr_count 6
		.amdhsa_user_sgpr_private_segment_buffer 1
		.amdhsa_user_sgpr_dispatch_ptr 0
		.amdhsa_user_sgpr_queue_ptr 0
		.amdhsa_user_sgpr_kernarg_segment_ptr 1
		.amdhsa_user_sgpr_dispatch_id 0
		.amdhsa_user_sgpr_flat_scratch_init 0
		.amdhsa_user_sgpr_private_segment_size 0
		.amdhsa_wavefront_size32 1
		.amdhsa_uses_dynamic_stack 0
		.amdhsa_system_sgpr_private_segment_wavefront_offset 0
		.amdhsa_system_sgpr_workgroup_id_x 1
		.amdhsa_system_sgpr_workgroup_id_y 0
		.amdhsa_system_sgpr_workgroup_id_z 0
		.amdhsa_system_sgpr_workgroup_info 0
		.amdhsa_system_vgpr_workitem_id 0
		.amdhsa_next_free_vgpr 1
		.amdhsa_next_free_sgpr 1
		.amdhsa_reserve_vcc 0
		.amdhsa_reserve_flat_scratch 0
		.amdhsa_float_round_mode_32 0
		.amdhsa_float_round_mode_16_64 0
		.amdhsa_float_denorm_mode_32 3
		.amdhsa_float_denorm_mode_16_64 3
		.amdhsa_dx10_clamp 1
		.amdhsa_ieee_mode 1
		.amdhsa_fp16_overflow 0
		.amdhsa_workgroup_processor_mode 1
		.amdhsa_memory_ordered 1
		.amdhsa_forward_progress 1
		.amdhsa_shared_vgpr_count 0
		.amdhsa_exception_fp_ieee_invalid_op 0
		.amdhsa_exception_fp_denorm_src 0
		.amdhsa_exception_fp_ieee_div_zero 0
		.amdhsa_exception_fp_ieee_overflow 0
		.amdhsa_exception_fp_ieee_underflow 0
		.amdhsa_exception_fp_ieee_inexact 0
		.amdhsa_exception_int_div_zero 0
	.end_amdhsa_kernel
	.section	.text._ZN7rocprim17ROCPRIM_400000_NS6detail17trampoline_kernelINS0_14default_configENS1_22reduce_config_selectorIN6thrust23THRUST_200600_302600_NS5tupleIblNS6_9null_typeES8_S8_S8_S8_S8_S8_S8_EEEEZNS1_11reduce_implILb1ES3_NS6_12zip_iteratorINS7_INS6_11hip_rocprim26transform_input_iterator_tIbNSD_35transform_pair_of_input_iterators_tIbNS6_6detail15normal_iteratorINS6_10device_ptrIKiEEEESL_NS6_8equal_toIiEEEENSG_9not_fun_tINSD_8identityEEEEENSD_19counting_iterator_tIlEES8_S8_S8_S8_S8_S8_S8_S8_EEEEPS9_S9_NSD_9__find_if7functorIS9_EEEE10hipError_tPvRmT1_T2_T3_mT4_P12ihipStream_tbEUlT_E0_NS1_11comp_targetILNS1_3genE10ELNS1_11target_archE1201ELNS1_3gpuE5ELNS1_3repE0EEENS1_30default_config_static_selectorELNS0_4arch9wavefront6targetE0EEEvS14_,"axG",@progbits,_ZN7rocprim17ROCPRIM_400000_NS6detail17trampoline_kernelINS0_14default_configENS1_22reduce_config_selectorIN6thrust23THRUST_200600_302600_NS5tupleIblNS6_9null_typeES8_S8_S8_S8_S8_S8_S8_EEEEZNS1_11reduce_implILb1ES3_NS6_12zip_iteratorINS7_INS6_11hip_rocprim26transform_input_iterator_tIbNSD_35transform_pair_of_input_iterators_tIbNS6_6detail15normal_iteratorINS6_10device_ptrIKiEEEESL_NS6_8equal_toIiEEEENSG_9not_fun_tINSD_8identityEEEEENSD_19counting_iterator_tIlEES8_S8_S8_S8_S8_S8_S8_S8_EEEEPS9_S9_NSD_9__find_if7functorIS9_EEEE10hipError_tPvRmT1_T2_T3_mT4_P12ihipStream_tbEUlT_E0_NS1_11comp_targetILNS1_3genE10ELNS1_11target_archE1201ELNS1_3gpuE5ELNS1_3repE0EEENS1_30default_config_static_selectorELNS0_4arch9wavefront6targetE0EEEvS14_,comdat
.Lfunc_end266:
	.size	_ZN7rocprim17ROCPRIM_400000_NS6detail17trampoline_kernelINS0_14default_configENS1_22reduce_config_selectorIN6thrust23THRUST_200600_302600_NS5tupleIblNS6_9null_typeES8_S8_S8_S8_S8_S8_S8_EEEEZNS1_11reduce_implILb1ES3_NS6_12zip_iteratorINS7_INS6_11hip_rocprim26transform_input_iterator_tIbNSD_35transform_pair_of_input_iterators_tIbNS6_6detail15normal_iteratorINS6_10device_ptrIKiEEEESL_NS6_8equal_toIiEEEENSG_9not_fun_tINSD_8identityEEEEENSD_19counting_iterator_tIlEES8_S8_S8_S8_S8_S8_S8_S8_EEEEPS9_S9_NSD_9__find_if7functorIS9_EEEE10hipError_tPvRmT1_T2_T3_mT4_P12ihipStream_tbEUlT_E0_NS1_11comp_targetILNS1_3genE10ELNS1_11target_archE1201ELNS1_3gpuE5ELNS1_3repE0EEENS1_30default_config_static_selectorELNS0_4arch9wavefront6targetE0EEEvS14_, .Lfunc_end266-_ZN7rocprim17ROCPRIM_400000_NS6detail17trampoline_kernelINS0_14default_configENS1_22reduce_config_selectorIN6thrust23THRUST_200600_302600_NS5tupleIblNS6_9null_typeES8_S8_S8_S8_S8_S8_S8_EEEEZNS1_11reduce_implILb1ES3_NS6_12zip_iteratorINS7_INS6_11hip_rocprim26transform_input_iterator_tIbNSD_35transform_pair_of_input_iterators_tIbNS6_6detail15normal_iteratorINS6_10device_ptrIKiEEEESL_NS6_8equal_toIiEEEENSG_9not_fun_tINSD_8identityEEEEENSD_19counting_iterator_tIlEES8_S8_S8_S8_S8_S8_S8_S8_EEEEPS9_S9_NSD_9__find_if7functorIS9_EEEE10hipError_tPvRmT1_T2_T3_mT4_P12ihipStream_tbEUlT_E0_NS1_11comp_targetILNS1_3genE10ELNS1_11target_archE1201ELNS1_3gpuE5ELNS1_3repE0EEENS1_30default_config_static_selectorELNS0_4arch9wavefront6targetE0EEEvS14_
                                        ; -- End function
	.set _ZN7rocprim17ROCPRIM_400000_NS6detail17trampoline_kernelINS0_14default_configENS1_22reduce_config_selectorIN6thrust23THRUST_200600_302600_NS5tupleIblNS6_9null_typeES8_S8_S8_S8_S8_S8_S8_EEEEZNS1_11reduce_implILb1ES3_NS6_12zip_iteratorINS7_INS6_11hip_rocprim26transform_input_iterator_tIbNSD_35transform_pair_of_input_iterators_tIbNS6_6detail15normal_iteratorINS6_10device_ptrIKiEEEESL_NS6_8equal_toIiEEEENSG_9not_fun_tINSD_8identityEEEEENSD_19counting_iterator_tIlEES8_S8_S8_S8_S8_S8_S8_S8_EEEEPS9_S9_NSD_9__find_if7functorIS9_EEEE10hipError_tPvRmT1_T2_T3_mT4_P12ihipStream_tbEUlT_E0_NS1_11comp_targetILNS1_3genE10ELNS1_11target_archE1201ELNS1_3gpuE5ELNS1_3repE0EEENS1_30default_config_static_selectorELNS0_4arch9wavefront6targetE0EEEvS14_.num_vgpr, 0
	.set _ZN7rocprim17ROCPRIM_400000_NS6detail17trampoline_kernelINS0_14default_configENS1_22reduce_config_selectorIN6thrust23THRUST_200600_302600_NS5tupleIblNS6_9null_typeES8_S8_S8_S8_S8_S8_S8_EEEEZNS1_11reduce_implILb1ES3_NS6_12zip_iteratorINS7_INS6_11hip_rocprim26transform_input_iterator_tIbNSD_35transform_pair_of_input_iterators_tIbNS6_6detail15normal_iteratorINS6_10device_ptrIKiEEEESL_NS6_8equal_toIiEEEENSG_9not_fun_tINSD_8identityEEEEENSD_19counting_iterator_tIlEES8_S8_S8_S8_S8_S8_S8_S8_EEEEPS9_S9_NSD_9__find_if7functorIS9_EEEE10hipError_tPvRmT1_T2_T3_mT4_P12ihipStream_tbEUlT_E0_NS1_11comp_targetILNS1_3genE10ELNS1_11target_archE1201ELNS1_3gpuE5ELNS1_3repE0EEENS1_30default_config_static_selectorELNS0_4arch9wavefront6targetE0EEEvS14_.num_agpr, 0
	.set _ZN7rocprim17ROCPRIM_400000_NS6detail17trampoline_kernelINS0_14default_configENS1_22reduce_config_selectorIN6thrust23THRUST_200600_302600_NS5tupleIblNS6_9null_typeES8_S8_S8_S8_S8_S8_S8_EEEEZNS1_11reduce_implILb1ES3_NS6_12zip_iteratorINS7_INS6_11hip_rocprim26transform_input_iterator_tIbNSD_35transform_pair_of_input_iterators_tIbNS6_6detail15normal_iteratorINS6_10device_ptrIKiEEEESL_NS6_8equal_toIiEEEENSG_9not_fun_tINSD_8identityEEEEENSD_19counting_iterator_tIlEES8_S8_S8_S8_S8_S8_S8_S8_EEEEPS9_S9_NSD_9__find_if7functorIS9_EEEE10hipError_tPvRmT1_T2_T3_mT4_P12ihipStream_tbEUlT_E0_NS1_11comp_targetILNS1_3genE10ELNS1_11target_archE1201ELNS1_3gpuE5ELNS1_3repE0EEENS1_30default_config_static_selectorELNS0_4arch9wavefront6targetE0EEEvS14_.numbered_sgpr, 0
	.set _ZN7rocprim17ROCPRIM_400000_NS6detail17trampoline_kernelINS0_14default_configENS1_22reduce_config_selectorIN6thrust23THRUST_200600_302600_NS5tupleIblNS6_9null_typeES8_S8_S8_S8_S8_S8_S8_EEEEZNS1_11reduce_implILb1ES3_NS6_12zip_iteratorINS7_INS6_11hip_rocprim26transform_input_iterator_tIbNSD_35transform_pair_of_input_iterators_tIbNS6_6detail15normal_iteratorINS6_10device_ptrIKiEEEESL_NS6_8equal_toIiEEEENSG_9not_fun_tINSD_8identityEEEEENSD_19counting_iterator_tIlEES8_S8_S8_S8_S8_S8_S8_S8_EEEEPS9_S9_NSD_9__find_if7functorIS9_EEEE10hipError_tPvRmT1_T2_T3_mT4_P12ihipStream_tbEUlT_E0_NS1_11comp_targetILNS1_3genE10ELNS1_11target_archE1201ELNS1_3gpuE5ELNS1_3repE0EEENS1_30default_config_static_selectorELNS0_4arch9wavefront6targetE0EEEvS14_.num_named_barrier, 0
	.set _ZN7rocprim17ROCPRIM_400000_NS6detail17trampoline_kernelINS0_14default_configENS1_22reduce_config_selectorIN6thrust23THRUST_200600_302600_NS5tupleIblNS6_9null_typeES8_S8_S8_S8_S8_S8_S8_EEEEZNS1_11reduce_implILb1ES3_NS6_12zip_iteratorINS7_INS6_11hip_rocprim26transform_input_iterator_tIbNSD_35transform_pair_of_input_iterators_tIbNS6_6detail15normal_iteratorINS6_10device_ptrIKiEEEESL_NS6_8equal_toIiEEEENSG_9not_fun_tINSD_8identityEEEEENSD_19counting_iterator_tIlEES8_S8_S8_S8_S8_S8_S8_S8_EEEEPS9_S9_NSD_9__find_if7functorIS9_EEEE10hipError_tPvRmT1_T2_T3_mT4_P12ihipStream_tbEUlT_E0_NS1_11comp_targetILNS1_3genE10ELNS1_11target_archE1201ELNS1_3gpuE5ELNS1_3repE0EEENS1_30default_config_static_selectorELNS0_4arch9wavefront6targetE0EEEvS14_.private_seg_size, 0
	.set _ZN7rocprim17ROCPRIM_400000_NS6detail17trampoline_kernelINS0_14default_configENS1_22reduce_config_selectorIN6thrust23THRUST_200600_302600_NS5tupleIblNS6_9null_typeES8_S8_S8_S8_S8_S8_S8_EEEEZNS1_11reduce_implILb1ES3_NS6_12zip_iteratorINS7_INS6_11hip_rocprim26transform_input_iterator_tIbNSD_35transform_pair_of_input_iterators_tIbNS6_6detail15normal_iteratorINS6_10device_ptrIKiEEEESL_NS6_8equal_toIiEEEENSG_9not_fun_tINSD_8identityEEEEENSD_19counting_iterator_tIlEES8_S8_S8_S8_S8_S8_S8_S8_EEEEPS9_S9_NSD_9__find_if7functorIS9_EEEE10hipError_tPvRmT1_T2_T3_mT4_P12ihipStream_tbEUlT_E0_NS1_11comp_targetILNS1_3genE10ELNS1_11target_archE1201ELNS1_3gpuE5ELNS1_3repE0EEENS1_30default_config_static_selectorELNS0_4arch9wavefront6targetE0EEEvS14_.uses_vcc, 0
	.set _ZN7rocprim17ROCPRIM_400000_NS6detail17trampoline_kernelINS0_14default_configENS1_22reduce_config_selectorIN6thrust23THRUST_200600_302600_NS5tupleIblNS6_9null_typeES8_S8_S8_S8_S8_S8_S8_EEEEZNS1_11reduce_implILb1ES3_NS6_12zip_iteratorINS7_INS6_11hip_rocprim26transform_input_iterator_tIbNSD_35transform_pair_of_input_iterators_tIbNS6_6detail15normal_iteratorINS6_10device_ptrIKiEEEESL_NS6_8equal_toIiEEEENSG_9not_fun_tINSD_8identityEEEEENSD_19counting_iterator_tIlEES8_S8_S8_S8_S8_S8_S8_S8_EEEEPS9_S9_NSD_9__find_if7functorIS9_EEEE10hipError_tPvRmT1_T2_T3_mT4_P12ihipStream_tbEUlT_E0_NS1_11comp_targetILNS1_3genE10ELNS1_11target_archE1201ELNS1_3gpuE5ELNS1_3repE0EEENS1_30default_config_static_selectorELNS0_4arch9wavefront6targetE0EEEvS14_.uses_flat_scratch, 0
	.set _ZN7rocprim17ROCPRIM_400000_NS6detail17trampoline_kernelINS0_14default_configENS1_22reduce_config_selectorIN6thrust23THRUST_200600_302600_NS5tupleIblNS6_9null_typeES8_S8_S8_S8_S8_S8_S8_EEEEZNS1_11reduce_implILb1ES3_NS6_12zip_iteratorINS7_INS6_11hip_rocprim26transform_input_iterator_tIbNSD_35transform_pair_of_input_iterators_tIbNS6_6detail15normal_iteratorINS6_10device_ptrIKiEEEESL_NS6_8equal_toIiEEEENSG_9not_fun_tINSD_8identityEEEEENSD_19counting_iterator_tIlEES8_S8_S8_S8_S8_S8_S8_S8_EEEEPS9_S9_NSD_9__find_if7functorIS9_EEEE10hipError_tPvRmT1_T2_T3_mT4_P12ihipStream_tbEUlT_E0_NS1_11comp_targetILNS1_3genE10ELNS1_11target_archE1201ELNS1_3gpuE5ELNS1_3repE0EEENS1_30default_config_static_selectorELNS0_4arch9wavefront6targetE0EEEvS14_.has_dyn_sized_stack, 0
	.set _ZN7rocprim17ROCPRIM_400000_NS6detail17trampoline_kernelINS0_14default_configENS1_22reduce_config_selectorIN6thrust23THRUST_200600_302600_NS5tupleIblNS6_9null_typeES8_S8_S8_S8_S8_S8_S8_EEEEZNS1_11reduce_implILb1ES3_NS6_12zip_iteratorINS7_INS6_11hip_rocprim26transform_input_iterator_tIbNSD_35transform_pair_of_input_iterators_tIbNS6_6detail15normal_iteratorINS6_10device_ptrIKiEEEESL_NS6_8equal_toIiEEEENSG_9not_fun_tINSD_8identityEEEEENSD_19counting_iterator_tIlEES8_S8_S8_S8_S8_S8_S8_S8_EEEEPS9_S9_NSD_9__find_if7functorIS9_EEEE10hipError_tPvRmT1_T2_T3_mT4_P12ihipStream_tbEUlT_E0_NS1_11comp_targetILNS1_3genE10ELNS1_11target_archE1201ELNS1_3gpuE5ELNS1_3repE0EEENS1_30default_config_static_selectorELNS0_4arch9wavefront6targetE0EEEvS14_.has_recursion, 0
	.set _ZN7rocprim17ROCPRIM_400000_NS6detail17trampoline_kernelINS0_14default_configENS1_22reduce_config_selectorIN6thrust23THRUST_200600_302600_NS5tupleIblNS6_9null_typeES8_S8_S8_S8_S8_S8_S8_EEEEZNS1_11reduce_implILb1ES3_NS6_12zip_iteratorINS7_INS6_11hip_rocprim26transform_input_iterator_tIbNSD_35transform_pair_of_input_iterators_tIbNS6_6detail15normal_iteratorINS6_10device_ptrIKiEEEESL_NS6_8equal_toIiEEEENSG_9not_fun_tINSD_8identityEEEEENSD_19counting_iterator_tIlEES8_S8_S8_S8_S8_S8_S8_S8_EEEEPS9_S9_NSD_9__find_if7functorIS9_EEEE10hipError_tPvRmT1_T2_T3_mT4_P12ihipStream_tbEUlT_E0_NS1_11comp_targetILNS1_3genE10ELNS1_11target_archE1201ELNS1_3gpuE5ELNS1_3repE0EEENS1_30default_config_static_selectorELNS0_4arch9wavefront6targetE0EEEvS14_.has_indirect_call, 0
	.section	.AMDGPU.csdata,"",@progbits
; Kernel info:
; codeLenInByte = 0
; TotalNumSgprs: 0
; NumVgprs: 0
; ScratchSize: 0
; MemoryBound: 0
; FloatMode: 240
; IeeeMode: 1
; LDSByteSize: 0 bytes/workgroup (compile time only)
; SGPRBlocks: 0
; VGPRBlocks: 0
; NumSGPRsForWavesPerEU: 1
; NumVGPRsForWavesPerEU: 1
; Occupancy: 16
; WaveLimiterHint : 0
; COMPUTE_PGM_RSRC2:SCRATCH_EN: 0
; COMPUTE_PGM_RSRC2:USER_SGPR: 6
; COMPUTE_PGM_RSRC2:TRAP_HANDLER: 0
; COMPUTE_PGM_RSRC2:TGID_X_EN: 1
; COMPUTE_PGM_RSRC2:TGID_Y_EN: 0
; COMPUTE_PGM_RSRC2:TGID_Z_EN: 0
; COMPUTE_PGM_RSRC2:TIDIG_COMP_CNT: 0
	.section	.text._ZN7rocprim17ROCPRIM_400000_NS6detail17trampoline_kernelINS0_14default_configENS1_22reduce_config_selectorIN6thrust23THRUST_200600_302600_NS5tupleIblNS6_9null_typeES8_S8_S8_S8_S8_S8_S8_EEEEZNS1_11reduce_implILb1ES3_NS6_12zip_iteratorINS7_INS6_11hip_rocprim26transform_input_iterator_tIbNSD_35transform_pair_of_input_iterators_tIbNS6_6detail15normal_iteratorINS6_10device_ptrIKiEEEESL_NS6_8equal_toIiEEEENSG_9not_fun_tINSD_8identityEEEEENSD_19counting_iterator_tIlEES8_S8_S8_S8_S8_S8_S8_S8_EEEEPS9_S9_NSD_9__find_if7functorIS9_EEEE10hipError_tPvRmT1_T2_T3_mT4_P12ihipStream_tbEUlT_E0_NS1_11comp_targetILNS1_3genE10ELNS1_11target_archE1200ELNS1_3gpuE4ELNS1_3repE0EEENS1_30default_config_static_selectorELNS0_4arch9wavefront6targetE0EEEvS14_,"axG",@progbits,_ZN7rocprim17ROCPRIM_400000_NS6detail17trampoline_kernelINS0_14default_configENS1_22reduce_config_selectorIN6thrust23THRUST_200600_302600_NS5tupleIblNS6_9null_typeES8_S8_S8_S8_S8_S8_S8_EEEEZNS1_11reduce_implILb1ES3_NS6_12zip_iteratorINS7_INS6_11hip_rocprim26transform_input_iterator_tIbNSD_35transform_pair_of_input_iterators_tIbNS6_6detail15normal_iteratorINS6_10device_ptrIKiEEEESL_NS6_8equal_toIiEEEENSG_9not_fun_tINSD_8identityEEEEENSD_19counting_iterator_tIlEES8_S8_S8_S8_S8_S8_S8_S8_EEEEPS9_S9_NSD_9__find_if7functorIS9_EEEE10hipError_tPvRmT1_T2_T3_mT4_P12ihipStream_tbEUlT_E0_NS1_11comp_targetILNS1_3genE10ELNS1_11target_archE1200ELNS1_3gpuE4ELNS1_3repE0EEENS1_30default_config_static_selectorELNS0_4arch9wavefront6targetE0EEEvS14_,comdat
	.protected	_ZN7rocprim17ROCPRIM_400000_NS6detail17trampoline_kernelINS0_14default_configENS1_22reduce_config_selectorIN6thrust23THRUST_200600_302600_NS5tupleIblNS6_9null_typeES8_S8_S8_S8_S8_S8_S8_EEEEZNS1_11reduce_implILb1ES3_NS6_12zip_iteratorINS7_INS6_11hip_rocprim26transform_input_iterator_tIbNSD_35transform_pair_of_input_iterators_tIbNS6_6detail15normal_iteratorINS6_10device_ptrIKiEEEESL_NS6_8equal_toIiEEEENSG_9not_fun_tINSD_8identityEEEEENSD_19counting_iterator_tIlEES8_S8_S8_S8_S8_S8_S8_S8_EEEEPS9_S9_NSD_9__find_if7functorIS9_EEEE10hipError_tPvRmT1_T2_T3_mT4_P12ihipStream_tbEUlT_E0_NS1_11comp_targetILNS1_3genE10ELNS1_11target_archE1200ELNS1_3gpuE4ELNS1_3repE0EEENS1_30default_config_static_selectorELNS0_4arch9wavefront6targetE0EEEvS14_ ; -- Begin function _ZN7rocprim17ROCPRIM_400000_NS6detail17trampoline_kernelINS0_14default_configENS1_22reduce_config_selectorIN6thrust23THRUST_200600_302600_NS5tupleIblNS6_9null_typeES8_S8_S8_S8_S8_S8_S8_EEEEZNS1_11reduce_implILb1ES3_NS6_12zip_iteratorINS7_INS6_11hip_rocprim26transform_input_iterator_tIbNSD_35transform_pair_of_input_iterators_tIbNS6_6detail15normal_iteratorINS6_10device_ptrIKiEEEESL_NS6_8equal_toIiEEEENSG_9not_fun_tINSD_8identityEEEEENSD_19counting_iterator_tIlEES8_S8_S8_S8_S8_S8_S8_S8_EEEEPS9_S9_NSD_9__find_if7functorIS9_EEEE10hipError_tPvRmT1_T2_T3_mT4_P12ihipStream_tbEUlT_E0_NS1_11comp_targetILNS1_3genE10ELNS1_11target_archE1200ELNS1_3gpuE4ELNS1_3repE0EEENS1_30default_config_static_selectorELNS0_4arch9wavefront6targetE0EEEvS14_
	.globl	_ZN7rocprim17ROCPRIM_400000_NS6detail17trampoline_kernelINS0_14default_configENS1_22reduce_config_selectorIN6thrust23THRUST_200600_302600_NS5tupleIblNS6_9null_typeES8_S8_S8_S8_S8_S8_S8_EEEEZNS1_11reduce_implILb1ES3_NS6_12zip_iteratorINS7_INS6_11hip_rocprim26transform_input_iterator_tIbNSD_35transform_pair_of_input_iterators_tIbNS6_6detail15normal_iteratorINS6_10device_ptrIKiEEEESL_NS6_8equal_toIiEEEENSG_9not_fun_tINSD_8identityEEEEENSD_19counting_iterator_tIlEES8_S8_S8_S8_S8_S8_S8_S8_EEEEPS9_S9_NSD_9__find_if7functorIS9_EEEE10hipError_tPvRmT1_T2_T3_mT4_P12ihipStream_tbEUlT_E0_NS1_11comp_targetILNS1_3genE10ELNS1_11target_archE1200ELNS1_3gpuE4ELNS1_3repE0EEENS1_30default_config_static_selectorELNS0_4arch9wavefront6targetE0EEEvS14_
	.p2align	8
	.type	_ZN7rocprim17ROCPRIM_400000_NS6detail17trampoline_kernelINS0_14default_configENS1_22reduce_config_selectorIN6thrust23THRUST_200600_302600_NS5tupleIblNS6_9null_typeES8_S8_S8_S8_S8_S8_S8_EEEEZNS1_11reduce_implILb1ES3_NS6_12zip_iteratorINS7_INS6_11hip_rocprim26transform_input_iterator_tIbNSD_35transform_pair_of_input_iterators_tIbNS6_6detail15normal_iteratorINS6_10device_ptrIKiEEEESL_NS6_8equal_toIiEEEENSG_9not_fun_tINSD_8identityEEEEENSD_19counting_iterator_tIlEES8_S8_S8_S8_S8_S8_S8_S8_EEEEPS9_S9_NSD_9__find_if7functorIS9_EEEE10hipError_tPvRmT1_T2_T3_mT4_P12ihipStream_tbEUlT_E0_NS1_11comp_targetILNS1_3genE10ELNS1_11target_archE1200ELNS1_3gpuE4ELNS1_3repE0EEENS1_30default_config_static_selectorELNS0_4arch9wavefront6targetE0EEEvS14_,@function
_ZN7rocprim17ROCPRIM_400000_NS6detail17trampoline_kernelINS0_14default_configENS1_22reduce_config_selectorIN6thrust23THRUST_200600_302600_NS5tupleIblNS6_9null_typeES8_S8_S8_S8_S8_S8_S8_EEEEZNS1_11reduce_implILb1ES3_NS6_12zip_iteratorINS7_INS6_11hip_rocprim26transform_input_iterator_tIbNSD_35transform_pair_of_input_iterators_tIbNS6_6detail15normal_iteratorINS6_10device_ptrIKiEEEESL_NS6_8equal_toIiEEEENSG_9not_fun_tINSD_8identityEEEEENSD_19counting_iterator_tIlEES8_S8_S8_S8_S8_S8_S8_S8_EEEEPS9_S9_NSD_9__find_if7functorIS9_EEEE10hipError_tPvRmT1_T2_T3_mT4_P12ihipStream_tbEUlT_E0_NS1_11comp_targetILNS1_3genE10ELNS1_11target_archE1200ELNS1_3gpuE4ELNS1_3repE0EEENS1_30default_config_static_selectorELNS0_4arch9wavefront6targetE0EEEvS14_: ; @_ZN7rocprim17ROCPRIM_400000_NS6detail17trampoline_kernelINS0_14default_configENS1_22reduce_config_selectorIN6thrust23THRUST_200600_302600_NS5tupleIblNS6_9null_typeES8_S8_S8_S8_S8_S8_S8_EEEEZNS1_11reduce_implILb1ES3_NS6_12zip_iteratorINS7_INS6_11hip_rocprim26transform_input_iterator_tIbNSD_35transform_pair_of_input_iterators_tIbNS6_6detail15normal_iteratorINS6_10device_ptrIKiEEEESL_NS6_8equal_toIiEEEENSG_9not_fun_tINSD_8identityEEEEENSD_19counting_iterator_tIlEES8_S8_S8_S8_S8_S8_S8_S8_EEEEPS9_S9_NSD_9__find_if7functorIS9_EEEE10hipError_tPvRmT1_T2_T3_mT4_P12ihipStream_tbEUlT_E0_NS1_11comp_targetILNS1_3genE10ELNS1_11target_archE1200ELNS1_3gpuE4ELNS1_3repE0EEENS1_30default_config_static_selectorELNS0_4arch9wavefront6targetE0EEEvS14_
; %bb.0:
	.section	.rodata,"a",@progbits
	.p2align	6, 0x0
	.amdhsa_kernel _ZN7rocprim17ROCPRIM_400000_NS6detail17trampoline_kernelINS0_14default_configENS1_22reduce_config_selectorIN6thrust23THRUST_200600_302600_NS5tupleIblNS6_9null_typeES8_S8_S8_S8_S8_S8_S8_EEEEZNS1_11reduce_implILb1ES3_NS6_12zip_iteratorINS7_INS6_11hip_rocprim26transform_input_iterator_tIbNSD_35transform_pair_of_input_iterators_tIbNS6_6detail15normal_iteratorINS6_10device_ptrIKiEEEESL_NS6_8equal_toIiEEEENSG_9not_fun_tINSD_8identityEEEEENSD_19counting_iterator_tIlEES8_S8_S8_S8_S8_S8_S8_S8_EEEEPS9_S9_NSD_9__find_if7functorIS9_EEEE10hipError_tPvRmT1_T2_T3_mT4_P12ihipStream_tbEUlT_E0_NS1_11comp_targetILNS1_3genE10ELNS1_11target_archE1200ELNS1_3gpuE4ELNS1_3repE0EEENS1_30default_config_static_selectorELNS0_4arch9wavefront6targetE0EEEvS14_
		.amdhsa_group_segment_fixed_size 0
		.amdhsa_private_segment_fixed_size 0
		.amdhsa_kernarg_size 104
		.amdhsa_user_sgpr_count 6
		.amdhsa_user_sgpr_private_segment_buffer 1
		.amdhsa_user_sgpr_dispatch_ptr 0
		.amdhsa_user_sgpr_queue_ptr 0
		.amdhsa_user_sgpr_kernarg_segment_ptr 1
		.amdhsa_user_sgpr_dispatch_id 0
		.amdhsa_user_sgpr_flat_scratch_init 0
		.amdhsa_user_sgpr_private_segment_size 0
		.amdhsa_wavefront_size32 1
		.amdhsa_uses_dynamic_stack 0
		.amdhsa_system_sgpr_private_segment_wavefront_offset 0
		.amdhsa_system_sgpr_workgroup_id_x 1
		.amdhsa_system_sgpr_workgroup_id_y 0
		.amdhsa_system_sgpr_workgroup_id_z 0
		.amdhsa_system_sgpr_workgroup_info 0
		.amdhsa_system_vgpr_workitem_id 0
		.amdhsa_next_free_vgpr 1
		.amdhsa_next_free_sgpr 1
		.amdhsa_reserve_vcc 0
		.amdhsa_reserve_flat_scratch 0
		.amdhsa_float_round_mode_32 0
		.amdhsa_float_round_mode_16_64 0
		.amdhsa_float_denorm_mode_32 3
		.amdhsa_float_denorm_mode_16_64 3
		.amdhsa_dx10_clamp 1
		.amdhsa_ieee_mode 1
		.amdhsa_fp16_overflow 0
		.amdhsa_workgroup_processor_mode 1
		.amdhsa_memory_ordered 1
		.amdhsa_forward_progress 1
		.amdhsa_shared_vgpr_count 0
		.amdhsa_exception_fp_ieee_invalid_op 0
		.amdhsa_exception_fp_denorm_src 0
		.amdhsa_exception_fp_ieee_div_zero 0
		.amdhsa_exception_fp_ieee_overflow 0
		.amdhsa_exception_fp_ieee_underflow 0
		.amdhsa_exception_fp_ieee_inexact 0
		.amdhsa_exception_int_div_zero 0
	.end_amdhsa_kernel
	.section	.text._ZN7rocprim17ROCPRIM_400000_NS6detail17trampoline_kernelINS0_14default_configENS1_22reduce_config_selectorIN6thrust23THRUST_200600_302600_NS5tupleIblNS6_9null_typeES8_S8_S8_S8_S8_S8_S8_EEEEZNS1_11reduce_implILb1ES3_NS6_12zip_iteratorINS7_INS6_11hip_rocprim26transform_input_iterator_tIbNSD_35transform_pair_of_input_iterators_tIbNS6_6detail15normal_iteratorINS6_10device_ptrIKiEEEESL_NS6_8equal_toIiEEEENSG_9not_fun_tINSD_8identityEEEEENSD_19counting_iterator_tIlEES8_S8_S8_S8_S8_S8_S8_S8_EEEEPS9_S9_NSD_9__find_if7functorIS9_EEEE10hipError_tPvRmT1_T2_T3_mT4_P12ihipStream_tbEUlT_E0_NS1_11comp_targetILNS1_3genE10ELNS1_11target_archE1200ELNS1_3gpuE4ELNS1_3repE0EEENS1_30default_config_static_selectorELNS0_4arch9wavefront6targetE0EEEvS14_,"axG",@progbits,_ZN7rocprim17ROCPRIM_400000_NS6detail17trampoline_kernelINS0_14default_configENS1_22reduce_config_selectorIN6thrust23THRUST_200600_302600_NS5tupleIblNS6_9null_typeES8_S8_S8_S8_S8_S8_S8_EEEEZNS1_11reduce_implILb1ES3_NS6_12zip_iteratorINS7_INS6_11hip_rocprim26transform_input_iterator_tIbNSD_35transform_pair_of_input_iterators_tIbNS6_6detail15normal_iteratorINS6_10device_ptrIKiEEEESL_NS6_8equal_toIiEEEENSG_9not_fun_tINSD_8identityEEEEENSD_19counting_iterator_tIlEES8_S8_S8_S8_S8_S8_S8_S8_EEEEPS9_S9_NSD_9__find_if7functorIS9_EEEE10hipError_tPvRmT1_T2_T3_mT4_P12ihipStream_tbEUlT_E0_NS1_11comp_targetILNS1_3genE10ELNS1_11target_archE1200ELNS1_3gpuE4ELNS1_3repE0EEENS1_30default_config_static_selectorELNS0_4arch9wavefront6targetE0EEEvS14_,comdat
.Lfunc_end267:
	.size	_ZN7rocprim17ROCPRIM_400000_NS6detail17trampoline_kernelINS0_14default_configENS1_22reduce_config_selectorIN6thrust23THRUST_200600_302600_NS5tupleIblNS6_9null_typeES8_S8_S8_S8_S8_S8_S8_EEEEZNS1_11reduce_implILb1ES3_NS6_12zip_iteratorINS7_INS6_11hip_rocprim26transform_input_iterator_tIbNSD_35transform_pair_of_input_iterators_tIbNS6_6detail15normal_iteratorINS6_10device_ptrIKiEEEESL_NS6_8equal_toIiEEEENSG_9not_fun_tINSD_8identityEEEEENSD_19counting_iterator_tIlEES8_S8_S8_S8_S8_S8_S8_S8_EEEEPS9_S9_NSD_9__find_if7functorIS9_EEEE10hipError_tPvRmT1_T2_T3_mT4_P12ihipStream_tbEUlT_E0_NS1_11comp_targetILNS1_3genE10ELNS1_11target_archE1200ELNS1_3gpuE4ELNS1_3repE0EEENS1_30default_config_static_selectorELNS0_4arch9wavefront6targetE0EEEvS14_, .Lfunc_end267-_ZN7rocprim17ROCPRIM_400000_NS6detail17trampoline_kernelINS0_14default_configENS1_22reduce_config_selectorIN6thrust23THRUST_200600_302600_NS5tupleIblNS6_9null_typeES8_S8_S8_S8_S8_S8_S8_EEEEZNS1_11reduce_implILb1ES3_NS6_12zip_iteratorINS7_INS6_11hip_rocprim26transform_input_iterator_tIbNSD_35transform_pair_of_input_iterators_tIbNS6_6detail15normal_iteratorINS6_10device_ptrIKiEEEESL_NS6_8equal_toIiEEEENSG_9not_fun_tINSD_8identityEEEEENSD_19counting_iterator_tIlEES8_S8_S8_S8_S8_S8_S8_S8_EEEEPS9_S9_NSD_9__find_if7functorIS9_EEEE10hipError_tPvRmT1_T2_T3_mT4_P12ihipStream_tbEUlT_E0_NS1_11comp_targetILNS1_3genE10ELNS1_11target_archE1200ELNS1_3gpuE4ELNS1_3repE0EEENS1_30default_config_static_selectorELNS0_4arch9wavefront6targetE0EEEvS14_
                                        ; -- End function
	.set _ZN7rocprim17ROCPRIM_400000_NS6detail17trampoline_kernelINS0_14default_configENS1_22reduce_config_selectorIN6thrust23THRUST_200600_302600_NS5tupleIblNS6_9null_typeES8_S8_S8_S8_S8_S8_S8_EEEEZNS1_11reduce_implILb1ES3_NS6_12zip_iteratorINS7_INS6_11hip_rocprim26transform_input_iterator_tIbNSD_35transform_pair_of_input_iterators_tIbNS6_6detail15normal_iteratorINS6_10device_ptrIKiEEEESL_NS6_8equal_toIiEEEENSG_9not_fun_tINSD_8identityEEEEENSD_19counting_iterator_tIlEES8_S8_S8_S8_S8_S8_S8_S8_EEEEPS9_S9_NSD_9__find_if7functorIS9_EEEE10hipError_tPvRmT1_T2_T3_mT4_P12ihipStream_tbEUlT_E0_NS1_11comp_targetILNS1_3genE10ELNS1_11target_archE1200ELNS1_3gpuE4ELNS1_3repE0EEENS1_30default_config_static_selectorELNS0_4arch9wavefront6targetE0EEEvS14_.num_vgpr, 0
	.set _ZN7rocprim17ROCPRIM_400000_NS6detail17trampoline_kernelINS0_14default_configENS1_22reduce_config_selectorIN6thrust23THRUST_200600_302600_NS5tupleIblNS6_9null_typeES8_S8_S8_S8_S8_S8_S8_EEEEZNS1_11reduce_implILb1ES3_NS6_12zip_iteratorINS7_INS6_11hip_rocprim26transform_input_iterator_tIbNSD_35transform_pair_of_input_iterators_tIbNS6_6detail15normal_iteratorINS6_10device_ptrIKiEEEESL_NS6_8equal_toIiEEEENSG_9not_fun_tINSD_8identityEEEEENSD_19counting_iterator_tIlEES8_S8_S8_S8_S8_S8_S8_S8_EEEEPS9_S9_NSD_9__find_if7functorIS9_EEEE10hipError_tPvRmT1_T2_T3_mT4_P12ihipStream_tbEUlT_E0_NS1_11comp_targetILNS1_3genE10ELNS1_11target_archE1200ELNS1_3gpuE4ELNS1_3repE0EEENS1_30default_config_static_selectorELNS0_4arch9wavefront6targetE0EEEvS14_.num_agpr, 0
	.set _ZN7rocprim17ROCPRIM_400000_NS6detail17trampoline_kernelINS0_14default_configENS1_22reduce_config_selectorIN6thrust23THRUST_200600_302600_NS5tupleIblNS6_9null_typeES8_S8_S8_S8_S8_S8_S8_EEEEZNS1_11reduce_implILb1ES3_NS6_12zip_iteratorINS7_INS6_11hip_rocprim26transform_input_iterator_tIbNSD_35transform_pair_of_input_iterators_tIbNS6_6detail15normal_iteratorINS6_10device_ptrIKiEEEESL_NS6_8equal_toIiEEEENSG_9not_fun_tINSD_8identityEEEEENSD_19counting_iterator_tIlEES8_S8_S8_S8_S8_S8_S8_S8_EEEEPS9_S9_NSD_9__find_if7functorIS9_EEEE10hipError_tPvRmT1_T2_T3_mT4_P12ihipStream_tbEUlT_E0_NS1_11comp_targetILNS1_3genE10ELNS1_11target_archE1200ELNS1_3gpuE4ELNS1_3repE0EEENS1_30default_config_static_selectorELNS0_4arch9wavefront6targetE0EEEvS14_.numbered_sgpr, 0
	.set _ZN7rocprim17ROCPRIM_400000_NS6detail17trampoline_kernelINS0_14default_configENS1_22reduce_config_selectorIN6thrust23THRUST_200600_302600_NS5tupleIblNS6_9null_typeES8_S8_S8_S8_S8_S8_S8_EEEEZNS1_11reduce_implILb1ES3_NS6_12zip_iteratorINS7_INS6_11hip_rocprim26transform_input_iterator_tIbNSD_35transform_pair_of_input_iterators_tIbNS6_6detail15normal_iteratorINS6_10device_ptrIKiEEEESL_NS6_8equal_toIiEEEENSG_9not_fun_tINSD_8identityEEEEENSD_19counting_iterator_tIlEES8_S8_S8_S8_S8_S8_S8_S8_EEEEPS9_S9_NSD_9__find_if7functorIS9_EEEE10hipError_tPvRmT1_T2_T3_mT4_P12ihipStream_tbEUlT_E0_NS1_11comp_targetILNS1_3genE10ELNS1_11target_archE1200ELNS1_3gpuE4ELNS1_3repE0EEENS1_30default_config_static_selectorELNS0_4arch9wavefront6targetE0EEEvS14_.num_named_barrier, 0
	.set _ZN7rocprim17ROCPRIM_400000_NS6detail17trampoline_kernelINS0_14default_configENS1_22reduce_config_selectorIN6thrust23THRUST_200600_302600_NS5tupleIblNS6_9null_typeES8_S8_S8_S8_S8_S8_S8_EEEEZNS1_11reduce_implILb1ES3_NS6_12zip_iteratorINS7_INS6_11hip_rocprim26transform_input_iterator_tIbNSD_35transform_pair_of_input_iterators_tIbNS6_6detail15normal_iteratorINS6_10device_ptrIKiEEEESL_NS6_8equal_toIiEEEENSG_9not_fun_tINSD_8identityEEEEENSD_19counting_iterator_tIlEES8_S8_S8_S8_S8_S8_S8_S8_EEEEPS9_S9_NSD_9__find_if7functorIS9_EEEE10hipError_tPvRmT1_T2_T3_mT4_P12ihipStream_tbEUlT_E0_NS1_11comp_targetILNS1_3genE10ELNS1_11target_archE1200ELNS1_3gpuE4ELNS1_3repE0EEENS1_30default_config_static_selectorELNS0_4arch9wavefront6targetE0EEEvS14_.private_seg_size, 0
	.set _ZN7rocprim17ROCPRIM_400000_NS6detail17trampoline_kernelINS0_14default_configENS1_22reduce_config_selectorIN6thrust23THRUST_200600_302600_NS5tupleIblNS6_9null_typeES8_S8_S8_S8_S8_S8_S8_EEEEZNS1_11reduce_implILb1ES3_NS6_12zip_iteratorINS7_INS6_11hip_rocprim26transform_input_iterator_tIbNSD_35transform_pair_of_input_iterators_tIbNS6_6detail15normal_iteratorINS6_10device_ptrIKiEEEESL_NS6_8equal_toIiEEEENSG_9not_fun_tINSD_8identityEEEEENSD_19counting_iterator_tIlEES8_S8_S8_S8_S8_S8_S8_S8_EEEEPS9_S9_NSD_9__find_if7functorIS9_EEEE10hipError_tPvRmT1_T2_T3_mT4_P12ihipStream_tbEUlT_E0_NS1_11comp_targetILNS1_3genE10ELNS1_11target_archE1200ELNS1_3gpuE4ELNS1_3repE0EEENS1_30default_config_static_selectorELNS0_4arch9wavefront6targetE0EEEvS14_.uses_vcc, 0
	.set _ZN7rocprim17ROCPRIM_400000_NS6detail17trampoline_kernelINS0_14default_configENS1_22reduce_config_selectorIN6thrust23THRUST_200600_302600_NS5tupleIblNS6_9null_typeES8_S8_S8_S8_S8_S8_S8_EEEEZNS1_11reduce_implILb1ES3_NS6_12zip_iteratorINS7_INS6_11hip_rocprim26transform_input_iterator_tIbNSD_35transform_pair_of_input_iterators_tIbNS6_6detail15normal_iteratorINS6_10device_ptrIKiEEEESL_NS6_8equal_toIiEEEENSG_9not_fun_tINSD_8identityEEEEENSD_19counting_iterator_tIlEES8_S8_S8_S8_S8_S8_S8_S8_EEEEPS9_S9_NSD_9__find_if7functorIS9_EEEE10hipError_tPvRmT1_T2_T3_mT4_P12ihipStream_tbEUlT_E0_NS1_11comp_targetILNS1_3genE10ELNS1_11target_archE1200ELNS1_3gpuE4ELNS1_3repE0EEENS1_30default_config_static_selectorELNS0_4arch9wavefront6targetE0EEEvS14_.uses_flat_scratch, 0
	.set _ZN7rocprim17ROCPRIM_400000_NS6detail17trampoline_kernelINS0_14default_configENS1_22reduce_config_selectorIN6thrust23THRUST_200600_302600_NS5tupleIblNS6_9null_typeES8_S8_S8_S8_S8_S8_S8_EEEEZNS1_11reduce_implILb1ES3_NS6_12zip_iteratorINS7_INS6_11hip_rocprim26transform_input_iterator_tIbNSD_35transform_pair_of_input_iterators_tIbNS6_6detail15normal_iteratorINS6_10device_ptrIKiEEEESL_NS6_8equal_toIiEEEENSG_9not_fun_tINSD_8identityEEEEENSD_19counting_iterator_tIlEES8_S8_S8_S8_S8_S8_S8_S8_EEEEPS9_S9_NSD_9__find_if7functorIS9_EEEE10hipError_tPvRmT1_T2_T3_mT4_P12ihipStream_tbEUlT_E0_NS1_11comp_targetILNS1_3genE10ELNS1_11target_archE1200ELNS1_3gpuE4ELNS1_3repE0EEENS1_30default_config_static_selectorELNS0_4arch9wavefront6targetE0EEEvS14_.has_dyn_sized_stack, 0
	.set _ZN7rocprim17ROCPRIM_400000_NS6detail17trampoline_kernelINS0_14default_configENS1_22reduce_config_selectorIN6thrust23THRUST_200600_302600_NS5tupleIblNS6_9null_typeES8_S8_S8_S8_S8_S8_S8_EEEEZNS1_11reduce_implILb1ES3_NS6_12zip_iteratorINS7_INS6_11hip_rocprim26transform_input_iterator_tIbNSD_35transform_pair_of_input_iterators_tIbNS6_6detail15normal_iteratorINS6_10device_ptrIKiEEEESL_NS6_8equal_toIiEEEENSG_9not_fun_tINSD_8identityEEEEENSD_19counting_iterator_tIlEES8_S8_S8_S8_S8_S8_S8_S8_EEEEPS9_S9_NSD_9__find_if7functorIS9_EEEE10hipError_tPvRmT1_T2_T3_mT4_P12ihipStream_tbEUlT_E0_NS1_11comp_targetILNS1_3genE10ELNS1_11target_archE1200ELNS1_3gpuE4ELNS1_3repE0EEENS1_30default_config_static_selectorELNS0_4arch9wavefront6targetE0EEEvS14_.has_recursion, 0
	.set _ZN7rocprim17ROCPRIM_400000_NS6detail17trampoline_kernelINS0_14default_configENS1_22reduce_config_selectorIN6thrust23THRUST_200600_302600_NS5tupleIblNS6_9null_typeES8_S8_S8_S8_S8_S8_S8_EEEEZNS1_11reduce_implILb1ES3_NS6_12zip_iteratorINS7_INS6_11hip_rocprim26transform_input_iterator_tIbNSD_35transform_pair_of_input_iterators_tIbNS6_6detail15normal_iteratorINS6_10device_ptrIKiEEEESL_NS6_8equal_toIiEEEENSG_9not_fun_tINSD_8identityEEEEENSD_19counting_iterator_tIlEES8_S8_S8_S8_S8_S8_S8_S8_EEEEPS9_S9_NSD_9__find_if7functorIS9_EEEE10hipError_tPvRmT1_T2_T3_mT4_P12ihipStream_tbEUlT_E0_NS1_11comp_targetILNS1_3genE10ELNS1_11target_archE1200ELNS1_3gpuE4ELNS1_3repE0EEENS1_30default_config_static_selectorELNS0_4arch9wavefront6targetE0EEEvS14_.has_indirect_call, 0
	.section	.AMDGPU.csdata,"",@progbits
; Kernel info:
; codeLenInByte = 0
; TotalNumSgprs: 0
; NumVgprs: 0
; ScratchSize: 0
; MemoryBound: 0
; FloatMode: 240
; IeeeMode: 1
; LDSByteSize: 0 bytes/workgroup (compile time only)
; SGPRBlocks: 0
; VGPRBlocks: 0
; NumSGPRsForWavesPerEU: 1
; NumVGPRsForWavesPerEU: 1
; Occupancy: 16
; WaveLimiterHint : 0
; COMPUTE_PGM_RSRC2:SCRATCH_EN: 0
; COMPUTE_PGM_RSRC2:USER_SGPR: 6
; COMPUTE_PGM_RSRC2:TRAP_HANDLER: 0
; COMPUTE_PGM_RSRC2:TGID_X_EN: 1
; COMPUTE_PGM_RSRC2:TGID_Y_EN: 0
; COMPUTE_PGM_RSRC2:TGID_Z_EN: 0
; COMPUTE_PGM_RSRC2:TIDIG_COMP_CNT: 0
	.section	.text._ZN7rocprim17ROCPRIM_400000_NS6detail17trampoline_kernelINS0_14default_configENS1_22reduce_config_selectorIN6thrust23THRUST_200600_302600_NS5tupleIblNS6_9null_typeES8_S8_S8_S8_S8_S8_S8_EEEEZNS1_11reduce_implILb1ES3_NS6_12zip_iteratorINS7_INS6_11hip_rocprim26transform_input_iterator_tIbNSD_35transform_pair_of_input_iterators_tIbNS6_6detail15normal_iteratorINS6_10device_ptrIKiEEEESL_NS6_8equal_toIiEEEENSG_9not_fun_tINSD_8identityEEEEENSD_19counting_iterator_tIlEES8_S8_S8_S8_S8_S8_S8_S8_EEEEPS9_S9_NSD_9__find_if7functorIS9_EEEE10hipError_tPvRmT1_T2_T3_mT4_P12ihipStream_tbEUlT_E0_NS1_11comp_targetILNS1_3genE9ELNS1_11target_archE1100ELNS1_3gpuE3ELNS1_3repE0EEENS1_30default_config_static_selectorELNS0_4arch9wavefront6targetE0EEEvS14_,"axG",@progbits,_ZN7rocprim17ROCPRIM_400000_NS6detail17trampoline_kernelINS0_14default_configENS1_22reduce_config_selectorIN6thrust23THRUST_200600_302600_NS5tupleIblNS6_9null_typeES8_S8_S8_S8_S8_S8_S8_EEEEZNS1_11reduce_implILb1ES3_NS6_12zip_iteratorINS7_INS6_11hip_rocprim26transform_input_iterator_tIbNSD_35transform_pair_of_input_iterators_tIbNS6_6detail15normal_iteratorINS6_10device_ptrIKiEEEESL_NS6_8equal_toIiEEEENSG_9not_fun_tINSD_8identityEEEEENSD_19counting_iterator_tIlEES8_S8_S8_S8_S8_S8_S8_S8_EEEEPS9_S9_NSD_9__find_if7functorIS9_EEEE10hipError_tPvRmT1_T2_T3_mT4_P12ihipStream_tbEUlT_E0_NS1_11comp_targetILNS1_3genE9ELNS1_11target_archE1100ELNS1_3gpuE3ELNS1_3repE0EEENS1_30default_config_static_selectorELNS0_4arch9wavefront6targetE0EEEvS14_,comdat
	.protected	_ZN7rocprim17ROCPRIM_400000_NS6detail17trampoline_kernelINS0_14default_configENS1_22reduce_config_selectorIN6thrust23THRUST_200600_302600_NS5tupleIblNS6_9null_typeES8_S8_S8_S8_S8_S8_S8_EEEEZNS1_11reduce_implILb1ES3_NS6_12zip_iteratorINS7_INS6_11hip_rocprim26transform_input_iterator_tIbNSD_35transform_pair_of_input_iterators_tIbNS6_6detail15normal_iteratorINS6_10device_ptrIKiEEEESL_NS6_8equal_toIiEEEENSG_9not_fun_tINSD_8identityEEEEENSD_19counting_iterator_tIlEES8_S8_S8_S8_S8_S8_S8_S8_EEEEPS9_S9_NSD_9__find_if7functorIS9_EEEE10hipError_tPvRmT1_T2_T3_mT4_P12ihipStream_tbEUlT_E0_NS1_11comp_targetILNS1_3genE9ELNS1_11target_archE1100ELNS1_3gpuE3ELNS1_3repE0EEENS1_30default_config_static_selectorELNS0_4arch9wavefront6targetE0EEEvS14_ ; -- Begin function _ZN7rocprim17ROCPRIM_400000_NS6detail17trampoline_kernelINS0_14default_configENS1_22reduce_config_selectorIN6thrust23THRUST_200600_302600_NS5tupleIblNS6_9null_typeES8_S8_S8_S8_S8_S8_S8_EEEEZNS1_11reduce_implILb1ES3_NS6_12zip_iteratorINS7_INS6_11hip_rocprim26transform_input_iterator_tIbNSD_35transform_pair_of_input_iterators_tIbNS6_6detail15normal_iteratorINS6_10device_ptrIKiEEEESL_NS6_8equal_toIiEEEENSG_9not_fun_tINSD_8identityEEEEENSD_19counting_iterator_tIlEES8_S8_S8_S8_S8_S8_S8_S8_EEEEPS9_S9_NSD_9__find_if7functorIS9_EEEE10hipError_tPvRmT1_T2_T3_mT4_P12ihipStream_tbEUlT_E0_NS1_11comp_targetILNS1_3genE9ELNS1_11target_archE1100ELNS1_3gpuE3ELNS1_3repE0EEENS1_30default_config_static_selectorELNS0_4arch9wavefront6targetE0EEEvS14_
	.globl	_ZN7rocprim17ROCPRIM_400000_NS6detail17trampoline_kernelINS0_14default_configENS1_22reduce_config_selectorIN6thrust23THRUST_200600_302600_NS5tupleIblNS6_9null_typeES8_S8_S8_S8_S8_S8_S8_EEEEZNS1_11reduce_implILb1ES3_NS6_12zip_iteratorINS7_INS6_11hip_rocprim26transform_input_iterator_tIbNSD_35transform_pair_of_input_iterators_tIbNS6_6detail15normal_iteratorINS6_10device_ptrIKiEEEESL_NS6_8equal_toIiEEEENSG_9not_fun_tINSD_8identityEEEEENSD_19counting_iterator_tIlEES8_S8_S8_S8_S8_S8_S8_S8_EEEEPS9_S9_NSD_9__find_if7functorIS9_EEEE10hipError_tPvRmT1_T2_T3_mT4_P12ihipStream_tbEUlT_E0_NS1_11comp_targetILNS1_3genE9ELNS1_11target_archE1100ELNS1_3gpuE3ELNS1_3repE0EEENS1_30default_config_static_selectorELNS0_4arch9wavefront6targetE0EEEvS14_
	.p2align	8
	.type	_ZN7rocprim17ROCPRIM_400000_NS6detail17trampoline_kernelINS0_14default_configENS1_22reduce_config_selectorIN6thrust23THRUST_200600_302600_NS5tupleIblNS6_9null_typeES8_S8_S8_S8_S8_S8_S8_EEEEZNS1_11reduce_implILb1ES3_NS6_12zip_iteratorINS7_INS6_11hip_rocprim26transform_input_iterator_tIbNSD_35transform_pair_of_input_iterators_tIbNS6_6detail15normal_iteratorINS6_10device_ptrIKiEEEESL_NS6_8equal_toIiEEEENSG_9not_fun_tINSD_8identityEEEEENSD_19counting_iterator_tIlEES8_S8_S8_S8_S8_S8_S8_S8_EEEEPS9_S9_NSD_9__find_if7functorIS9_EEEE10hipError_tPvRmT1_T2_T3_mT4_P12ihipStream_tbEUlT_E0_NS1_11comp_targetILNS1_3genE9ELNS1_11target_archE1100ELNS1_3gpuE3ELNS1_3repE0EEENS1_30default_config_static_selectorELNS0_4arch9wavefront6targetE0EEEvS14_,@function
_ZN7rocprim17ROCPRIM_400000_NS6detail17trampoline_kernelINS0_14default_configENS1_22reduce_config_selectorIN6thrust23THRUST_200600_302600_NS5tupleIblNS6_9null_typeES8_S8_S8_S8_S8_S8_S8_EEEEZNS1_11reduce_implILb1ES3_NS6_12zip_iteratorINS7_INS6_11hip_rocprim26transform_input_iterator_tIbNSD_35transform_pair_of_input_iterators_tIbNS6_6detail15normal_iteratorINS6_10device_ptrIKiEEEESL_NS6_8equal_toIiEEEENSG_9not_fun_tINSD_8identityEEEEENSD_19counting_iterator_tIlEES8_S8_S8_S8_S8_S8_S8_S8_EEEEPS9_S9_NSD_9__find_if7functorIS9_EEEE10hipError_tPvRmT1_T2_T3_mT4_P12ihipStream_tbEUlT_E0_NS1_11comp_targetILNS1_3genE9ELNS1_11target_archE1100ELNS1_3gpuE3ELNS1_3repE0EEENS1_30default_config_static_selectorELNS0_4arch9wavefront6targetE0EEEvS14_: ; @_ZN7rocprim17ROCPRIM_400000_NS6detail17trampoline_kernelINS0_14default_configENS1_22reduce_config_selectorIN6thrust23THRUST_200600_302600_NS5tupleIblNS6_9null_typeES8_S8_S8_S8_S8_S8_S8_EEEEZNS1_11reduce_implILb1ES3_NS6_12zip_iteratorINS7_INS6_11hip_rocprim26transform_input_iterator_tIbNSD_35transform_pair_of_input_iterators_tIbNS6_6detail15normal_iteratorINS6_10device_ptrIKiEEEESL_NS6_8equal_toIiEEEENSG_9not_fun_tINSD_8identityEEEEENSD_19counting_iterator_tIlEES8_S8_S8_S8_S8_S8_S8_S8_EEEEPS9_S9_NSD_9__find_if7functorIS9_EEEE10hipError_tPvRmT1_T2_T3_mT4_P12ihipStream_tbEUlT_E0_NS1_11comp_targetILNS1_3genE9ELNS1_11target_archE1100ELNS1_3gpuE3ELNS1_3repE0EEENS1_30default_config_static_selectorELNS0_4arch9wavefront6targetE0EEEvS14_
; %bb.0:
	.section	.rodata,"a",@progbits
	.p2align	6, 0x0
	.amdhsa_kernel _ZN7rocprim17ROCPRIM_400000_NS6detail17trampoline_kernelINS0_14default_configENS1_22reduce_config_selectorIN6thrust23THRUST_200600_302600_NS5tupleIblNS6_9null_typeES8_S8_S8_S8_S8_S8_S8_EEEEZNS1_11reduce_implILb1ES3_NS6_12zip_iteratorINS7_INS6_11hip_rocprim26transform_input_iterator_tIbNSD_35transform_pair_of_input_iterators_tIbNS6_6detail15normal_iteratorINS6_10device_ptrIKiEEEESL_NS6_8equal_toIiEEEENSG_9not_fun_tINSD_8identityEEEEENSD_19counting_iterator_tIlEES8_S8_S8_S8_S8_S8_S8_S8_EEEEPS9_S9_NSD_9__find_if7functorIS9_EEEE10hipError_tPvRmT1_T2_T3_mT4_P12ihipStream_tbEUlT_E0_NS1_11comp_targetILNS1_3genE9ELNS1_11target_archE1100ELNS1_3gpuE3ELNS1_3repE0EEENS1_30default_config_static_selectorELNS0_4arch9wavefront6targetE0EEEvS14_
		.amdhsa_group_segment_fixed_size 0
		.amdhsa_private_segment_fixed_size 0
		.amdhsa_kernarg_size 104
		.amdhsa_user_sgpr_count 6
		.amdhsa_user_sgpr_private_segment_buffer 1
		.amdhsa_user_sgpr_dispatch_ptr 0
		.amdhsa_user_sgpr_queue_ptr 0
		.amdhsa_user_sgpr_kernarg_segment_ptr 1
		.amdhsa_user_sgpr_dispatch_id 0
		.amdhsa_user_sgpr_flat_scratch_init 0
		.amdhsa_user_sgpr_private_segment_size 0
		.amdhsa_wavefront_size32 1
		.amdhsa_uses_dynamic_stack 0
		.amdhsa_system_sgpr_private_segment_wavefront_offset 0
		.amdhsa_system_sgpr_workgroup_id_x 1
		.amdhsa_system_sgpr_workgroup_id_y 0
		.amdhsa_system_sgpr_workgroup_id_z 0
		.amdhsa_system_sgpr_workgroup_info 0
		.amdhsa_system_vgpr_workitem_id 0
		.amdhsa_next_free_vgpr 1
		.amdhsa_next_free_sgpr 1
		.amdhsa_reserve_vcc 0
		.amdhsa_reserve_flat_scratch 0
		.amdhsa_float_round_mode_32 0
		.amdhsa_float_round_mode_16_64 0
		.amdhsa_float_denorm_mode_32 3
		.amdhsa_float_denorm_mode_16_64 3
		.amdhsa_dx10_clamp 1
		.amdhsa_ieee_mode 1
		.amdhsa_fp16_overflow 0
		.amdhsa_workgroup_processor_mode 1
		.amdhsa_memory_ordered 1
		.amdhsa_forward_progress 1
		.amdhsa_shared_vgpr_count 0
		.amdhsa_exception_fp_ieee_invalid_op 0
		.amdhsa_exception_fp_denorm_src 0
		.amdhsa_exception_fp_ieee_div_zero 0
		.amdhsa_exception_fp_ieee_overflow 0
		.amdhsa_exception_fp_ieee_underflow 0
		.amdhsa_exception_fp_ieee_inexact 0
		.amdhsa_exception_int_div_zero 0
	.end_amdhsa_kernel
	.section	.text._ZN7rocprim17ROCPRIM_400000_NS6detail17trampoline_kernelINS0_14default_configENS1_22reduce_config_selectorIN6thrust23THRUST_200600_302600_NS5tupleIblNS6_9null_typeES8_S8_S8_S8_S8_S8_S8_EEEEZNS1_11reduce_implILb1ES3_NS6_12zip_iteratorINS7_INS6_11hip_rocprim26transform_input_iterator_tIbNSD_35transform_pair_of_input_iterators_tIbNS6_6detail15normal_iteratorINS6_10device_ptrIKiEEEESL_NS6_8equal_toIiEEEENSG_9not_fun_tINSD_8identityEEEEENSD_19counting_iterator_tIlEES8_S8_S8_S8_S8_S8_S8_S8_EEEEPS9_S9_NSD_9__find_if7functorIS9_EEEE10hipError_tPvRmT1_T2_T3_mT4_P12ihipStream_tbEUlT_E0_NS1_11comp_targetILNS1_3genE9ELNS1_11target_archE1100ELNS1_3gpuE3ELNS1_3repE0EEENS1_30default_config_static_selectorELNS0_4arch9wavefront6targetE0EEEvS14_,"axG",@progbits,_ZN7rocprim17ROCPRIM_400000_NS6detail17trampoline_kernelINS0_14default_configENS1_22reduce_config_selectorIN6thrust23THRUST_200600_302600_NS5tupleIblNS6_9null_typeES8_S8_S8_S8_S8_S8_S8_EEEEZNS1_11reduce_implILb1ES3_NS6_12zip_iteratorINS7_INS6_11hip_rocprim26transform_input_iterator_tIbNSD_35transform_pair_of_input_iterators_tIbNS6_6detail15normal_iteratorINS6_10device_ptrIKiEEEESL_NS6_8equal_toIiEEEENSG_9not_fun_tINSD_8identityEEEEENSD_19counting_iterator_tIlEES8_S8_S8_S8_S8_S8_S8_S8_EEEEPS9_S9_NSD_9__find_if7functorIS9_EEEE10hipError_tPvRmT1_T2_T3_mT4_P12ihipStream_tbEUlT_E0_NS1_11comp_targetILNS1_3genE9ELNS1_11target_archE1100ELNS1_3gpuE3ELNS1_3repE0EEENS1_30default_config_static_selectorELNS0_4arch9wavefront6targetE0EEEvS14_,comdat
.Lfunc_end268:
	.size	_ZN7rocprim17ROCPRIM_400000_NS6detail17trampoline_kernelINS0_14default_configENS1_22reduce_config_selectorIN6thrust23THRUST_200600_302600_NS5tupleIblNS6_9null_typeES8_S8_S8_S8_S8_S8_S8_EEEEZNS1_11reduce_implILb1ES3_NS6_12zip_iteratorINS7_INS6_11hip_rocprim26transform_input_iterator_tIbNSD_35transform_pair_of_input_iterators_tIbNS6_6detail15normal_iteratorINS6_10device_ptrIKiEEEESL_NS6_8equal_toIiEEEENSG_9not_fun_tINSD_8identityEEEEENSD_19counting_iterator_tIlEES8_S8_S8_S8_S8_S8_S8_S8_EEEEPS9_S9_NSD_9__find_if7functorIS9_EEEE10hipError_tPvRmT1_T2_T3_mT4_P12ihipStream_tbEUlT_E0_NS1_11comp_targetILNS1_3genE9ELNS1_11target_archE1100ELNS1_3gpuE3ELNS1_3repE0EEENS1_30default_config_static_selectorELNS0_4arch9wavefront6targetE0EEEvS14_, .Lfunc_end268-_ZN7rocprim17ROCPRIM_400000_NS6detail17trampoline_kernelINS0_14default_configENS1_22reduce_config_selectorIN6thrust23THRUST_200600_302600_NS5tupleIblNS6_9null_typeES8_S8_S8_S8_S8_S8_S8_EEEEZNS1_11reduce_implILb1ES3_NS6_12zip_iteratorINS7_INS6_11hip_rocprim26transform_input_iterator_tIbNSD_35transform_pair_of_input_iterators_tIbNS6_6detail15normal_iteratorINS6_10device_ptrIKiEEEESL_NS6_8equal_toIiEEEENSG_9not_fun_tINSD_8identityEEEEENSD_19counting_iterator_tIlEES8_S8_S8_S8_S8_S8_S8_S8_EEEEPS9_S9_NSD_9__find_if7functorIS9_EEEE10hipError_tPvRmT1_T2_T3_mT4_P12ihipStream_tbEUlT_E0_NS1_11comp_targetILNS1_3genE9ELNS1_11target_archE1100ELNS1_3gpuE3ELNS1_3repE0EEENS1_30default_config_static_selectorELNS0_4arch9wavefront6targetE0EEEvS14_
                                        ; -- End function
	.set _ZN7rocprim17ROCPRIM_400000_NS6detail17trampoline_kernelINS0_14default_configENS1_22reduce_config_selectorIN6thrust23THRUST_200600_302600_NS5tupleIblNS6_9null_typeES8_S8_S8_S8_S8_S8_S8_EEEEZNS1_11reduce_implILb1ES3_NS6_12zip_iteratorINS7_INS6_11hip_rocprim26transform_input_iterator_tIbNSD_35transform_pair_of_input_iterators_tIbNS6_6detail15normal_iteratorINS6_10device_ptrIKiEEEESL_NS6_8equal_toIiEEEENSG_9not_fun_tINSD_8identityEEEEENSD_19counting_iterator_tIlEES8_S8_S8_S8_S8_S8_S8_S8_EEEEPS9_S9_NSD_9__find_if7functorIS9_EEEE10hipError_tPvRmT1_T2_T3_mT4_P12ihipStream_tbEUlT_E0_NS1_11comp_targetILNS1_3genE9ELNS1_11target_archE1100ELNS1_3gpuE3ELNS1_3repE0EEENS1_30default_config_static_selectorELNS0_4arch9wavefront6targetE0EEEvS14_.num_vgpr, 0
	.set _ZN7rocprim17ROCPRIM_400000_NS6detail17trampoline_kernelINS0_14default_configENS1_22reduce_config_selectorIN6thrust23THRUST_200600_302600_NS5tupleIblNS6_9null_typeES8_S8_S8_S8_S8_S8_S8_EEEEZNS1_11reduce_implILb1ES3_NS6_12zip_iteratorINS7_INS6_11hip_rocprim26transform_input_iterator_tIbNSD_35transform_pair_of_input_iterators_tIbNS6_6detail15normal_iteratorINS6_10device_ptrIKiEEEESL_NS6_8equal_toIiEEEENSG_9not_fun_tINSD_8identityEEEEENSD_19counting_iterator_tIlEES8_S8_S8_S8_S8_S8_S8_S8_EEEEPS9_S9_NSD_9__find_if7functorIS9_EEEE10hipError_tPvRmT1_T2_T3_mT4_P12ihipStream_tbEUlT_E0_NS1_11comp_targetILNS1_3genE9ELNS1_11target_archE1100ELNS1_3gpuE3ELNS1_3repE0EEENS1_30default_config_static_selectorELNS0_4arch9wavefront6targetE0EEEvS14_.num_agpr, 0
	.set _ZN7rocprim17ROCPRIM_400000_NS6detail17trampoline_kernelINS0_14default_configENS1_22reduce_config_selectorIN6thrust23THRUST_200600_302600_NS5tupleIblNS6_9null_typeES8_S8_S8_S8_S8_S8_S8_EEEEZNS1_11reduce_implILb1ES3_NS6_12zip_iteratorINS7_INS6_11hip_rocprim26transform_input_iterator_tIbNSD_35transform_pair_of_input_iterators_tIbNS6_6detail15normal_iteratorINS6_10device_ptrIKiEEEESL_NS6_8equal_toIiEEEENSG_9not_fun_tINSD_8identityEEEEENSD_19counting_iterator_tIlEES8_S8_S8_S8_S8_S8_S8_S8_EEEEPS9_S9_NSD_9__find_if7functorIS9_EEEE10hipError_tPvRmT1_T2_T3_mT4_P12ihipStream_tbEUlT_E0_NS1_11comp_targetILNS1_3genE9ELNS1_11target_archE1100ELNS1_3gpuE3ELNS1_3repE0EEENS1_30default_config_static_selectorELNS0_4arch9wavefront6targetE0EEEvS14_.numbered_sgpr, 0
	.set _ZN7rocprim17ROCPRIM_400000_NS6detail17trampoline_kernelINS0_14default_configENS1_22reduce_config_selectorIN6thrust23THRUST_200600_302600_NS5tupleIblNS6_9null_typeES8_S8_S8_S8_S8_S8_S8_EEEEZNS1_11reduce_implILb1ES3_NS6_12zip_iteratorINS7_INS6_11hip_rocprim26transform_input_iterator_tIbNSD_35transform_pair_of_input_iterators_tIbNS6_6detail15normal_iteratorINS6_10device_ptrIKiEEEESL_NS6_8equal_toIiEEEENSG_9not_fun_tINSD_8identityEEEEENSD_19counting_iterator_tIlEES8_S8_S8_S8_S8_S8_S8_S8_EEEEPS9_S9_NSD_9__find_if7functorIS9_EEEE10hipError_tPvRmT1_T2_T3_mT4_P12ihipStream_tbEUlT_E0_NS1_11comp_targetILNS1_3genE9ELNS1_11target_archE1100ELNS1_3gpuE3ELNS1_3repE0EEENS1_30default_config_static_selectorELNS0_4arch9wavefront6targetE0EEEvS14_.num_named_barrier, 0
	.set _ZN7rocprim17ROCPRIM_400000_NS6detail17trampoline_kernelINS0_14default_configENS1_22reduce_config_selectorIN6thrust23THRUST_200600_302600_NS5tupleIblNS6_9null_typeES8_S8_S8_S8_S8_S8_S8_EEEEZNS1_11reduce_implILb1ES3_NS6_12zip_iteratorINS7_INS6_11hip_rocprim26transform_input_iterator_tIbNSD_35transform_pair_of_input_iterators_tIbNS6_6detail15normal_iteratorINS6_10device_ptrIKiEEEESL_NS6_8equal_toIiEEEENSG_9not_fun_tINSD_8identityEEEEENSD_19counting_iterator_tIlEES8_S8_S8_S8_S8_S8_S8_S8_EEEEPS9_S9_NSD_9__find_if7functorIS9_EEEE10hipError_tPvRmT1_T2_T3_mT4_P12ihipStream_tbEUlT_E0_NS1_11comp_targetILNS1_3genE9ELNS1_11target_archE1100ELNS1_3gpuE3ELNS1_3repE0EEENS1_30default_config_static_selectorELNS0_4arch9wavefront6targetE0EEEvS14_.private_seg_size, 0
	.set _ZN7rocprim17ROCPRIM_400000_NS6detail17trampoline_kernelINS0_14default_configENS1_22reduce_config_selectorIN6thrust23THRUST_200600_302600_NS5tupleIblNS6_9null_typeES8_S8_S8_S8_S8_S8_S8_EEEEZNS1_11reduce_implILb1ES3_NS6_12zip_iteratorINS7_INS6_11hip_rocprim26transform_input_iterator_tIbNSD_35transform_pair_of_input_iterators_tIbNS6_6detail15normal_iteratorINS6_10device_ptrIKiEEEESL_NS6_8equal_toIiEEEENSG_9not_fun_tINSD_8identityEEEEENSD_19counting_iterator_tIlEES8_S8_S8_S8_S8_S8_S8_S8_EEEEPS9_S9_NSD_9__find_if7functorIS9_EEEE10hipError_tPvRmT1_T2_T3_mT4_P12ihipStream_tbEUlT_E0_NS1_11comp_targetILNS1_3genE9ELNS1_11target_archE1100ELNS1_3gpuE3ELNS1_3repE0EEENS1_30default_config_static_selectorELNS0_4arch9wavefront6targetE0EEEvS14_.uses_vcc, 0
	.set _ZN7rocprim17ROCPRIM_400000_NS6detail17trampoline_kernelINS0_14default_configENS1_22reduce_config_selectorIN6thrust23THRUST_200600_302600_NS5tupleIblNS6_9null_typeES8_S8_S8_S8_S8_S8_S8_EEEEZNS1_11reduce_implILb1ES3_NS6_12zip_iteratorINS7_INS6_11hip_rocprim26transform_input_iterator_tIbNSD_35transform_pair_of_input_iterators_tIbNS6_6detail15normal_iteratorINS6_10device_ptrIKiEEEESL_NS6_8equal_toIiEEEENSG_9not_fun_tINSD_8identityEEEEENSD_19counting_iterator_tIlEES8_S8_S8_S8_S8_S8_S8_S8_EEEEPS9_S9_NSD_9__find_if7functorIS9_EEEE10hipError_tPvRmT1_T2_T3_mT4_P12ihipStream_tbEUlT_E0_NS1_11comp_targetILNS1_3genE9ELNS1_11target_archE1100ELNS1_3gpuE3ELNS1_3repE0EEENS1_30default_config_static_selectorELNS0_4arch9wavefront6targetE0EEEvS14_.uses_flat_scratch, 0
	.set _ZN7rocprim17ROCPRIM_400000_NS6detail17trampoline_kernelINS0_14default_configENS1_22reduce_config_selectorIN6thrust23THRUST_200600_302600_NS5tupleIblNS6_9null_typeES8_S8_S8_S8_S8_S8_S8_EEEEZNS1_11reduce_implILb1ES3_NS6_12zip_iteratorINS7_INS6_11hip_rocprim26transform_input_iterator_tIbNSD_35transform_pair_of_input_iterators_tIbNS6_6detail15normal_iteratorINS6_10device_ptrIKiEEEESL_NS6_8equal_toIiEEEENSG_9not_fun_tINSD_8identityEEEEENSD_19counting_iterator_tIlEES8_S8_S8_S8_S8_S8_S8_S8_EEEEPS9_S9_NSD_9__find_if7functorIS9_EEEE10hipError_tPvRmT1_T2_T3_mT4_P12ihipStream_tbEUlT_E0_NS1_11comp_targetILNS1_3genE9ELNS1_11target_archE1100ELNS1_3gpuE3ELNS1_3repE0EEENS1_30default_config_static_selectorELNS0_4arch9wavefront6targetE0EEEvS14_.has_dyn_sized_stack, 0
	.set _ZN7rocprim17ROCPRIM_400000_NS6detail17trampoline_kernelINS0_14default_configENS1_22reduce_config_selectorIN6thrust23THRUST_200600_302600_NS5tupleIblNS6_9null_typeES8_S8_S8_S8_S8_S8_S8_EEEEZNS1_11reduce_implILb1ES3_NS6_12zip_iteratorINS7_INS6_11hip_rocprim26transform_input_iterator_tIbNSD_35transform_pair_of_input_iterators_tIbNS6_6detail15normal_iteratorINS6_10device_ptrIKiEEEESL_NS6_8equal_toIiEEEENSG_9not_fun_tINSD_8identityEEEEENSD_19counting_iterator_tIlEES8_S8_S8_S8_S8_S8_S8_S8_EEEEPS9_S9_NSD_9__find_if7functorIS9_EEEE10hipError_tPvRmT1_T2_T3_mT4_P12ihipStream_tbEUlT_E0_NS1_11comp_targetILNS1_3genE9ELNS1_11target_archE1100ELNS1_3gpuE3ELNS1_3repE0EEENS1_30default_config_static_selectorELNS0_4arch9wavefront6targetE0EEEvS14_.has_recursion, 0
	.set _ZN7rocprim17ROCPRIM_400000_NS6detail17trampoline_kernelINS0_14default_configENS1_22reduce_config_selectorIN6thrust23THRUST_200600_302600_NS5tupleIblNS6_9null_typeES8_S8_S8_S8_S8_S8_S8_EEEEZNS1_11reduce_implILb1ES3_NS6_12zip_iteratorINS7_INS6_11hip_rocprim26transform_input_iterator_tIbNSD_35transform_pair_of_input_iterators_tIbNS6_6detail15normal_iteratorINS6_10device_ptrIKiEEEESL_NS6_8equal_toIiEEEENSG_9not_fun_tINSD_8identityEEEEENSD_19counting_iterator_tIlEES8_S8_S8_S8_S8_S8_S8_S8_EEEEPS9_S9_NSD_9__find_if7functorIS9_EEEE10hipError_tPvRmT1_T2_T3_mT4_P12ihipStream_tbEUlT_E0_NS1_11comp_targetILNS1_3genE9ELNS1_11target_archE1100ELNS1_3gpuE3ELNS1_3repE0EEENS1_30default_config_static_selectorELNS0_4arch9wavefront6targetE0EEEvS14_.has_indirect_call, 0
	.section	.AMDGPU.csdata,"",@progbits
; Kernel info:
; codeLenInByte = 0
; TotalNumSgprs: 0
; NumVgprs: 0
; ScratchSize: 0
; MemoryBound: 0
; FloatMode: 240
; IeeeMode: 1
; LDSByteSize: 0 bytes/workgroup (compile time only)
; SGPRBlocks: 0
; VGPRBlocks: 0
; NumSGPRsForWavesPerEU: 1
; NumVGPRsForWavesPerEU: 1
; Occupancy: 16
; WaveLimiterHint : 0
; COMPUTE_PGM_RSRC2:SCRATCH_EN: 0
; COMPUTE_PGM_RSRC2:USER_SGPR: 6
; COMPUTE_PGM_RSRC2:TRAP_HANDLER: 0
; COMPUTE_PGM_RSRC2:TGID_X_EN: 1
; COMPUTE_PGM_RSRC2:TGID_Y_EN: 0
; COMPUTE_PGM_RSRC2:TGID_Z_EN: 0
; COMPUTE_PGM_RSRC2:TIDIG_COMP_CNT: 0
	.section	.text._ZN7rocprim17ROCPRIM_400000_NS6detail17trampoline_kernelINS0_14default_configENS1_22reduce_config_selectorIN6thrust23THRUST_200600_302600_NS5tupleIblNS6_9null_typeES8_S8_S8_S8_S8_S8_S8_EEEEZNS1_11reduce_implILb1ES3_NS6_12zip_iteratorINS7_INS6_11hip_rocprim26transform_input_iterator_tIbNSD_35transform_pair_of_input_iterators_tIbNS6_6detail15normal_iteratorINS6_10device_ptrIKiEEEESL_NS6_8equal_toIiEEEENSG_9not_fun_tINSD_8identityEEEEENSD_19counting_iterator_tIlEES8_S8_S8_S8_S8_S8_S8_S8_EEEEPS9_S9_NSD_9__find_if7functorIS9_EEEE10hipError_tPvRmT1_T2_T3_mT4_P12ihipStream_tbEUlT_E0_NS1_11comp_targetILNS1_3genE8ELNS1_11target_archE1030ELNS1_3gpuE2ELNS1_3repE0EEENS1_30default_config_static_selectorELNS0_4arch9wavefront6targetE0EEEvS14_,"axG",@progbits,_ZN7rocprim17ROCPRIM_400000_NS6detail17trampoline_kernelINS0_14default_configENS1_22reduce_config_selectorIN6thrust23THRUST_200600_302600_NS5tupleIblNS6_9null_typeES8_S8_S8_S8_S8_S8_S8_EEEEZNS1_11reduce_implILb1ES3_NS6_12zip_iteratorINS7_INS6_11hip_rocprim26transform_input_iterator_tIbNSD_35transform_pair_of_input_iterators_tIbNS6_6detail15normal_iteratorINS6_10device_ptrIKiEEEESL_NS6_8equal_toIiEEEENSG_9not_fun_tINSD_8identityEEEEENSD_19counting_iterator_tIlEES8_S8_S8_S8_S8_S8_S8_S8_EEEEPS9_S9_NSD_9__find_if7functorIS9_EEEE10hipError_tPvRmT1_T2_T3_mT4_P12ihipStream_tbEUlT_E0_NS1_11comp_targetILNS1_3genE8ELNS1_11target_archE1030ELNS1_3gpuE2ELNS1_3repE0EEENS1_30default_config_static_selectorELNS0_4arch9wavefront6targetE0EEEvS14_,comdat
	.protected	_ZN7rocprim17ROCPRIM_400000_NS6detail17trampoline_kernelINS0_14default_configENS1_22reduce_config_selectorIN6thrust23THRUST_200600_302600_NS5tupleIblNS6_9null_typeES8_S8_S8_S8_S8_S8_S8_EEEEZNS1_11reduce_implILb1ES3_NS6_12zip_iteratorINS7_INS6_11hip_rocprim26transform_input_iterator_tIbNSD_35transform_pair_of_input_iterators_tIbNS6_6detail15normal_iteratorINS6_10device_ptrIKiEEEESL_NS6_8equal_toIiEEEENSG_9not_fun_tINSD_8identityEEEEENSD_19counting_iterator_tIlEES8_S8_S8_S8_S8_S8_S8_S8_EEEEPS9_S9_NSD_9__find_if7functorIS9_EEEE10hipError_tPvRmT1_T2_T3_mT4_P12ihipStream_tbEUlT_E0_NS1_11comp_targetILNS1_3genE8ELNS1_11target_archE1030ELNS1_3gpuE2ELNS1_3repE0EEENS1_30default_config_static_selectorELNS0_4arch9wavefront6targetE0EEEvS14_ ; -- Begin function _ZN7rocprim17ROCPRIM_400000_NS6detail17trampoline_kernelINS0_14default_configENS1_22reduce_config_selectorIN6thrust23THRUST_200600_302600_NS5tupleIblNS6_9null_typeES8_S8_S8_S8_S8_S8_S8_EEEEZNS1_11reduce_implILb1ES3_NS6_12zip_iteratorINS7_INS6_11hip_rocprim26transform_input_iterator_tIbNSD_35transform_pair_of_input_iterators_tIbNS6_6detail15normal_iteratorINS6_10device_ptrIKiEEEESL_NS6_8equal_toIiEEEENSG_9not_fun_tINSD_8identityEEEEENSD_19counting_iterator_tIlEES8_S8_S8_S8_S8_S8_S8_S8_EEEEPS9_S9_NSD_9__find_if7functorIS9_EEEE10hipError_tPvRmT1_T2_T3_mT4_P12ihipStream_tbEUlT_E0_NS1_11comp_targetILNS1_3genE8ELNS1_11target_archE1030ELNS1_3gpuE2ELNS1_3repE0EEENS1_30default_config_static_selectorELNS0_4arch9wavefront6targetE0EEEvS14_
	.globl	_ZN7rocprim17ROCPRIM_400000_NS6detail17trampoline_kernelINS0_14default_configENS1_22reduce_config_selectorIN6thrust23THRUST_200600_302600_NS5tupleIblNS6_9null_typeES8_S8_S8_S8_S8_S8_S8_EEEEZNS1_11reduce_implILb1ES3_NS6_12zip_iteratorINS7_INS6_11hip_rocprim26transform_input_iterator_tIbNSD_35transform_pair_of_input_iterators_tIbNS6_6detail15normal_iteratorINS6_10device_ptrIKiEEEESL_NS6_8equal_toIiEEEENSG_9not_fun_tINSD_8identityEEEEENSD_19counting_iterator_tIlEES8_S8_S8_S8_S8_S8_S8_S8_EEEEPS9_S9_NSD_9__find_if7functorIS9_EEEE10hipError_tPvRmT1_T2_T3_mT4_P12ihipStream_tbEUlT_E0_NS1_11comp_targetILNS1_3genE8ELNS1_11target_archE1030ELNS1_3gpuE2ELNS1_3repE0EEENS1_30default_config_static_selectorELNS0_4arch9wavefront6targetE0EEEvS14_
	.p2align	8
	.type	_ZN7rocprim17ROCPRIM_400000_NS6detail17trampoline_kernelINS0_14default_configENS1_22reduce_config_selectorIN6thrust23THRUST_200600_302600_NS5tupleIblNS6_9null_typeES8_S8_S8_S8_S8_S8_S8_EEEEZNS1_11reduce_implILb1ES3_NS6_12zip_iteratorINS7_INS6_11hip_rocprim26transform_input_iterator_tIbNSD_35transform_pair_of_input_iterators_tIbNS6_6detail15normal_iteratorINS6_10device_ptrIKiEEEESL_NS6_8equal_toIiEEEENSG_9not_fun_tINSD_8identityEEEEENSD_19counting_iterator_tIlEES8_S8_S8_S8_S8_S8_S8_S8_EEEEPS9_S9_NSD_9__find_if7functorIS9_EEEE10hipError_tPvRmT1_T2_T3_mT4_P12ihipStream_tbEUlT_E0_NS1_11comp_targetILNS1_3genE8ELNS1_11target_archE1030ELNS1_3gpuE2ELNS1_3repE0EEENS1_30default_config_static_selectorELNS0_4arch9wavefront6targetE0EEEvS14_,@function
_ZN7rocprim17ROCPRIM_400000_NS6detail17trampoline_kernelINS0_14default_configENS1_22reduce_config_selectorIN6thrust23THRUST_200600_302600_NS5tupleIblNS6_9null_typeES8_S8_S8_S8_S8_S8_S8_EEEEZNS1_11reduce_implILb1ES3_NS6_12zip_iteratorINS7_INS6_11hip_rocprim26transform_input_iterator_tIbNSD_35transform_pair_of_input_iterators_tIbNS6_6detail15normal_iteratorINS6_10device_ptrIKiEEEESL_NS6_8equal_toIiEEEENSG_9not_fun_tINSD_8identityEEEEENSD_19counting_iterator_tIlEES8_S8_S8_S8_S8_S8_S8_S8_EEEEPS9_S9_NSD_9__find_if7functorIS9_EEEE10hipError_tPvRmT1_T2_T3_mT4_P12ihipStream_tbEUlT_E0_NS1_11comp_targetILNS1_3genE8ELNS1_11target_archE1030ELNS1_3gpuE2ELNS1_3repE0EEENS1_30default_config_static_selectorELNS0_4arch9wavefront6targetE0EEEvS14_: ; @_ZN7rocprim17ROCPRIM_400000_NS6detail17trampoline_kernelINS0_14default_configENS1_22reduce_config_selectorIN6thrust23THRUST_200600_302600_NS5tupleIblNS6_9null_typeES8_S8_S8_S8_S8_S8_S8_EEEEZNS1_11reduce_implILb1ES3_NS6_12zip_iteratorINS7_INS6_11hip_rocprim26transform_input_iterator_tIbNSD_35transform_pair_of_input_iterators_tIbNS6_6detail15normal_iteratorINS6_10device_ptrIKiEEEESL_NS6_8equal_toIiEEEENSG_9not_fun_tINSD_8identityEEEEENSD_19counting_iterator_tIlEES8_S8_S8_S8_S8_S8_S8_S8_EEEEPS9_S9_NSD_9__find_if7functorIS9_EEEE10hipError_tPvRmT1_T2_T3_mT4_P12ihipStream_tbEUlT_E0_NS1_11comp_targetILNS1_3genE8ELNS1_11target_archE1030ELNS1_3gpuE2ELNS1_3repE0EEENS1_30default_config_static_selectorELNS0_4arch9wavefront6targetE0EEEvS14_
; %bb.0:
	s_clause 0x2
	s_load_dwordx8 s[8:15], s[4:5], 0x20
	s_load_dwordx4 s[0:3], s[4:5], 0x0
	s_load_dwordx4 s[16:19], s[4:5], 0x40
	s_mov_b32 s23, 0
	v_lshlrev_b32_e32 v9, 2, v0
	v_mbcnt_lo_u32_b32 v7, -1, 0
	s_mov_b32 s7, s23
	s_waitcnt lgkmcnt(0)
	s_lshl_b64 s[20:21], s[10:11], 2
	s_add_u32 s26, s0, s20
	s_addc_u32 s27, s1, s21
	s_add_u32 s20, s2, s20
	s_addc_u32 s21, s3, s21
	s_lshl_b32 s22, s6, 9
	s_lshr_b64 s[24:25], s[12:13], 9
	s_lshl_b64 s[0:1], s[22:23], 2
	s_add_u32 s2, s26, s0
	s_addc_u32 s3, s27, s1
	s_add_u32 s20, s20, s0
	s_addc_u32 s21, s21, s1
	;; [unrolled: 2-line block ×4, first 2 shown]
	s_cmp_lg_u64 s[24:25], s[6:7]
	s_cbranch_scc0 .LBB269_18
; %bb.1:
	s_clause 0x3
	global_load_dword v1, v9, s[2:3]
	global_load_dword v2, v9, s[20:21]
	global_load_dword v3, v9, s[20:21] offset:1024
	global_load_dword v4, v9, s[2:3] offset:1024
	v_add_co_u32 v5, s0, s10, v0
	v_add_co_ci_u32_e64 v6, null, s11, 0, s0
	v_add_co_u32 v8, vcc_lo, 0x100, v5
	v_add_co_ci_u32_e64 v10, null, 0, v6, vcc_lo
	s_waitcnt vmcnt(2)
	v_cmp_ne_u32_e32 vcc_lo, v1, v2
	s_waitcnt vmcnt(0)
	v_cmp_ne_u32_e64 s0, v4, v3
	v_cndmask_b32_e32 v2, v10, v6, vcc_lo
	v_cndmask_b32_e32 v1, v8, v5, vcc_lo
	s_or_b32 s0, vcc_lo, s0
	v_cndmask_b32_e64 v5, 0, 1, s0
	v_mov_b32_dpp v4, v2 quad_perm:[1,0,3,2] row_mask:0xf bank_mask:0xf
	v_mov_b32_dpp v3, v1 quad_perm:[1,0,3,2] row_mask:0xf bank_mask:0xf
	;; [unrolled: 1-line block ×3, first 2 shown]
	v_cmp_lt_i64_e32 vcc_lo, v[1:2], v[3:4]
	v_and_b32_e32 v6, 1, v6
	s_and_b32 vcc_lo, s0, vcc_lo
	v_cndmask_b32_e32 v3, v3, v1, vcc_lo
	v_cndmask_b32_e32 v4, v4, v2, vcc_lo
	v_cmp_eq_u32_e32 vcc_lo, 1, v6
	v_cndmask_b32_e32 v2, v2, v4, vcc_lo
	v_cndmask_b32_e32 v1, v1, v3, vcc_lo
	v_cndmask_b32_e64 v5, v5, 1, vcc_lo
	v_mov_b32_dpp v4, v2 quad_perm:[2,3,0,1] row_mask:0xf bank_mask:0xf
	v_mov_b32_dpp v3, v1 quad_perm:[2,3,0,1] row_mask:0xf bank_mask:0xf
	v_and_b32_e32 v8, 1, v5
	v_mov_b32_dpp v6, v5 quad_perm:[2,3,0,1] row_mask:0xf bank_mask:0xf
	v_cmp_lt_i64_e32 vcc_lo, v[1:2], v[3:4]
	v_cmp_eq_u32_e64 s0, 1, v8
	v_and_b32_e32 v6, 1, v6
	s_and_b32 vcc_lo, s0, vcc_lo
	v_cmp_eq_u32_e64 s1, 1, v6
	v_cndmask_b32_e32 v3, v3, v1, vcc_lo
	v_cndmask_b32_e32 v4, v4, v2, vcc_lo
	v_cndmask_b32_e64 v5, v5, 1, s1
	v_cndmask_b32_e64 v1, v1, v3, s1
	;; [unrolled: 1-line block ×3, first 2 shown]
	v_and_b32_e32 v8, 1, v5
	v_mov_b32_dpp v3, v1 row_ror:4 row_mask:0xf bank_mask:0xf
	v_mov_b32_dpp v4, v2 row_ror:4 row_mask:0xf bank_mask:0xf
	;; [unrolled: 1-line block ×3, first 2 shown]
	v_cmp_eq_u32_e64 s0, 1, v8
	v_cmp_lt_i64_e32 vcc_lo, v[1:2], v[3:4]
	v_and_b32_e32 v6, 1, v6
	s_and_b32 vcc_lo, s0, vcc_lo
	v_cmp_eq_u32_e64 s1, 1, v6
	v_cndmask_b32_e32 v3, v3, v1, vcc_lo
	v_cndmask_b32_e32 v4, v4, v2, vcc_lo
	v_cndmask_b32_e64 v5, v5, 1, s1
	v_cndmask_b32_e64 v1, v1, v3, s1
	;; [unrolled: 1-line block ×3, first 2 shown]
	v_and_b32_e32 v8, 1, v5
	v_mov_b32_dpp v3, v1 row_ror:8 row_mask:0xf bank_mask:0xf
	v_mov_b32_dpp v4, v2 row_ror:8 row_mask:0xf bank_mask:0xf
	;; [unrolled: 1-line block ×3, first 2 shown]
	v_cmp_eq_u32_e64 s0, 1, v8
	v_cmp_lt_i64_e32 vcc_lo, v[1:2], v[3:4]
	v_and_b32_e32 v6, 1, v6
	s_and_b32 vcc_lo, s0, vcc_lo
	v_cmp_eq_u32_e64 s1, 1, v6
	v_cndmask_b32_e32 v3, v3, v1, vcc_lo
	v_cndmask_b32_e32 v4, v4, v2, vcc_lo
	v_cndmask_b32_e64 v5, v5, 1, s1
	v_cndmask_b32_e64 v1, v1, v3, s1
	;; [unrolled: 1-line block ×3, first 2 shown]
	ds_swizzle_b32 v6, v5 offset:swizzle(BROADCAST,32,15)
	ds_swizzle_b32 v3, v1 offset:swizzle(BROADCAST,32,15)
	ds_swizzle_b32 v4, v2 offset:swizzle(BROADCAST,32,15)
	v_and_b32_e32 v8, 1, v5
	v_cmp_eq_u32_e64 s0, 1, v8
	s_waitcnt lgkmcnt(2)
	v_and_b32_e32 v6, 1, v6
	s_waitcnt lgkmcnt(0)
	v_cmp_lt_i64_e32 vcc_lo, v[1:2], v[3:4]
	v_cmp_eq_u32_e64 s1, 1, v6
	v_mov_b32_e32 v6, 0
	s_and_b32 vcc_lo, s0, vcc_lo
	s_mov_b32 s0, exec_lo
	v_cndmask_b32_e32 v3, v3, v1, vcc_lo
	v_cndmask_b32_e32 v4, v4, v2, vcc_lo
	v_cndmask_b32_e64 v5, v5, 1, s1
	v_cndmask_b32_e64 v1, v1, v3, s1
	;; [unrolled: 1-line block ×3, first 2 shown]
	ds_bpermute_b32 v8, v6, v5 offset:124
	ds_bpermute_b32 v1, v6, v1 offset:124
	;; [unrolled: 1-line block ×3, first 2 shown]
	v_cmpx_eq_u32_e32 0, v7
	s_cbranch_execz .LBB269_3
; %bb.2:
	v_lshrrev_b32_e32 v3, 1, v0
	v_and_b32_e32 v3, 0x70, v3
	s_waitcnt lgkmcnt(2)
	ds_write_b8 v3, v8
	s_waitcnt lgkmcnt(1)
	ds_write_b64 v3, v[1:2] offset:8
.LBB269_3:
	s_or_b32 exec_lo, exec_lo, s0
	s_mov_b32 s0, exec_lo
	s_waitcnt lgkmcnt(0)
	s_barrier
	buffer_gl0_inv
	v_cmpx_gt_u32_e32 32, v0
	s_cbranch_execz .LBB269_17
; %bb.4:
	v_and_b32_e32 v8, 7, v7
	v_lshlrev_b32_e32 v1, 4, v8
	v_cmp_ne_u32_e32 vcc_lo, 7, v8
	ds_read_u8 v11, v1
	ds_read_b64 v[3:4], v1 offset:8
	v_add_co_ci_u32_e64 v2, null, 0, v7, vcc_lo
	v_lshlrev_b32_e32 v2, 2, v2
	s_waitcnt lgkmcnt(1)
	v_and_b32_e32 v1, 0xff, v11
	s_waitcnt lgkmcnt(0)
	ds_bpermute_b32 v5, v2, v3
	ds_bpermute_b32 v6, v2, v4
	;; [unrolled: 1-line block ×3, first 2 shown]
	s_waitcnt lgkmcnt(0)
	v_and_b32_e32 v1, v11, v12
	v_and_b32_e32 v1, 1, v1
	v_cmp_eq_u32_e32 vcc_lo, 1, v1
                                        ; implicit-def: $vgpr1_vgpr2
	s_and_saveexec_b32 s1, vcc_lo
	s_xor_b32 s1, exec_lo, s1
; %bb.5:
	v_cmp_lt_i64_e32 vcc_lo, v[5:6], v[3:4]
                                        ; implicit-def: $vgpr11
                                        ; implicit-def: $vgpr12
	v_cndmask_b32_e32 v2, v4, v6, vcc_lo
	v_cndmask_b32_e32 v1, v3, v5, vcc_lo
                                        ; implicit-def: $vgpr5_vgpr6
                                        ; implicit-def: $vgpr3_vgpr4
; %bb.6:
	s_or_saveexec_b32 s1, s1
	v_mov_b32_e32 v10, 1
	s_xor_b32 exec_lo, exec_lo, s1
; %bb.7:
	v_and_b32_e32 v1, 1, v11
	v_and_b32_e32 v10, 0xff, v12
	v_cmp_eq_u32_e32 vcc_lo, 1, v1
	v_cndmask_b32_e32 v2, v6, v4, vcc_lo
	v_cndmask_b32_e32 v1, v5, v3, vcc_lo
	v_cndmask_b32_e64 v10, v10, 1, vcc_lo
; %bb.8:
	s_or_b32 exec_lo, exec_lo, s1
	v_cmp_gt_u32_e32 vcc_lo, 6, v8
	v_cndmask_b32_e64 v3, 0, 2, vcc_lo
	v_add_lshl_u32 v3, v3, v7, 2
	ds_bpermute_b32 v8, v3, v10
	ds_bpermute_b32 v5, v3, v1
	;; [unrolled: 1-line block ×3, first 2 shown]
	s_waitcnt lgkmcnt(2)
	v_and_b32_e32 v3, v10, v8
	v_and_b32_e32 v3, 1, v3
	v_cmp_eq_u32_e32 vcc_lo, 1, v3
                                        ; implicit-def: $vgpr3_vgpr4
	s_and_saveexec_b32 s1, vcc_lo
	s_xor_b32 s1, exec_lo, s1
	s_cbranch_execz .LBB269_10
; %bb.9:
	s_waitcnt lgkmcnt(0)
	v_cmp_lt_i64_e32 vcc_lo, v[5:6], v[1:2]
                                        ; implicit-def: $vgpr10
                                        ; implicit-def: $vgpr8
	v_cndmask_b32_e32 v4, v2, v6, vcc_lo
	v_cndmask_b32_e32 v3, v1, v5, vcc_lo
                                        ; implicit-def: $vgpr5_vgpr6
                                        ; implicit-def: $vgpr1_vgpr2
.LBB269_10:
	s_or_saveexec_b32 s1, s1
	v_lshlrev_b32_e32 v12, 2, v7
	v_mov_b32_e32 v11, 1
	s_xor_b32 exec_lo, exec_lo, s1
	s_cbranch_execz .LBB269_12
; %bb.11:
	v_and_b32_e32 v3, 1, v10
	v_and_b32_e32 v8, 0xff, v8
	v_cmp_eq_u32_e32 vcc_lo, 1, v3
	s_waitcnt lgkmcnt(0)
	v_cndmask_b32_e32 v4, v6, v2, vcc_lo
	v_cndmask_b32_e32 v3, v5, v1, vcc_lo
	v_cndmask_b32_e64 v11, v8, 1, vcc_lo
.LBB269_12:
	s_or_b32 exec_lo, exec_lo, s1
	v_or_b32_e32 v1, 16, v12
	ds_bpermute_b32 v10, v1, v11
	s_waitcnt lgkmcnt(2)
	ds_bpermute_b32 v5, v1, v3
	s_waitcnt lgkmcnt(2)
	;; [unrolled: 2-line block ×3, first 2 shown]
	v_and_b32_e32 v1, v11, v10
	v_and_b32_e32 v1, 1, v1
	v_cmp_eq_u32_e32 vcc_lo, 1, v1
                                        ; implicit-def: $vgpr1_vgpr2
	s_and_saveexec_b32 s1, vcc_lo
	s_xor_b32 s1, exec_lo, s1
	s_cbranch_execz .LBB269_14
; %bb.13:
	s_waitcnt lgkmcnt(0)
	v_cmp_lt_i64_e32 vcc_lo, v[5:6], v[3:4]
                                        ; implicit-def: $vgpr11
                                        ; implicit-def: $vgpr10
	v_cndmask_b32_e32 v2, v4, v6, vcc_lo
	v_cndmask_b32_e32 v1, v3, v5, vcc_lo
                                        ; implicit-def: $vgpr5_vgpr6
                                        ; implicit-def: $vgpr3_vgpr4
.LBB269_14:
	s_or_saveexec_b32 s1, s1
	v_mov_b32_e32 v8, 1
	s_xor_b32 exec_lo, exec_lo, s1
	s_cbranch_execz .LBB269_16
; %bb.15:
	v_and_b32_e32 v1, 1, v11
	v_cmp_eq_u32_e32 vcc_lo, 1, v1
	s_waitcnt lgkmcnt(0)
	v_cndmask_b32_e32 v2, v6, v4, vcc_lo
	v_cndmask_b32_e32 v1, v5, v3, vcc_lo
	v_cndmask_b32_e64 v8, v10, 1, vcc_lo
.LBB269_16:
	s_or_b32 exec_lo, exec_lo, s1
.LBB269_17:
	s_or_b32 exec_lo, exec_lo, s0
	s_load_dwordx2 s[8:9], s[4:5], 0x58
	s_branch .LBB269_76
.LBB269_18:
                                        ; implicit-def: $vgpr1_vgpr2
                                        ; implicit-def: $vgpr8
	s_load_dwordx2 s[8:9], s[4:5], 0x58
	s_cbranch_execz .LBB269_76
; %bb.19:
	v_mov_b32_e32 v3, 0
	v_mov_b32_e32 v1, 0
	s_waitcnt lgkmcnt(0)
	v_mov_b32_e32 v5, 0
	v_mov_b32_e32 v4, 0
	;; [unrolled: 1-line block ×4, first 2 shown]
	s_sub_i32 s22, s12, s22
	s_mov_b32 s0, exec_lo
	v_cmpx_gt_u32_e64 s22, v0
	s_cbranch_execz .LBB269_21
; %bb.20:
	s_clause 0x1
	global_load_dword v6, v9, s[2:3]
	global_load_dword v8, v9, s[20:21]
	v_add_co_u32 v1, s1, s10, v0
	v_add_co_ci_u32_e64 v2, null, s11, 0, s1
	s_waitcnt vmcnt(0)
	v_cmp_ne_u32_e32 vcc_lo, v6, v8
	v_cndmask_b32_e64 v6, 0, 1, vcc_lo
.LBB269_21:
	s_or_b32 exec_lo, exec_lo, s0
	v_or_b32_e32 v8, 0x100, v0
	v_cmp_gt_u32_e32 vcc_lo, s22, v8
	s_and_saveexec_b32 s1, vcc_lo
	s_cbranch_execz .LBB269_23
; %bb.22:
	s_clause 0x1
	global_load_dword v5, v9, s[2:3] offset:1024
	global_load_dword v9, v9, s[20:21] offset:1024
	v_add_co_u32 v3, s0, s10, v8
	v_add_co_ci_u32_e64 v4, null, s11, 0, s0
	s_waitcnt vmcnt(0)
	v_cmp_ne_u32_e64 s0, v5, v9
	v_cndmask_b32_e64 v5, 0, 1, s0
.LBB269_23:
	s_or_b32 exec_lo, exec_lo, s1
	v_and_b32_e32 v8, 1, v5
	v_cmp_lt_i64_e64 s0, v[3:4], v[1:2]
	v_and_b32_e32 v9, 1, v6
	v_and_b32_e32 v5, 0xffff, v5
	;; [unrolled: 1-line block ×3, first 2 shown]
	v_cmp_eq_u32_e64 s1, 1, v8
	v_cmp_eq_u32_e64 s2, 1, v9
	s_and_b32 s0, s1, s0
	s_mov_b32 s1, exec_lo
	v_cndmask_b32_e64 v8, v2, v4, s0
	v_cndmask_b32_e64 v9, v1, v3, s0
	v_cmp_ne_u32_e64 s0, 31, v7
	v_cndmask_b32_e64 v5, v5, 1, s2
	v_cndmask_b32_e64 v4, v4, v8, s2
	;; [unrolled: 1-line block ×3, first 2 shown]
	v_add_co_ci_u32_e64 v10, null, 0, v7, s0
	v_cndmask_b32_e32 v8, v6, v5, vcc_lo
	v_cndmask_b32_e32 v2, v2, v4, vcc_lo
	;; [unrolled: 1-line block ×3, first 2 shown]
	v_lshlrev_b32_e32 v9, 2, v10
	v_and_b32_e32 v5, 0xe0, v0
	s_min_u32 s0, s22, 0x100
	ds_bpermute_b32 v6, v9, v8
	ds_bpermute_b32 v3, v9, v1
	;; [unrolled: 1-line block ×3, first 2 shown]
	v_sub_nc_u32_e64 v5, s0, v5 clamp
	v_add_nc_u32_e32 v9, 1, v7
	v_cmpx_lt_u32_e64 v9, v5
	s_cbranch_execz .LBB269_29
; %bb.24:
	s_waitcnt lgkmcnt(2)
	v_and_b32_e32 v9, v8, v6
	s_mov_b32 s2, exec_lo
	v_cmpx_ne_u32_e32 0, v9
	s_xor_b32 s2, exec_lo, s2
	s_cbranch_execz .LBB269_26
; %bb.25:
	s_waitcnt lgkmcnt(0)
	v_cmp_lt_i64_e32 vcc_lo, v[3:4], v[1:2]
                                        ; implicit-def: $vgpr8
                                        ; implicit-def: $vgpr6
	v_cndmask_b32_e32 v2, v2, v4, vcc_lo
	v_cndmask_b32_e32 v1, v1, v3, vcc_lo
                                        ; implicit-def: $vgpr3_vgpr4
.LBB269_26:
	s_or_saveexec_b32 s2, s2
	v_mov_b32_e32 v9, 1
	s_xor_b32 exec_lo, exec_lo, s2
	s_cbranch_execz .LBB269_28
; %bb.27:
	v_and_b32_e32 v8, 1, v8
	v_and_b32_e32 v6, 0xff, v6
	v_cmp_eq_u32_e32 vcc_lo, 1, v8
	s_waitcnt lgkmcnt(0)
	v_cndmask_b32_e32 v2, v4, v2, vcc_lo
	v_cndmask_b32_e32 v1, v3, v1, vcc_lo
	v_cndmask_b32_e64 v9, v6, 1, vcc_lo
.LBB269_28:
	s_or_b32 exec_lo, exec_lo, s2
	v_mov_b32_e32 v8, v9
.LBB269_29:
	s_or_b32 exec_lo, exec_lo, s1
	v_cmp_gt_u32_e32 vcc_lo, 30, v7
	v_add_nc_u32_e32 v9, 2, v7
	s_mov_b32 s1, exec_lo
	s_waitcnt lgkmcnt(1)
	v_cndmask_b32_e64 v3, 0, 2, vcc_lo
	s_waitcnt lgkmcnt(0)
	v_add_lshl_u32 v4, v3, v7, 2
	ds_bpermute_b32 v6, v4, v8
	ds_bpermute_b32 v3, v4, v1
	ds_bpermute_b32 v4, v4, v2
	v_cmpx_lt_u32_e64 v9, v5
	s_cbranch_execz .LBB269_35
; %bb.30:
	s_waitcnt lgkmcnt(2)
	v_and_b32_e32 v9, v8, v6
	s_mov_b32 s2, exec_lo
	v_and_b32_e32 v9, 1, v9
	v_cmpx_eq_u32_e32 1, v9
	s_xor_b32 s2, exec_lo, s2
	s_cbranch_execz .LBB269_32
; %bb.31:
	s_waitcnt lgkmcnt(0)
	v_cmp_lt_i64_e32 vcc_lo, v[3:4], v[1:2]
                                        ; implicit-def: $vgpr8
                                        ; implicit-def: $vgpr6
	v_cndmask_b32_e32 v2, v2, v4, vcc_lo
	v_cndmask_b32_e32 v1, v1, v3, vcc_lo
                                        ; implicit-def: $vgpr3_vgpr4
.LBB269_32:
	s_or_saveexec_b32 s2, s2
	v_mov_b32_e32 v9, 1
	s_xor_b32 exec_lo, exec_lo, s2
	s_cbranch_execz .LBB269_34
; %bb.33:
	v_and_b32_e32 v8, 1, v8
	v_and_b32_e32 v6, 0xff, v6
	v_cmp_eq_u32_e32 vcc_lo, 1, v8
	s_waitcnt lgkmcnt(0)
	v_cndmask_b32_e32 v2, v4, v2, vcc_lo
	v_cndmask_b32_e32 v1, v3, v1, vcc_lo
	v_cndmask_b32_e64 v9, v6, 1, vcc_lo
.LBB269_34:
	s_or_b32 exec_lo, exec_lo, s2
	v_mov_b32_e32 v8, v9
.LBB269_35:
	s_or_b32 exec_lo, exec_lo, s1
	v_cmp_gt_u32_e32 vcc_lo, 28, v7
	v_add_nc_u32_e32 v9, 4, v7
	s_mov_b32 s1, exec_lo
	s_waitcnt lgkmcnt(1)
	v_cndmask_b32_e64 v3, 0, 4, vcc_lo
	s_waitcnt lgkmcnt(0)
	v_add_lshl_u32 v4, v3, v7, 2
	ds_bpermute_b32 v6, v4, v8
	ds_bpermute_b32 v3, v4, v1
	ds_bpermute_b32 v4, v4, v2
	v_cmpx_lt_u32_e64 v9, v5
	s_cbranch_execz .LBB269_41
; %bb.36:
	s_waitcnt lgkmcnt(2)
	v_and_b32_e32 v9, v8, v6
	s_mov_b32 s2, exec_lo
	v_and_b32_e32 v9, 1, v9
	v_cmpx_eq_u32_e32 1, v9
	s_xor_b32 s2, exec_lo, s2
	s_cbranch_execz .LBB269_38
; %bb.37:
	s_waitcnt lgkmcnt(0)
	v_cmp_lt_i64_e32 vcc_lo, v[3:4], v[1:2]
                                        ; implicit-def: $vgpr8
                                        ; implicit-def: $vgpr6
	v_cndmask_b32_e32 v2, v2, v4, vcc_lo
	v_cndmask_b32_e32 v1, v1, v3, vcc_lo
                                        ; implicit-def: $vgpr3_vgpr4
.LBB269_38:
	s_or_saveexec_b32 s2, s2
	v_mov_b32_e32 v9, 1
	s_xor_b32 exec_lo, exec_lo, s2
	s_cbranch_execz .LBB269_40
; %bb.39:
	v_and_b32_e32 v8, 1, v8
	v_and_b32_e32 v6, 0xff, v6
	v_cmp_eq_u32_e32 vcc_lo, 1, v8
	s_waitcnt lgkmcnt(0)
	v_cndmask_b32_e32 v2, v4, v2, vcc_lo
	v_cndmask_b32_e32 v1, v3, v1, vcc_lo
	v_cndmask_b32_e64 v9, v6, 1, vcc_lo
.LBB269_40:
	s_or_b32 exec_lo, exec_lo, s2
	v_mov_b32_e32 v8, v9
.LBB269_41:
	;; [unrolled: 46-line block ×3, first 2 shown]
	s_or_b32 exec_lo, exec_lo, s1
	s_waitcnt lgkmcnt(2)
	v_lshlrev_b32_e32 v6, 2, v7
	v_add_nc_u32_e32 v10, 16, v7
	s_waitcnt lgkmcnt(0)
	v_or_b32_e32 v4, 64, v6
	v_cmp_lt_u32_e32 vcc_lo, v10, v5
	v_mov_b32_e32 v5, v8
	ds_bpermute_b32 v9, v4, v8
	ds_bpermute_b32 v3, v4, v1
	;; [unrolled: 1-line block ×3, first 2 shown]
	s_and_saveexec_b32 s1, vcc_lo
	s_cbranch_execz .LBB269_53
; %bb.48:
	s_waitcnt lgkmcnt(2)
	v_and_b32_e32 v5, v8, v9
	s_mov_b32 s2, exec_lo
	v_and_b32_e32 v5, 1, v5
	v_cmpx_eq_u32_e32 1, v5
	s_xor_b32 s2, exec_lo, s2
	s_cbranch_execz .LBB269_50
; %bb.49:
	s_waitcnt lgkmcnt(0)
	v_cmp_lt_i64_e32 vcc_lo, v[3:4], v[1:2]
                                        ; implicit-def: $vgpr8
                                        ; implicit-def: $vgpr9
	v_cndmask_b32_e32 v2, v2, v4, vcc_lo
	v_cndmask_b32_e32 v1, v1, v3, vcc_lo
                                        ; implicit-def: $vgpr3_vgpr4
.LBB269_50:
	s_or_saveexec_b32 s2, s2
	v_mov_b32_e32 v5, 1
	s_xor_b32 exec_lo, exec_lo, s2
	s_cbranch_execz .LBB269_52
; %bb.51:
	v_and_b32_e32 v5, 1, v8
	v_cmp_eq_u32_e32 vcc_lo, 1, v5
	v_cndmask_b32_e64 v5, v9, 1, vcc_lo
	s_waitcnt lgkmcnt(0)
	v_cndmask_b32_e32 v2, v4, v2, vcc_lo
	v_cndmask_b32_e32 v1, v3, v1, vcc_lo
.LBB269_52:
	s_or_b32 exec_lo, exec_lo, s2
	v_and_b32_e32 v8, 0xff, v5
.LBB269_53:
	s_or_b32 exec_lo, exec_lo, s1
	s_mov_b32 s1, exec_lo
	v_cmpx_eq_u32_e32 0, v7
	s_cbranch_execz .LBB269_55
; %bb.54:
	s_waitcnt lgkmcnt(1)
	v_lshrrev_b32_e32 v3, 1, v0
	v_and_b32_e32 v3, 0x70, v3
	ds_write_b8 v3, v5 offset:128
	ds_write_b64 v3, v[1:2] offset:136
.LBB269_55:
	s_or_b32 exec_lo, exec_lo, s1
	s_mov_b32 s1, exec_lo
	s_waitcnt lgkmcnt(0)
	s_barrier
	buffer_gl0_inv
	v_cmpx_gt_u32_e32 8, v0
	s_cbranch_execz .LBB269_75
; %bb.56:
	v_lshlrev_b32_e32 v1, 4, v7
	v_and_b32_e32 v5, 7, v7
	s_add_i32 s0, s0, 31
	s_mov_b32 s2, exec_lo
	s_lshr_b32 s0, s0, 5
	ds_read_u8 v9, v1 offset:128
	ds_read_b64 v[1:2], v1 offset:136
	v_cmp_ne_u32_e32 vcc_lo, 7, v5
	v_add_nc_u32_e32 v11, 1, v5
	v_add_co_ci_u32_e64 v3, null, 0, v7, vcc_lo
	v_lshlrev_b32_e32 v4, 2, v3
	s_waitcnt lgkmcnt(1)
	v_and_b32_e32 v8, 0xff, v9
	s_waitcnt lgkmcnt(0)
	ds_bpermute_b32 v3, v4, v1
	ds_bpermute_b32 v10, v4, v8
	;; [unrolled: 1-line block ×3, first 2 shown]
	v_cmpx_gt_u32_e64 s0, v11
	s_cbranch_execz .LBB269_62
; %bb.57:
	s_waitcnt lgkmcnt(1)
	v_and_b32_e32 v8, v8, v10
	s_mov_b32 s3, exec_lo
	v_and_b32_e32 v8, 1, v8
	v_cmpx_eq_u32_e32 1, v8
	s_xor_b32 s3, exec_lo, s3
	s_cbranch_execz .LBB269_59
; %bb.58:
	s_waitcnt lgkmcnt(0)
	v_cmp_lt_i64_e32 vcc_lo, v[3:4], v[1:2]
                                        ; implicit-def: $vgpr9
                                        ; implicit-def: $vgpr10
	v_cndmask_b32_e32 v2, v2, v4, vcc_lo
	v_cndmask_b32_e32 v1, v1, v3, vcc_lo
                                        ; implicit-def: $vgpr3_vgpr4
.LBB269_59:
	s_or_saveexec_b32 s3, s3
	v_mov_b32_e32 v8, 1
	s_xor_b32 exec_lo, exec_lo, s3
	s_cbranch_execz .LBB269_61
; %bb.60:
	v_and_b32_e32 v8, 1, v9
	v_cmp_eq_u32_e32 vcc_lo, 1, v8
	v_and_b32_e32 v8, 0xff, v10
	s_waitcnt lgkmcnt(0)
	v_cndmask_b32_e32 v2, v4, v2, vcc_lo
	v_cndmask_b32_e32 v1, v3, v1, vcc_lo
	v_cndmask_b32_e64 v8, v8, 1, vcc_lo
.LBB269_61:
	s_or_b32 exec_lo, exec_lo, s3
.LBB269_62:
	s_or_b32 exec_lo, exec_lo, s2
	v_cmp_gt_u32_e32 vcc_lo, 6, v5
	v_add_nc_u32_e32 v9, 2, v5
	s_mov_b32 s2, exec_lo
	s_waitcnt lgkmcnt(2)
	v_cndmask_b32_e64 v3, 0, 2, vcc_lo
	s_waitcnt lgkmcnt(0)
	v_add_lshl_u32 v4, v3, v7, 2
	ds_bpermute_b32 v7, v4, v8
	ds_bpermute_b32 v3, v4, v1
	ds_bpermute_b32 v4, v4, v2
	v_cmpx_gt_u32_e64 s0, v9
	s_cbranch_execz .LBB269_68
; %bb.63:
	s_waitcnt lgkmcnt(2)
	v_and_b32_e32 v9, v8, v7
	s_mov_b32 s3, exec_lo
	v_and_b32_e32 v9, 1, v9
	v_cmpx_eq_u32_e32 1, v9
	s_xor_b32 s3, exec_lo, s3
	s_cbranch_execz .LBB269_65
; %bb.64:
	s_waitcnt lgkmcnt(0)
	v_cmp_lt_i64_e32 vcc_lo, v[3:4], v[1:2]
                                        ; implicit-def: $vgpr8
                                        ; implicit-def: $vgpr7
	v_cndmask_b32_e32 v2, v2, v4, vcc_lo
	v_cndmask_b32_e32 v1, v1, v3, vcc_lo
                                        ; implicit-def: $vgpr3_vgpr4
.LBB269_65:
	s_or_saveexec_b32 s3, s3
	v_mov_b32_e32 v9, 1
	s_xor_b32 exec_lo, exec_lo, s3
	s_cbranch_execz .LBB269_67
; %bb.66:
	v_and_b32_e32 v8, 1, v8
	v_and_b32_e32 v7, 0xff, v7
	v_cmp_eq_u32_e32 vcc_lo, 1, v8
	s_waitcnt lgkmcnt(0)
	v_cndmask_b32_e32 v2, v4, v2, vcc_lo
	v_cndmask_b32_e32 v1, v3, v1, vcc_lo
	v_cndmask_b32_e64 v9, v7, 1, vcc_lo
.LBB269_67:
	s_or_b32 exec_lo, exec_lo, s3
	v_mov_b32_e32 v8, v9
.LBB269_68:
	s_or_b32 exec_lo, exec_lo, s2
	s_waitcnt lgkmcnt(0)
	v_or_b32_e32 v4, 16, v6
	v_add_nc_u32_e32 v5, 4, v5
	ds_bpermute_b32 v6, v4, v8
	ds_bpermute_b32 v3, v4, v1
	;; [unrolled: 1-line block ×3, first 2 shown]
	v_cmp_gt_u32_e32 vcc_lo, s0, v5
	s_and_saveexec_b32 s0, vcc_lo
	s_cbranch_execz .LBB269_74
; %bb.69:
	s_waitcnt lgkmcnt(2)
	v_and_b32_e32 v5, v8, v6
	s_mov_b32 s2, exec_lo
	v_and_b32_e32 v5, 1, v5
	v_cmpx_eq_u32_e32 1, v5
	s_xor_b32 s2, exec_lo, s2
	s_cbranch_execz .LBB269_71
; %bb.70:
	s_waitcnt lgkmcnt(0)
	v_cmp_lt_i64_e32 vcc_lo, v[3:4], v[1:2]
                                        ; implicit-def: $vgpr8
                                        ; implicit-def: $vgpr6
	v_cndmask_b32_e32 v2, v2, v4, vcc_lo
	v_cndmask_b32_e32 v1, v1, v3, vcc_lo
                                        ; implicit-def: $vgpr3_vgpr4
.LBB269_71:
	s_or_saveexec_b32 s2, s2
	v_mov_b32_e32 v5, 1
	s_xor_b32 exec_lo, exec_lo, s2
	s_cbranch_execz .LBB269_73
; %bb.72:
	v_and_b32_e32 v5, 1, v8
	v_cmp_eq_u32_e32 vcc_lo, 1, v5
	s_waitcnt lgkmcnt(0)
	v_cndmask_b32_e32 v2, v4, v2, vcc_lo
	v_cndmask_b32_e32 v1, v3, v1, vcc_lo
	v_cndmask_b32_e64 v5, v6, 1, vcc_lo
.LBB269_73:
	s_or_b32 exec_lo, exec_lo, s2
	v_mov_b32_e32 v8, v5
.LBB269_74:
	s_or_b32 exec_lo, exec_lo, s0
.LBB269_75:
	s_or_b32 exec_lo, exec_lo, s1
.LBB269_76:
	s_load_dword s0, s[4:5], 0x50
	s_mov_b32 s1, exec_lo
	v_cmpx_eq_u32_e32 0, v0
	s_cbranch_execz .LBB269_78
; %bb.77:
	s_mul_i32 s1, s18, s17
	s_mul_hi_u32 s2, s18, s16
	s_mul_i32 s3, s19, s16
	s_add_i32 s1, s2, s1
	s_mul_i32 s2, s18, s16
	s_add_i32 s3, s1, s3
	v_mov_b32_e32 v0, 0
	s_lshl_b64 s[2:3], s[2:3], 4
	s_add_u32 s1, s14, s2
	s_addc_u32 s4, s15, s3
	s_cmp_eq_u64 s[12:13], 0
	s_cselect_b32 s5, -1, 0
	s_lshl_b64 s[2:3], s[6:7], 4
	s_waitcnt lgkmcnt(0)
	v_cndmask_b32_e64 v3, v8, s0, s5
	v_cndmask_b32_e64 v2, v2, s9, s5
	;; [unrolled: 1-line block ×3, first 2 shown]
	s_add_u32 s0, s1, s2
	s_addc_u32 s1, s4, s3
	global_store_byte v0, v3, s[0:1]
	global_store_dwordx2 v0, v[1:2], s[0:1] offset:8
.LBB269_78:
	s_endpgm
	.section	.rodata,"a",@progbits
	.p2align	6, 0x0
	.amdhsa_kernel _ZN7rocprim17ROCPRIM_400000_NS6detail17trampoline_kernelINS0_14default_configENS1_22reduce_config_selectorIN6thrust23THRUST_200600_302600_NS5tupleIblNS6_9null_typeES8_S8_S8_S8_S8_S8_S8_EEEEZNS1_11reduce_implILb1ES3_NS6_12zip_iteratorINS7_INS6_11hip_rocprim26transform_input_iterator_tIbNSD_35transform_pair_of_input_iterators_tIbNS6_6detail15normal_iteratorINS6_10device_ptrIKiEEEESL_NS6_8equal_toIiEEEENSG_9not_fun_tINSD_8identityEEEEENSD_19counting_iterator_tIlEES8_S8_S8_S8_S8_S8_S8_S8_EEEEPS9_S9_NSD_9__find_if7functorIS9_EEEE10hipError_tPvRmT1_T2_T3_mT4_P12ihipStream_tbEUlT_E0_NS1_11comp_targetILNS1_3genE8ELNS1_11target_archE1030ELNS1_3gpuE2ELNS1_3repE0EEENS1_30default_config_static_selectorELNS0_4arch9wavefront6targetE0EEEvS14_
		.amdhsa_group_segment_fixed_size 256
		.amdhsa_private_segment_fixed_size 0
		.amdhsa_kernarg_size 104
		.amdhsa_user_sgpr_count 6
		.amdhsa_user_sgpr_private_segment_buffer 1
		.amdhsa_user_sgpr_dispatch_ptr 0
		.amdhsa_user_sgpr_queue_ptr 0
		.amdhsa_user_sgpr_kernarg_segment_ptr 1
		.amdhsa_user_sgpr_dispatch_id 0
		.amdhsa_user_sgpr_flat_scratch_init 0
		.amdhsa_user_sgpr_private_segment_size 0
		.amdhsa_wavefront_size32 1
		.amdhsa_uses_dynamic_stack 0
		.amdhsa_system_sgpr_private_segment_wavefront_offset 0
		.amdhsa_system_sgpr_workgroup_id_x 1
		.amdhsa_system_sgpr_workgroup_id_y 0
		.amdhsa_system_sgpr_workgroup_id_z 0
		.amdhsa_system_sgpr_workgroup_info 0
		.amdhsa_system_vgpr_workitem_id 0
		.amdhsa_next_free_vgpr 13
		.amdhsa_next_free_sgpr 28
		.amdhsa_reserve_vcc 1
		.amdhsa_reserve_flat_scratch 0
		.amdhsa_float_round_mode_32 0
		.amdhsa_float_round_mode_16_64 0
		.amdhsa_float_denorm_mode_32 3
		.amdhsa_float_denorm_mode_16_64 3
		.amdhsa_dx10_clamp 1
		.amdhsa_ieee_mode 1
		.amdhsa_fp16_overflow 0
		.amdhsa_workgroup_processor_mode 1
		.amdhsa_memory_ordered 1
		.amdhsa_forward_progress 1
		.amdhsa_shared_vgpr_count 0
		.amdhsa_exception_fp_ieee_invalid_op 0
		.amdhsa_exception_fp_denorm_src 0
		.amdhsa_exception_fp_ieee_div_zero 0
		.amdhsa_exception_fp_ieee_overflow 0
		.amdhsa_exception_fp_ieee_underflow 0
		.amdhsa_exception_fp_ieee_inexact 0
		.amdhsa_exception_int_div_zero 0
	.end_amdhsa_kernel
	.section	.text._ZN7rocprim17ROCPRIM_400000_NS6detail17trampoline_kernelINS0_14default_configENS1_22reduce_config_selectorIN6thrust23THRUST_200600_302600_NS5tupleIblNS6_9null_typeES8_S8_S8_S8_S8_S8_S8_EEEEZNS1_11reduce_implILb1ES3_NS6_12zip_iteratorINS7_INS6_11hip_rocprim26transform_input_iterator_tIbNSD_35transform_pair_of_input_iterators_tIbNS6_6detail15normal_iteratorINS6_10device_ptrIKiEEEESL_NS6_8equal_toIiEEEENSG_9not_fun_tINSD_8identityEEEEENSD_19counting_iterator_tIlEES8_S8_S8_S8_S8_S8_S8_S8_EEEEPS9_S9_NSD_9__find_if7functorIS9_EEEE10hipError_tPvRmT1_T2_T3_mT4_P12ihipStream_tbEUlT_E0_NS1_11comp_targetILNS1_3genE8ELNS1_11target_archE1030ELNS1_3gpuE2ELNS1_3repE0EEENS1_30default_config_static_selectorELNS0_4arch9wavefront6targetE0EEEvS14_,"axG",@progbits,_ZN7rocprim17ROCPRIM_400000_NS6detail17trampoline_kernelINS0_14default_configENS1_22reduce_config_selectorIN6thrust23THRUST_200600_302600_NS5tupleIblNS6_9null_typeES8_S8_S8_S8_S8_S8_S8_EEEEZNS1_11reduce_implILb1ES3_NS6_12zip_iteratorINS7_INS6_11hip_rocprim26transform_input_iterator_tIbNSD_35transform_pair_of_input_iterators_tIbNS6_6detail15normal_iteratorINS6_10device_ptrIKiEEEESL_NS6_8equal_toIiEEEENSG_9not_fun_tINSD_8identityEEEEENSD_19counting_iterator_tIlEES8_S8_S8_S8_S8_S8_S8_S8_EEEEPS9_S9_NSD_9__find_if7functorIS9_EEEE10hipError_tPvRmT1_T2_T3_mT4_P12ihipStream_tbEUlT_E0_NS1_11comp_targetILNS1_3genE8ELNS1_11target_archE1030ELNS1_3gpuE2ELNS1_3repE0EEENS1_30default_config_static_selectorELNS0_4arch9wavefront6targetE0EEEvS14_,comdat
.Lfunc_end269:
	.size	_ZN7rocprim17ROCPRIM_400000_NS6detail17trampoline_kernelINS0_14default_configENS1_22reduce_config_selectorIN6thrust23THRUST_200600_302600_NS5tupleIblNS6_9null_typeES8_S8_S8_S8_S8_S8_S8_EEEEZNS1_11reduce_implILb1ES3_NS6_12zip_iteratorINS7_INS6_11hip_rocprim26transform_input_iterator_tIbNSD_35transform_pair_of_input_iterators_tIbNS6_6detail15normal_iteratorINS6_10device_ptrIKiEEEESL_NS6_8equal_toIiEEEENSG_9not_fun_tINSD_8identityEEEEENSD_19counting_iterator_tIlEES8_S8_S8_S8_S8_S8_S8_S8_EEEEPS9_S9_NSD_9__find_if7functorIS9_EEEE10hipError_tPvRmT1_T2_T3_mT4_P12ihipStream_tbEUlT_E0_NS1_11comp_targetILNS1_3genE8ELNS1_11target_archE1030ELNS1_3gpuE2ELNS1_3repE0EEENS1_30default_config_static_selectorELNS0_4arch9wavefront6targetE0EEEvS14_, .Lfunc_end269-_ZN7rocprim17ROCPRIM_400000_NS6detail17trampoline_kernelINS0_14default_configENS1_22reduce_config_selectorIN6thrust23THRUST_200600_302600_NS5tupleIblNS6_9null_typeES8_S8_S8_S8_S8_S8_S8_EEEEZNS1_11reduce_implILb1ES3_NS6_12zip_iteratorINS7_INS6_11hip_rocprim26transform_input_iterator_tIbNSD_35transform_pair_of_input_iterators_tIbNS6_6detail15normal_iteratorINS6_10device_ptrIKiEEEESL_NS6_8equal_toIiEEEENSG_9not_fun_tINSD_8identityEEEEENSD_19counting_iterator_tIlEES8_S8_S8_S8_S8_S8_S8_S8_EEEEPS9_S9_NSD_9__find_if7functorIS9_EEEE10hipError_tPvRmT1_T2_T3_mT4_P12ihipStream_tbEUlT_E0_NS1_11comp_targetILNS1_3genE8ELNS1_11target_archE1030ELNS1_3gpuE2ELNS1_3repE0EEENS1_30default_config_static_selectorELNS0_4arch9wavefront6targetE0EEEvS14_
                                        ; -- End function
	.set _ZN7rocprim17ROCPRIM_400000_NS6detail17trampoline_kernelINS0_14default_configENS1_22reduce_config_selectorIN6thrust23THRUST_200600_302600_NS5tupleIblNS6_9null_typeES8_S8_S8_S8_S8_S8_S8_EEEEZNS1_11reduce_implILb1ES3_NS6_12zip_iteratorINS7_INS6_11hip_rocprim26transform_input_iterator_tIbNSD_35transform_pair_of_input_iterators_tIbNS6_6detail15normal_iteratorINS6_10device_ptrIKiEEEESL_NS6_8equal_toIiEEEENSG_9not_fun_tINSD_8identityEEEEENSD_19counting_iterator_tIlEES8_S8_S8_S8_S8_S8_S8_S8_EEEEPS9_S9_NSD_9__find_if7functorIS9_EEEE10hipError_tPvRmT1_T2_T3_mT4_P12ihipStream_tbEUlT_E0_NS1_11comp_targetILNS1_3genE8ELNS1_11target_archE1030ELNS1_3gpuE2ELNS1_3repE0EEENS1_30default_config_static_selectorELNS0_4arch9wavefront6targetE0EEEvS14_.num_vgpr, 13
	.set _ZN7rocprim17ROCPRIM_400000_NS6detail17trampoline_kernelINS0_14default_configENS1_22reduce_config_selectorIN6thrust23THRUST_200600_302600_NS5tupleIblNS6_9null_typeES8_S8_S8_S8_S8_S8_S8_EEEEZNS1_11reduce_implILb1ES3_NS6_12zip_iteratorINS7_INS6_11hip_rocprim26transform_input_iterator_tIbNSD_35transform_pair_of_input_iterators_tIbNS6_6detail15normal_iteratorINS6_10device_ptrIKiEEEESL_NS6_8equal_toIiEEEENSG_9not_fun_tINSD_8identityEEEEENSD_19counting_iterator_tIlEES8_S8_S8_S8_S8_S8_S8_S8_EEEEPS9_S9_NSD_9__find_if7functorIS9_EEEE10hipError_tPvRmT1_T2_T3_mT4_P12ihipStream_tbEUlT_E0_NS1_11comp_targetILNS1_3genE8ELNS1_11target_archE1030ELNS1_3gpuE2ELNS1_3repE0EEENS1_30default_config_static_selectorELNS0_4arch9wavefront6targetE0EEEvS14_.num_agpr, 0
	.set _ZN7rocprim17ROCPRIM_400000_NS6detail17trampoline_kernelINS0_14default_configENS1_22reduce_config_selectorIN6thrust23THRUST_200600_302600_NS5tupleIblNS6_9null_typeES8_S8_S8_S8_S8_S8_S8_EEEEZNS1_11reduce_implILb1ES3_NS6_12zip_iteratorINS7_INS6_11hip_rocprim26transform_input_iterator_tIbNSD_35transform_pair_of_input_iterators_tIbNS6_6detail15normal_iteratorINS6_10device_ptrIKiEEEESL_NS6_8equal_toIiEEEENSG_9not_fun_tINSD_8identityEEEEENSD_19counting_iterator_tIlEES8_S8_S8_S8_S8_S8_S8_S8_EEEEPS9_S9_NSD_9__find_if7functorIS9_EEEE10hipError_tPvRmT1_T2_T3_mT4_P12ihipStream_tbEUlT_E0_NS1_11comp_targetILNS1_3genE8ELNS1_11target_archE1030ELNS1_3gpuE2ELNS1_3repE0EEENS1_30default_config_static_selectorELNS0_4arch9wavefront6targetE0EEEvS14_.numbered_sgpr, 28
	.set _ZN7rocprim17ROCPRIM_400000_NS6detail17trampoline_kernelINS0_14default_configENS1_22reduce_config_selectorIN6thrust23THRUST_200600_302600_NS5tupleIblNS6_9null_typeES8_S8_S8_S8_S8_S8_S8_EEEEZNS1_11reduce_implILb1ES3_NS6_12zip_iteratorINS7_INS6_11hip_rocprim26transform_input_iterator_tIbNSD_35transform_pair_of_input_iterators_tIbNS6_6detail15normal_iteratorINS6_10device_ptrIKiEEEESL_NS6_8equal_toIiEEEENSG_9not_fun_tINSD_8identityEEEEENSD_19counting_iterator_tIlEES8_S8_S8_S8_S8_S8_S8_S8_EEEEPS9_S9_NSD_9__find_if7functorIS9_EEEE10hipError_tPvRmT1_T2_T3_mT4_P12ihipStream_tbEUlT_E0_NS1_11comp_targetILNS1_3genE8ELNS1_11target_archE1030ELNS1_3gpuE2ELNS1_3repE0EEENS1_30default_config_static_selectorELNS0_4arch9wavefront6targetE0EEEvS14_.num_named_barrier, 0
	.set _ZN7rocprim17ROCPRIM_400000_NS6detail17trampoline_kernelINS0_14default_configENS1_22reduce_config_selectorIN6thrust23THRUST_200600_302600_NS5tupleIblNS6_9null_typeES8_S8_S8_S8_S8_S8_S8_EEEEZNS1_11reduce_implILb1ES3_NS6_12zip_iteratorINS7_INS6_11hip_rocprim26transform_input_iterator_tIbNSD_35transform_pair_of_input_iterators_tIbNS6_6detail15normal_iteratorINS6_10device_ptrIKiEEEESL_NS6_8equal_toIiEEEENSG_9not_fun_tINSD_8identityEEEEENSD_19counting_iterator_tIlEES8_S8_S8_S8_S8_S8_S8_S8_EEEEPS9_S9_NSD_9__find_if7functorIS9_EEEE10hipError_tPvRmT1_T2_T3_mT4_P12ihipStream_tbEUlT_E0_NS1_11comp_targetILNS1_3genE8ELNS1_11target_archE1030ELNS1_3gpuE2ELNS1_3repE0EEENS1_30default_config_static_selectorELNS0_4arch9wavefront6targetE0EEEvS14_.private_seg_size, 0
	.set _ZN7rocprim17ROCPRIM_400000_NS6detail17trampoline_kernelINS0_14default_configENS1_22reduce_config_selectorIN6thrust23THRUST_200600_302600_NS5tupleIblNS6_9null_typeES8_S8_S8_S8_S8_S8_S8_EEEEZNS1_11reduce_implILb1ES3_NS6_12zip_iteratorINS7_INS6_11hip_rocprim26transform_input_iterator_tIbNSD_35transform_pair_of_input_iterators_tIbNS6_6detail15normal_iteratorINS6_10device_ptrIKiEEEESL_NS6_8equal_toIiEEEENSG_9not_fun_tINSD_8identityEEEEENSD_19counting_iterator_tIlEES8_S8_S8_S8_S8_S8_S8_S8_EEEEPS9_S9_NSD_9__find_if7functorIS9_EEEE10hipError_tPvRmT1_T2_T3_mT4_P12ihipStream_tbEUlT_E0_NS1_11comp_targetILNS1_3genE8ELNS1_11target_archE1030ELNS1_3gpuE2ELNS1_3repE0EEENS1_30default_config_static_selectorELNS0_4arch9wavefront6targetE0EEEvS14_.uses_vcc, 1
	.set _ZN7rocprim17ROCPRIM_400000_NS6detail17trampoline_kernelINS0_14default_configENS1_22reduce_config_selectorIN6thrust23THRUST_200600_302600_NS5tupleIblNS6_9null_typeES8_S8_S8_S8_S8_S8_S8_EEEEZNS1_11reduce_implILb1ES3_NS6_12zip_iteratorINS7_INS6_11hip_rocprim26transform_input_iterator_tIbNSD_35transform_pair_of_input_iterators_tIbNS6_6detail15normal_iteratorINS6_10device_ptrIKiEEEESL_NS6_8equal_toIiEEEENSG_9not_fun_tINSD_8identityEEEEENSD_19counting_iterator_tIlEES8_S8_S8_S8_S8_S8_S8_S8_EEEEPS9_S9_NSD_9__find_if7functorIS9_EEEE10hipError_tPvRmT1_T2_T3_mT4_P12ihipStream_tbEUlT_E0_NS1_11comp_targetILNS1_3genE8ELNS1_11target_archE1030ELNS1_3gpuE2ELNS1_3repE0EEENS1_30default_config_static_selectorELNS0_4arch9wavefront6targetE0EEEvS14_.uses_flat_scratch, 0
	.set _ZN7rocprim17ROCPRIM_400000_NS6detail17trampoline_kernelINS0_14default_configENS1_22reduce_config_selectorIN6thrust23THRUST_200600_302600_NS5tupleIblNS6_9null_typeES8_S8_S8_S8_S8_S8_S8_EEEEZNS1_11reduce_implILb1ES3_NS6_12zip_iteratorINS7_INS6_11hip_rocprim26transform_input_iterator_tIbNSD_35transform_pair_of_input_iterators_tIbNS6_6detail15normal_iteratorINS6_10device_ptrIKiEEEESL_NS6_8equal_toIiEEEENSG_9not_fun_tINSD_8identityEEEEENSD_19counting_iterator_tIlEES8_S8_S8_S8_S8_S8_S8_S8_EEEEPS9_S9_NSD_9__find_if7functorIS9_EEEE10hipError_tPvRmT1_T2_T3_mT4_P12ihipStream_tbEUlT_E0_NS1_11comp_targetILNS1_3genE8ELNS1_11target_archE1030ELNS1_3gpuE2ELNS1_3repE0EEENS1_30default_config_static_selectorELNS0_4arch9wavefront6targetE0EEEvS14_.has_dyn_sized_stack, 0
	.set _ZN7rocprim17ROCPRIM_400000_NS6detail17trampoline_kernelINS0_14default_configENS1_22reduce_config_selectorIN6thrust23THRUST_200600_302600_NS5tupleIblNS6_9null_typeES8_S8_S8_S8_S8_S8_S8_EEEEZNS1_11reduce_implILb1ES3_NS6_12zip_iteratorINS7_INS6_11hip_rocprim26transform_input_iterator_tIbNSD_35transform_pair_of_input_iterators_tIbNS6_6detail15normal_iteratorINS6_10device_ptrIKiEEEESL_NS6_8equal_toIiEEEENSG_9not_fun_tINSD_8identityEEEEENSD_19counting_iterator_tIlEES8_S8_S8_S8_S8_S8_S8_S8_EEEEPS9_S9_NSD_9__find_if7functorIS9_EEEE10hipError_tPvRmT1_T2_T3_mT4_P12ihipStream_tbEUlT_E0_NS1_11comp_targetILNS1_3genE8ELNS1_11target_archE1030ELNS1_3gpuE2ELNS1_3repE0EEENS1_30default_config_static_selectorELNS0_4arch9wavefront6targetE0EEEvS14_.has_recursion, 0
	.set _ZN7rocprim17ROCPRIM_400000_NS6detail17trampoline_kernelINS0_14default_configENS1_22reduce_config_selectorIN6thrust23THRUST_200600_302600_NS5tupleIblNS6_9null_typeES8_S8_S8_S8_S8_S8_S8_EEEEZNS1_11reduce_implILb1ES3_NS6_12zip_iteratorINS7_INS6_11hip_rocprim26transform_input_iterator_tIbNSD_35transform_pair_of_input_iterators_tIbNS6_6detail15normal_iteratorINS6_10device_ptrIKiEEEESL_NS6_8equal_toIiEEEENSG_9not_fun_tINSD_8identityEEEEENSD_19counting_iterator_tIlEES8_S8_S8_S8_S8_S8_S8_S8_EEEEPS9_S9_NSD_9__find_if7functorIS9_EEEE10hipError_tPvRmT1_T2_T3_mT4_P12ihipStream_tbEUlT_E0_NS1_11comp_targetILNS1_3genE8ELNS1_11target_archE1030ELNS1_3gpuE2ELNS1_3repE0EEENS1_30default_config_static_selectorELNS0_4arch9wavefront6targetE0EEEvS14_.has_indirect_call, 0
	.section	.AMDGPU.csdata,"",@progbits
; Kernel info:
; codeLenInByte = 3168
; TotalNumSgprs: 30
; NumVgprs: 13
; ScratchSize: 0
; MemoryBound: 0
; FloatMode: 240
; IeeeMode: 1
; LDSByteSize: 256 bytes/workgroup (compile time only)
; SGPRBlocks: 0
; VGPRBlocks: 1
; NumSGPRsForWavesPerEU: 30
; NumVGPRsForWavesPerEU: 13
; Occupancy: 16
; WaveLimiterHint : 0
; COMPUTE_PGM_RSRC2:SCRATCH_EN: 0
; COMPUTE_PGM_RSRC2:USER_SGPR: 6
; COMPUTE_PGM_RSRC2:TRAP_HANDLER: 0
; COMPUTE_PGM_RSRC2:TGID_X_EN: 1
; COMPUTE_PGM_RSRC2:TGID_Y_EN: 0
; COMPUTE_PGM_RSRC2:TGID_Z_EN: 0
; COMPUTE_PGM_RSRC2:TIDIG_COMP_CNT: 0
	.section	.text._ZN7rocprim17ROCPRIM_400000_NS6detail17trampoline_kernelINS0_14default_configENS1_22reduce_config_selectorIN6thrust23THRUST_200600_302600_NS5tupleIblNS6_9null_typeES8_S8_S8_S8_S8_S8_S8_EEEEZNS1_11reduce_implILb1ES3_NS6_12zip_iteratorINS7_INS6_11hip_rocprim26transform_input_iterator_tIbNSD_35transform_pair_of_input_iterators_tIbNS6_6detail15normal_iteratorINS6_10device_ptrIKiEEEESL_NS6_8equal_toIiEEEENSG_9not_fun_tINSD_8identityEEEEENSD_19counting_iterator_tIlEES8_S8_S8_S8_S8_S8_S8_S8_EEEEPS9_S9_NSD_9__find_if7functorIS9_EEEE10hipError_tPvRmT1_T2_T3_mT4_P12ihipStream_tbEUlT_E1_NS1_11comp_targetILNS1_3genE0ELNS1_11target_archE4294967295ELNS1_3gpuE0ELNS1_3repE0EEENS1_30default_config_static_selectorELNS0_4arch9wavefront6targetE0EEEvS14_,"axG",@progbits,_ZN7rocprim17ROCPRIM_400000_NS6detail17trampoline_kernelINS0_14default_configENS1_22reduce_config_selectorIN6thrust23THRUST_200600_302600_NS5tupleIblNS6_9null_typeES8_S8_S8_S8_S8_S8_S8_EEEEZNS1_11reduce_implILb1ES3_NS6_12zip_iteratorINS7_INS6_11hip_rocprim26transform_input_iterator_tIbNSD_35transform_pair_of_input_iterators_tIbNS6_6detail15normal_iteratorINS6_10device_ptrIKiEEEESL_NS6_8equal_toIiEEEENSG_9not_fun_tINSD_8identityEEEEENSD_19counting_iterator_tIlEES8_S8_S8_S8_S8_S8_S8_S8_EEEEPS9_S9_NSD_9__find_if7functorIS9_EEEE10hipError_tPvRmT1_T2_T3_mT4_P12ihipStream_tbEUlT_E1_NS1_11comp_targetILNS1_3genE0ELNS1_11target_archE4294967295ELNS1_3gpuE0ELNS1_3repE0EEENS1_30default_config_static_selectorELNS0_4arch9wavefront6targetE0EEEvS14_,comdat
	.protected	_ZN7rocprim17ROCPRIM_400000_NS6detail17trampoline_kernelINS0_14default_configENS1_22reduce_config_selectorIN6thrust23THRUST_200600_302600_NS5tupleIblNS6_9null_typeES8_S8_S8_S8_S8_S8_S8_EEEEZNS1_11reduce_implILb1ES3_NS6_12zip_iteratorINS7_INS6_11hip_rocprim26transform_input_iterator_tIbNSD_35transform_pair_of_input_iterators_tIbNS6_6detail15normal_iteratorINS6_10device_ptrIKiEEEESL_NS6_8equal_toIiEEEENSG_9not_fun_tINSD_8identityEEEEENSD_19counting_iterator_tIlEES8_S8_S8_S8_S8_S8_S8_S8_EEEEPS9_S9_NSD_9__find_if7functorIS9_EEEE10hipError_tPvRmT1_T2_T3_mT4_P12ihipStream_tbEUlT_E1_NS1_11comp_targetILNS1_3genE0ELNS1_11target_archE4294967295ELNS1_3gpuE0ELNS1_3repE0EEENS1_30default_config_static_selectorELNS0_4arch9wavefront6targetE0EEEvS14_ ; -- Begin function _ZN7rocprim17ROCPRIM_400000_NS6detail17trampoline_kernelINS0_14default_configENS1_22reduce_config_selectorIN6thrust23THRUST_200600_302600_NS5tupleIblNS6_9null_typeES8_S8_S8_S8_S8_S8_S8_EEEEZNS1_11reduce_implILb1ES3_NS6_12zip_iteratorINS7_INS6_11hip_rocprim26transform_input_iterator_tIbNSD_35transform_pair_of_input_iterators_tIbNS6_6detail15normal_iteratorINS6_10device_ptrIKiEEEESL_NS6_8equal_toIiEEEENSG_9not_fun_tINSD_8identityEEEEENSD_19counting_iterator_tIlEES8_S8_S8_S8_S8_S8_S8_S8_EEEEPS9_S9_NSD_9__find_if7functorIS9_EEEE10hipError_tPvRmT1_T2_T3_mT4_P12ihipStream_tbEUlT_E1_NS1_11comp_targetILNS1_3genE0ELNS1_11target_archE4294967295ELNS1_3gpuE0ELNS1_3repE0EEENS1_30default_config_static_selectorELNS0_4arch9wavefront6targetE0EEEvS14_
	.globl	_ZN7rocprim17ROCPRIM_400000_NS6detail17trampoline_kernelINS0_14default_configENS1_22reduce_config_selectorIN6thrust23THRUST_200600_302600_NS5tupleIblNS6_9null_typeES8_S8_S8_S8_S8_S8_S8_EEEEZNS1_11reduce_implILb1ES3_NS6_12zip_iteratorINS7_INS6_11hip_rocprim26transform_input_iterator_tIbNSD_35transform_pair_of_input_iterators_tIbNS6_6detail15normal_iteratorINS6_10device_ptrIKiEEEESL_NS6_8equal_toIiEEEENSG_9not_fun_tINSD_8identityEEEEENSD_19counting_iterator_tIlEES8_S8_S8_S8_S8_S8_S8_S8_EEEEPS9_S9_NSD_9__find_if7functorIS9_EEEE10hipError_tPvRmT1_T2_T3_mT4_P12ihipStream_tbEUlT_E1_NS1_11comp_targetILNS1_3genE0ELNS1_11target_archE4294967295ELNS1_3gpuE0ELNS1_3repE0EEENS1_30default_config_static_selectorELNS0_4arch9wavefront6targetE0EEEvS14_
	.p2align	8
	.type	_ZN7rocprim17ROCPRIM_400000_NS6detail17trampoline_kernelINS0_14default_configENS1_22reduce_config_selectorIN6thrust23THRUST_200600_302600_NS5tupleIblNS6_9null_typeES8_S8_S8_S8_S8_S8_S8_EEEEZNS1_11reduce_implILb1ES3_NS6_12zip_iteratorINS7_INS6_11hip_rocprim26transform_input_iterator_tIbNSD_35transform_pair_of_input_iterators_tIbNS6_6detail15normal_iteratorINS6_10device_ptrIKiEEEESL_NS6_8equal_toIiEEEENSG_9not_fun_tINSD_8identityEEEEENSD_19counting_iterator_tIlEES8_S8_S8_S8_S8_S8_S8_S8_EEEEPS9_S9_NSD_9__find_if7functorIS9_EEEE10hipError_tPvRmT1_T2_T3_mT4_P12ihipStream_tbEUlT_E1_NS1_11comp_targetILNS1_3genE0ELNS1_11target_archE4294967295ELNS1_3gpuE0ELNS1_3repE0EEENS1_30default_config_static_selectorELNS0_4arch9wavefront6targetE0EEEvS14_,@function
_ZN7rocprim17ROCPRIM_400000_NS6detail17trampoline_kernelINS0_14default_configENS1_22reduce_config_selectorIN6thrust23THRUST_200600_302600_NS5tupleIblNS6_9null_typeES8_S8_S8_S8_S8_S8_S8_EEEEZNS1_11reduce_implILb1ES3_NS6_12zip_iteratorINS7_INS6_11hip_rocprim26transform_input_iterator_tIbNSD_35transform_pair_of_input_iterators_tIbNS6_6detail15normal_iteratorINS6_10device_ptrIKiEEEESL_NS6_8equal_toIiEEEENSG_9not_fun_tINSD_8identityEEEEENSD_19counting_iterator_tIlEES8_S8_S8_S8_S8_S8_S8_S8_EEEEPS9_S9_NSD_9__find_if7functorIS9_EEEE10hipError_tPvRmT1_T2_T3_mT4_P12ihipStream_tbEUlT_E1_NS1_11comp_targetILNS1_3genE0ELNS1_11target_archE4294967295ELNS1_3gpuE0ELNS1_3repE0EEENS1_30default_config_static_selectorELNS0_4arch9wavefront6targetE0EEEvS14_: ; @_ZN7rocprim17ROCPRIM_400000_NS6detail17trampoline_kernelINS0_14default_configENS1_22reduce_config_selectorIN6thrust23THRUST_200600_302600_NS5tupleIblNS6_9null_typeES8_S8_S8_S8_S8_S8_S8_EEEEZNS1_11reduce_implILb1ES3_NS6_12zip_iteratorINS7_INS6_11hip_rocprim26transform_input_iterator_tIbNSD_35transform_pair_of_input_iterators_tIbNS6_6detail15normal_iteratorINS6_10device_ptrIKiEEEESL_NS6_8equal_toIiEEEENSG_9not_fun_tINSD_8identityEEEEENSD_19counting_iterator_tIlEES8_S8_S8_S8_S8_S8_S8_S8_EEEEPS9_S9_NSD_9__find_if7functorIS9_EEEE10hipError_tPvRmT1_T2_T3_mT4_P12ihipStream_tbEUlT_E1_NS1_11comp_targetILNS1_3genE0ELNS1_11target_archE4294967295ELNS1_3gpuE0ELNS1_3repE0EEENS1_30default_config_static_selectorELNS0_4arch9wavefront6targetE0EEEvS14_
; %bb.0:
	.section	.rodata,"a",@progbits
	.p2align	6, 0x0
	.amdhsa_kernel _ZN7rocprim17ROCPRIM_400000_NS6detail17trampoline_kernelINS0_14default_configENS1_22reduce_config_selectorIN6thrust23THRUST_200600_302600_NS5tupleIblNS6_9null_typeES8_S8_S8_S8_S8_S8_S8_EEEEZNS1_11reduce_implILb1ES3_NS6_12zip_iteratorINS7_INS6_11hip_rocprim26transform_input_iterator_tIbNSD_35transform_pair_of_input_iterators_tIbNS6_6detail15normal_iteratorINS6_10device_ptrIKiEEEESL_NS6_8equal_toIiEEEENSG_9not_fun_tINSD_8identityEEEEENSD_19counting_iterator_tIlEES8_S8_S8_S8_S8_S8_S8_S8_EEEEPS9_S9_NSD_9__find_if7functorIS9_EEEE10hipError_tPvRmT1_T2_T3_mT4_P12ihipStream_tbEUlT_E1_NS1_11comp_targetILNS1_3genE0ELNS1_11target_archE4294967295ELNS1_3gpuE0ELNS1_3repE0EEENS1_30default_config_static_selectorELNS0_4arch9wavefront6targetE0EEEvS14_
		.amdhsa_group_segment_fixed_size 0
		.amdhsa_private_segment_fixed_size 0
		.amdhsa_kernarg_size 88
		.amdhsa_user_sgpr_count 6
		.amdhsa_user_sgpr_private_segment_buffer 1
		.amdhsa_user_sgpr_dispatch_ptr 0
		.amdhsa_user_sgpr_queue_ptr 0
		.amdhsa_user_sgpr_kernarg_segment_ptr 1
		.amdhsa_user_sgpr_dispatch_id 0
		.amdhsa_user_sgpr_flat_scratch_init 0
		.amdhsa_user_sgpr_private_segment_size 0
		.amdhsa_wavefront_size32 1
		.amdhsa_uses_dynamic_stack 0
		.amdhsa_system_sgpr_private_segment_wavefront_offset 0
		.amdhsa_system_sgpr_workgroup_id_x 1
		.amdhsa_system_sgpr_workgroup_id_y 0
		.amdhsa_system_sgpr_workgroup_id_z 0
		.amdhsa_system_sgpr_workgroup_info 0
		.amdhsa_system_vgpr_workitem_id 0
		.amdhsa_next_free_vgpr 1
		.amdhsa_next_free_sgpr 1
		.amdhsa_reserve_vcc 0
		.amdhsa_reserve_flat_scratch 0
		.amdhsa_float_round_mode_32 0
		.amdhsa_float_round_mode_16_64 0
		.amdhsa_float_denorm_mode_32 3
		.amdhsa_float_denorm_mode_16_64 3
		.amdhsa_dx10_clamp 1
		.amdhsa_ieee_mode 1
		.amdhsa_fp16_overflow 0
		.amdhsa_workgroup_processor_mode 1
		.amdhsa_memory_ordered 1
		.amdhsa_forward_progress 1
		.amdhsa_shared_vgpr_count 0
		.amdhsa_exception_fp_ieee_invalid_op 0
		.amdhsa_exception_fp_denorm_src 0
		.amdhsa_exception_fp_ieee_div_zero 0
		.amdhsa_exception_fp_ieee_overflow 0
		.amdhsa_exception_fp_ieee_underflow 0
		.amdhsa_exception_fp_ieee_inexact 0
		.amdhsa_exception_int_div_zero 0
	.end_amdhsa_kernel
	.section	.text._ZN7rocprim17ROCPRIM_400000_NS6detail17trampoline_kernelINS0_14default_configENS1_22reduce_config_selectorIN6thrust23THRUST_200600_302600_NS5tupleIblNS6_9null_typeES8_S8_S8_S8_S8_S8_S8_EEEEZNS1_11reduce_implILb1ES3_NS6_12zip_iteratorINS7_INS6_11hip_rocprim26transform_input_iterator_tIbNSD_35transform_pair_of_input_iterators_tIbNS6_6detail15normal_iteratorINS6_10device_ptrIKiEEEESL_NS6_8equal_toIiEEEENSG_9not_fun_tINSD_8identityEEEEENSD_19counting_iterator_tIlEES8_S8_S8_S8_S8_S8_S8_S8_EEEEPS9_S9_NSD_9__find_if7functorIS9_EEEE10hipError_tPvRmT1_T2_T3_mT4_P12ihipStream_tbEUlT_E1_NS1_11comp_targetILNS1_3genE0ELNS1_11target_archE4294967295ELNS1_3gpuE0ELNS1_3repE0EEENS1_30default_config_static_selectorELNS0_4arch9wavefront6targetE0EEEvS14_,"axG",@progbits,_ZN7rocprim17ROCPRIM_400000_NS6detail17trampoline_kernelINS0_14default_configENS1_22reduce_config_selectorIN6thrust23THRUST_200600_302600_NS5tupleIblNS6_9null_typeES8_S8_S8_S8_S8_S8_S8_EEEEZNS1_11reduce_implILb1ES3_NS6_12zip_iteratorINS7_INS6_11hip_rocprim26transform_input_iterator_tIbNSD_35transform_pair_of_input_iterators_tIbNS6_6detail15normal_iteratorINS6_10device_ptrIKiEEEESL_NS6_8equal_toIiEEEENSG_9not_fun_tINSD_8identityEEEEENSD_19counting_iterator_tIlEES8_S8_S8_S8_S8_S8_S8_S8_EEEEPS9_S9_NSD_9__find_if7functorIS9_EEEE10hipError_tPvRmT1_T2_T3_mT4_P12ihipStream_tbEUlT_E1_NS1_11comp_targetILNS1_3genE0ELNS1_11target_archE4294967295ELNS1_3gpuE0ELNS1_3repE0EEENS1_30default_config_static_selectorELNS0_4arch9wavefront6targetE0EEEvS14_,comdat
.Lfunc_end270:
	.size	_ZN7rocprim17ROCPRIM_400000_NS6detail17trampoline_kernelINS0_14default_configENS1_22reduce_config_selectorIN6thrust23THRUST_200600_302600_NS5tupleIblNS6_9null_typeES8_S8_S8_S8_S8_S8_S8_EEEEZNS1_11reduce_implILb1ES3_NS6_12zip_iteratorINS7_INS6_11hip_rocprim26transform_input_iterator_tIbNSD_35transform_pair_of_input_iterators_tIbNS6_6detail15normal_iteratorINS6_10device_ptrIKiEEEESL_NS6_8equal_toIiEEEENSG_9not_fun_tINSD_8identityEEEEENSD_19counting_iterator_tIlEES8_S8_S8_S8_S8_S8_S8_S8_EEEEPS9_S9_NSD_9__find_if7functorIS9_EEEE10hipError_tPvRmT1_T2_T3_mT4_P12ihipStream_tbEUlT_E1_NS1_11comp_targetILNS1_3genE0ELNS1_11target_archE4294967295ELNS1_3gpuE0ELNS1_3repE0EEENS1_30default_config_static_selectorELNS0_4arch9wavefront6targetE0EEEvS14_, .Lfunc_end270-_ZN7rocprim17ROCPRIM_400000_NS6detail17trampoline_kernelINS0_14default_configENS1_22reduce_config_selectorIN6thrust23THRUST_200600_302600_NS5tupleIblNS6_9null_typeES8_S8_S8_S8_S8_S8_S8_EEEEZNS1_11reduce_implILb1ES3_NS6_12zip_iteratorINS7_INS6_11hip_rocprim26transform_input_iterator_tIbNSD_35transform_pair_of_input_iterators_tIbNS6_6detail15normal_iteratorINS6_10device_ptrIKiEEEESL_NS6_8equal_toIiEEEENSG_9not_fun_tINSD_8identityEEEEENSD_19counting_iterator_tIlEES8_S8_S8_S8_S8_S8_S8_S8_EEEEPS9_S9_NSD_9__find_if7functorIS9_EEEE10hipError_tPvRmT1_T2_T3_mT4_P12ihipStream_tbEUlT_E1_NS1_11comp_targetILNS1_3genE0ELNS1_11target_archE4294967295ELNS1_3gpuE0ELNS1_3repE0EEENS1_30default_config_static_selectorELNS0_4arch9wavefront6targetE0EEEvS14_
                                        ; -- End function
	.set _ZN7rocprim17ROCPRIM_400000_NS6detail17trampoline_kernelINS0_14default_configENS1_22reduce_config_selectorIN6thrust23THRUST_200600_302600_NS5tupleIblNS6_9null_typeES8_S8_S8_S8_S8_S8_S8_EEEEZNS1_11reduce_implILb1ES3_NS6_12zip_iteratorINS7_INS6_11hip_rocprim26transform_input_iterator_tIbNSD_35transform_pair_of_input_iterators_tIbNS6_6detail15normal_iteratorINS6_10device_ptrIKiEEEESL_NS6_8equal_toIiEEEENSG_9not_fun_tINSD_8identityEEEEENSD_19counting_iterator_tIlEES8_S8_S8_S8_S8_S8_S8_S8_EEEEPS9_S9_NSD_9__find_if7functorIS9_EEEE10hipError_tPvRmT1_T2_T3_mT4_P12ihipStream_tbEUlT_E1_NS1_11comp_targetILNS1_3genE0ELNS1_11target_archE4294967295ELNS1_3gpuE0ELNS1_3repE0EEENS1_30default_config_static_selectorELNS0_4arch9wavefront6targetE0EEEvS14_.num_vgpr, 0
	.set _ZN7rocprim17ROCPRIM_400000_NS6detail17trampoline_kernelINS0_14default_configENS1_22reduce_config_selectorIN6thrust23THRUST_200600_302600_NS5tupleIblNS6_9null_typeES8_S8_S8_S8_S8_S8_S8_EEEEZNS1_11reduce_implILb1ES3_NS6_12zip_iteratorINS7_INS6_11hip_rocprim26transform_input_iterator_tIbNSD_35transform_pair_of_input_iterators_tIbNS6_6detail15normal_iteratorINS6_10device_ptrIKiEEEESL_NS6_8equal_toIiEEEENSG_9not_fun_tINSD_8identityEEEEENSD_19counting_iterator_tIlEES8_S8_S8_S8_S8_S8_S8_S8_EEEEPS9_S9_NSD_9__find_if7functorIS9_EEEE10hipError_tPvRmT1_T2_T3_mT4_P12ihipStream_tbEUlT_E1_NS1_11comp_targetILNS1_3genE0ELNS1_11target_archE4294967295ELNS1_3gpuE0ELNS1_3repE0EEENS1_30default_config_static_selectorELNS0_4arch9wavefront6targetE0EEEvS14_.num_agpr, 0
	.set _ZN7rocprim17ROCPRIM_400000_NS6detail17trampoline_kernelINS0_14default_configENS1_22reduce_config_selectorIN6thrust23THRUST_200600_302600_NS5tupleIblNS6_9null_typeES8_S8_S8_S8_S8_S8_S8_EEEEZNS1_11reduce_implILb1ES3_NS6_12zip_iteratorINS7_INS6_11hip_rocprim26transform_input_iterator_tIbNSD_35transform_pair_of_input_iterators_tIbNS6_6detail15normal_iteratorINS6_10device_ptrIKiEEEESL_NS6_8equal_toIiEEEENSG_9not_fun_tINSD_8identityEEEEENSD_19counting_iterator_tIlEES8_S8_S8_S8_S8_S8_S8_S8_EEEEPS9_S9_NSD_9__find_if7functorIS9_EEEE10hipError_tPvRmT1_T2_T3_mT4_P12ihipStream_tbEUlT_E1_NS1_11comp_targetILNS1_3genE0ELNS1_11target_archE4294967295ELNS1_3gpuE0ELNS1_3repE0EEENS1_30default_config_static_selectorELNS0_4arch9wavefront6targetE0EEEvS14_.numbered_sgpr, 0
	.set _ZN7rocprim17ROCPRIM_400000_NS6detail17trampoline_kernelINS0_14default_configENS1_22reduce_config_selectorIN6thrust23THRUST_200600_302600_NS5tupleIblNS6_9null_typeES8_S8_S8_S8_S8_S8_S8_EEEEZNS1_11reduce_implILb1ES3_NS6_12zip_iteratorINS7_INS6_11hip_rocprim26transform_input_iterator_tIbNSD_35transform_pair_of_input_iterators_tIbNS6_6detail15normal_iteratorINS6_10device_ptrIKiEEEESL_NS6_8equal_toIiEEEENSG_9not_fun_tINSD_8identityEEEEENSD_19counting_iterator_tIlEES8_S8_S8_S8_S8_S8_S8_S8_EEEEPS9_S9_NSD_9__find_if7functorIS9_EEEE10hipError_tPvRmT1_T2_T3_mT4_P12ihipStream_tbEUlT_E1_NS1_11comp_targetILNS1_3genE0ELNS1_11target_archE4294967295ELNS1_3gpuE0ELNS1_3repE0EEENS1_30default_config_static_selectorELNS0_4arch9wavefront6targetE0EEEvS14_.num_named_barrier, 0
	.set _ZN7rocprim17ROCPRIM_400000_NS6detail17trampoline_kernelINS0_14default_configENS1_22reduce_config_selectorIN6thrust23THRUST_200600_302600_NS5tupleIblNS6_9null_typeES8_S8_S8_S8_S8_S8_S8_EEEEZNS1_11reduce_implILb1ES3_NS6_12zip_iteratorINS7_INS6_11hip_rocprim26transform_input_iterator_tIbNSD_35transform_pair_of_input_iterators_tIbNS6_6detail15normal_iteratorINS6_10device_ptrIKiEEEESL_NS6_8equal_toIiEEEENSG_9not_fun_tINSD_8identityEEEEENSD_19counting_iterator_tIlEES8_S8_S8_S8_S8_S8_S8_S8_EEEEPS9_S9_NSD_9__find_if7functorIS9_EEEE10hipError_tPvRmT1_T2_T3_mT4_P12ihipStream_tbEUlT_E1_NS1_11comp_targetILNS1_3genE0ELNS1_11target_archE4294967295ELNS1_3gpuE0ELNS1_3repE0EEENS1_30default_config_static_selectorELNS0_4arch9wavefront6targetE0EEEvS14_.private_seg_size, 0
	.set _ZN7rocprim17ROCPRIM_400000_NS6detail17trampoline_kernelINS0_14default_configENS1_22reduce_config_selectorIN6thrust23THRUST_200600_302600_NS5tupleIblNS6_9null_typeES8_S8_S8_S8_S8_S8_S8_EEEEZNS1_11reduce_implILb1ES3_NS6_12zip_iteratorINS7_INS6_11hip_rocprim26transform_input_iterator_tIbNSD_35transform_pair_of_input_iterators_tIbNS6_6detail15normal_iteratorINS6_10device_ptrIKiEEEESL_NS6_8equal_toIiEEEENSG_9not_fun_tINSD_8identityEEEEENSD_19counting_iterator_tIlEES8_S8_S8_S8_S8_S8_S8_S8_EEEEPS9_S9_NSD_9__find_if7functorIS9_EEEE10hipError_tPvRmT1_T2_T3_mT4_P12ihipStream_tbEUlT_E1_NS1_11comp_targetILNS1_3genE0ELNS1_11target_archE4294967295ELNS1_3gpuE0ELNS1_3repE0EEENS1_30default_config_static_selectorELNS0_4arch9wavefront6targetE0EEEvS14_.uses_vcc, 0
	.set _ZN7rocprim17ROCPRIM_400000_NS6detail17trampoline_kernelINS0_14default_configENS1_22reduce_config_selectorIN6thrust23THRUST_200600_302600_NS5tupleIblNS6_9null_typeES8_S8_S8_S8_S8_S8_S8_EEEEZNS1_11reduce_implILb1ES3_NS6_12zip_iteratorINS7_INS6_11hip_rocprim26transform_input_iterator_tIbNSD_35transform_pair_of_input_iterators_tIbNS6_6detail15normal_iteratorINS6_10device_ptrIKiEEEESL_NS6_8equal_toIiEEEENSG_9not_fun_tINSD_8identityEEEEENSD_19counting_iterator_tIlEES8_S8_S8_S8_S8_S8_S8_S8_EEEEPS9_S9_NSD_9__find_if7functorIS9_EEEE10hipError_tPvRmT1_T2_T3_mT4_P12ihipStream_tbEUlT_E1_NS1_11comp_targetILNS1_3genE0ELNS1_11target_archE4294967295ELNS1_3gpuE0ELNS1_3repE0EEENS1_30default_config_static_selectorELNS0_4arch9wavefront6targetE0EEEvS14_.uses_flat_scratch, 0
	.set _ZN7rocprim17ROCPRIM_400000_NS6detail17trampoline_kernelINS0_14default_configENS1_22reduce_config_selectorIN6thrust23THRUST_200600_302600_NS5tupleIblNS6_9null_typeES8_S8_S8_S8_S8_S8_S8_EEEEZNS1_11reduce_implILb1ES3_NS6_12zip_iteratorINS7_INS6_11hip_rocprim26transform_input_iterator_tIbNSD_35transform_pair_of_input_iterators_tIbNS6_6detail15normal_iteratorINS6_10device_ptrIKiEEEESL_NS6_8equal_toIiEEEENSG_9not_fun_tINSD_8identityEEEEENSD_19counting_iterator_tIlEES8_S8_S8_S8_S8_S8_S8_S8_EEEEPS9_S9_NSD_9__find_if7functorIS9_EEEE10hipError_tPvRmT1_T2_T3_mT4_P12ihipStream_tbEUlT_E1_NS1_11comp_targetILNS1_3genE0ELNS1_11target_archE4294967295ELNS1_3gpuE0ELNS1_3repE0EEENS1_30default_config_static_selectorELNS0_4arch9wavefront6targetE0EEEvS14_.has_dyn_sized_stack, 0
	.set _ZN7rocprim17ROCPRIM_400000_NS6detail17trampoline_kernelINS0_14default_configENS1_22reduce_config_selectorIN6thrust23THRUST_200600_302600_NS5tupleIblNS6_9null_typeES8_S8_S8_S8_S8_S8_S8_EEEEZNS1_11reduce_implILb1ES3_NS6_12zip_iteratorINS7_INS6_11hip_rocprim26transform_input_iterator_tIbNSD_35transform_pair_of_input_iterators_tIbNS6_6detail15normal_iteratorINS6_10device_ptrIKiEEEESL_NS6_8equal_toIiEEEENSG_9not_fun_tINSD_8identityEEEEENSD_19counting_iterator_tIlEES8_S8_S8_S8_S8_S8_S8_S8_EEEEPS9_S9_NSD_9__find_if7functorIS9_EEEE10hipError_tPvRmT1_T2_T3_mT4_P12ihipStream_tbEUlT_E1_NS1_11comp_targetILNS1_3genE0ELNS1_11target_archE4294967295ELNS1_3gpuE0ELNS1_3repE0EEENS1_30default_config_static_selectorELNS0_4arch9wavefront6targetE0EEEvS14_.has_recursion, 0
	.set _ZN7rocprim17ROCPRIM_400000_NS6detail17trampoline_kernelINS0_14default_configENS1_22reduce_config_selectorIN6thrust23THRUST_200600_302600_NS5tupleIblNS6_9null_typeES8_S8_S8_S8_S8_S8_S8_EEEEZNS1_11reduce_implILb1ES3_NS6_12zip_iteratorINS7_INS6_11hip_rocprim26transform_input_iterator_tIbNSD_35transform_pair_of_input_iterators_tIbNS6_6detail15normal_iteratorINS6_10device_ptrIKiEEEESL_NS6_8equal_toIiEEEENSG_9not_fun_tINSD_8identityEEEEENSD_19counting_iterator_tIlEES8_S8_S8_S8_S8_S8_S8_S8_EEEEPS9_S9_NSD_9__find_if7functorIS9_EEEE10hipError_tPvRmT1_T2_T3_mT4_P12ihipStream_tbEUlT_E1_NS1_11comp_targetILNS1_3genE0ELNS1_11target_archE4294967295ELNS1_3gpuE0ELNS1_3repE0EEENS1_30default_config_static_selectorELNS0_4arch9wavefront6targetE0EEEvS14_.has_indirect_call, 0
	.section	.AMDGPU.csdata,"",@progbits
; Kernel info:
; codeLenInByte = 0
; TotalNumSgprs: 0
; NumVgprs: 0
; ScratchSize: 0
; MemoryBound: 0
; FloatMode: 240
; IeeeMode: 1
; LDSByteSize: 0 bytes/workgroup (compile time only)
; SGPRBlocks: 0
; VGPRBlocks: 0
; NumSGPRsForWavesPerEU: 1
; NumVGPRsForWavesPerEU: 1
; Occupancy: 16
; WaveLimiterHint : 0
; COMPUTE_PGM_RSRC2:SCRATCH_EN: 0
; COMPUTE_PGM_RSRC2:USER_SGPR: 6
; COMPUTE_PGM_RSRC2:TRAP_HANDLER: 0
; COMPUTE_PGM_RSRC2:TGID_X_EN: 1
; COMPUTE_PGM_RSRC2:TGID_Y_EN: 0
; COMPUTE_PGM_RSRC2:TGID_Z_EN: 0
; COMPUTE_PGM_RSRC2:TIDIG_COMP_CNT: 0
	.section	.text._ZN7rocprim17ROCPRIM_400000_NS6detail17trampoline_kernelINS0_14default_configENS1_22reduce_config_selectorIN6thrust23THRUST_200600_302600_NS5tupleIblNS6_9null_typeES8_S8_S8_S8_S8_S8_S8_EEEEZNS1_11reduce_implILb1ES3_NS6_12zip_iteratorINS7_INS6_11hip_rocprim26transform_input_iterator_tIbNSD_35transform_pair_of_input_iterators_tIbNS6_6detail15normal_iteratorINS6_10device_ptrIKiEEEESL_NS6_8equal_toIiEEEENSG_9not_fun_tINSD_8identityEEEEENSD_19counting_iterator_tIlEES8_S8_S8_S8_S8_S8_S8_S8_EEEEPS9_S9_NSD_9__find_if7functorIS9_EEEE10hipError_tPvRmT1_T2_T3_mT4_P12ihipStream_tbEUlT_E1_NS1_11comp_targetILNS1_3genE5ELNS1_11target_archE942ELNS1_3gpuE9ELNS1_3repE0EEENS1_30default_config_static_selectorELNS0_4arch9wavefront6targetE0EEEvS14_,"axG",@progbits,_ZN7rocprim17ROCPRIM_400000_NS6detail17trampoline_kernelINS0_14default_configENS1_22reduce_config_selectorIN6thrust23THRUST_200600_302600_NS5tupleIblNS6_9null_typeES8_S8_S8_S8_S8_S8_S8_EEEEZNS1_11reduce_implILb1ES3_NS6_12zip_iteratorINS7_INS6_11hip_rocprim26transform_input_iterator_tIbNSD_35transform_pair_of_input_iterators_tIbNS6_6detail15normal_iteratorINS6_10device_ptrIKiEEEESL_NS6_8equal_toIiEEEENSG_9not_fun_tINSD_8identityEEEEENSD_19counting_iterator_tIlEES8_S8_S8_S8_S8_S8_S8_S8_EEEEPS9_S9_NSD_9__find_if7functorIS9_EEEE10hipError_tPvRmT1_T2_T3_mT4_P12ihipStream_tbEUlT_E1_NS1_11comp_targetILNS1_3genE5ELNS1_11target_archE942ELNS1_3gpuE9ELNS1_3repE0EEENS1_30default_config_static_selectorELNS0_4arch9wavefront6targetE0EEEvS14_,comdat
	.protected	_ZN7rocprim17ROCPRIM_400000_NS6detail17trampoline_kernelINS0_14default_configENS1_22reduce_config_selectorIN6thrust23THRUST_200600_302600_NS5tupleIblNS6_9null_typeES8_S8_S8_S8_S8_S8_S8_EEEEZNS1_11reduce_implILb1ES3_NS6_12zip_iteratorINS7_INS6_11hip_rocprim26transform_input_iterator_tIbNSD_35transform_pair_of_input_iterators_tIbNS6_6detail15normal_iteratorINS6_10device_ptrIKiEEEESL_NS6_8equal_toIiEEEENSG_9not_fun_tINSD_8identityEEEEENSD_19counting_iterator_tIlEES8_S8_S8_S8_S8_S8_S8_S8_EEEEPS9_S9_NSD_9__find_if7functorIS9_EEEE10hipError_tPvRmT1_T2_T3_mT4_P12ihipStream_tbEUlT_E1_NS1_11comp_targetILNS1_3genE5ELNS1_11target_archE942ELNS1_3gpuE9ELNS1_3repE0EEENS1_30default_config_static_selectorELNS0_4arch9wavefront6targetE0EEEvS14_ ; -- Begin function _ZN7rocprim17ROCPRIM_400000_NS6detail17trampoline_kernelINS0_14default_configENS1_22reduce_config_selectorIN6thrust23THRUST_200600_302600_NS5tupleIblNS6_9null_typeES8_S8_S8_S8_S8_S8_S8_EEEEZNS1_11reduce_implILb1ES3_NS6_12zip_iteratorINS7_INS6_11hip_rocprim26transform_input_iterator_tIbNSD_35transform_pair_of_input_iterators_tIbNS6_6detail15normal_iteratorINS6_10device_ptrIKiEEEESL_NS6_8equal_toIiEEEENSG_9not_fun_tINSD_8identityEEEEENSD_19counting_iterator_tIlEES8_S8_S8_S8_S8_S8_S8_S8_EEEEPS9_S9_NSD_9__find_if7functorIS9_EEEE10hipError_tPvRmT1_T2_T3_mT4_P12ihipStream_tbEUlT_E1_NS1_11comp_targetILNS1_3genE5ELNS1_11target_archE942ELNS1_3gpuE9ELNS1_3repE0EEENS1_30default_config_static_selectorELNS0_4arch9wavefront6targetE0EEEvS14_
	.globl	_ZN7rocprim17ROCPRIM_400000_NS6detail17trampoline_kernelINS0_14default_configENS1_22reduce_config_selectorIN6thrust23THRUST_200600_302600_NS5tupleIblNS6_9null_typeES8_S8_S8_S8_S8_S8_S8_EEEEZNS1_11reduce_implILb1ES3_NS6_12zip_iteratorINS7_INS6_11hip_rocprim26transform_input_iterator_tIbNSD_35transform_pair_of_input_iterators_tIbNS6_6detail15normal_iteratorINS6_10device_ptrIKiEEEESL_NS6_8equal_toIiEEEENSG_9not_fun_tINSD_8identityEEEEENSD_19counting_iterator_tIlEES8_S8_S8_S8_S8_S8_S8_S8_EEEEPS9_S9_NSD_9__find_if7functorIS9_EEEE10hipError_tPvRmT1_T2_T3_mT4_P12ihipStream_tbEUlT_E1_NS1_11comp_targetILNS1_3genE5ELNS1_11target_archE942ELNS1_3gpuE9ELNS1_3repE0EEENS1_30default_config_static_selectorELNS0_4arch9wavefront6targetE0EEEvS14_
	.p2align	8
	.type	_ZN7rocprim17ROCPRIM_400000_NS6detail17trampoline_kernelINS0_14default_configENS1_22reduce_config_selectorIN6thrust23THRUST_200600_302600_NS5tupleIblNS6_9null_typeES8_S8_S8_S8_S8_S8_S8_EEEEZNS1_11reduce_implILb1ES3_NS6_12zip_iteratorINS7_INS6_11hip_rocprim26transform_input_iterator_tIbNSD_35transform_pair_of_input_iterators_tIbNS6_6detail15normal_iteratorINS6_10device_ptrIKiEEEESL_NS6_8equal_toIiEEEENSG_9not_fun_tINSD_8identityEEEEENSD_19counting_iterator_tIlEES8_S8_S8_S8_S8_S8_S8_S8_EEEEPS9_S9_NSD_9__find_if7functorIS9_EEEE10hipError_tPvRmT1_T2_T3_mT4_P12ihipStream_tbEUlT_E1_NS1_11comp_targetILNS1_3genE5ELNS1_11target_archE942ELNS1_3gpuE9ELNS1_3repE0EEENS1_30default_config_static_selectorELNS0_4arch9wavefront6targetE0EEEvS14_,@function
_ZN7rocprim17ROCPRIM_400000_NS6detail17trampoline_kernelINS0_14default_configENS1_22reduce_config_selectorIN6thrust23THRUST_200600_302600_NS5tupleIblNS6_9null_typeES8_S8_S8_S8_S8_S8_S8_EEEEZNS1_11reduce_implILb1ES3_NS6_12zip_iteratorINS7_INS6_11hip_rocprim26transform_input_iterator_tIbNSD_35transform_pair_of_input_iterators_tIbNS6_6detail15normal_iteratorINS6_10device_ptrIKiEEEESL_NS6_8equal_toIiEEEENSG_9not_fun_tINSD_8identityEEEEENSD_19counting_iterator_tIlEES8_S8_S8_S8_S8_S8_S8_S8_EEEEPS9_S9_NSD_9__find_if7functorIS9_EEEE10hipError_tPvRmT1_T2_T3_mT4_P12ihipStream_tbEUlT_E1_NS1_11comp_targetILNS1_3genE5ELNS1_11target_archE942ELNS1_3gpuE9ELNS1_3repE0EEENS1_30default_config_static_selectorELNS0_4arch9wavefront6targetE0EEEvS14_: ; @_ZN7rocprim17ROCPRIM_400000_NS6detail17trampoline_kernelINS0_14default_configENS1_22reduce_config_selectorIN6thrust23THRUST_200600_302600_NS5tupleIblNS6_9null_typeES8_S8_S8_S8_S8_S8_S8_EEEEZNS1_11reduce_implILb1ES3_NS6_12zip_iteratorINS7_INS6_11hip_rocprim26transform_input_iterator_tIbNSD_35transform_pair_of_input_iterators_tIbNS6_6detail15normal_iteratorINS6_10device_ptrIKiEEEESL_NS6_8equal_toIiEEEENSG_9not_fun_tINSD_8identityEEEEENSD_19counting_iterator_tIlEES8_S8_S8_S8_S8_S8_S8_S8_EEEEPS9_S9_NSD_9__find_if7functorIS9_EEEE10hipError_tPvRmT1_T2_T3_mT4_P12ihipStream_tbEUlT_E1_NS1_11comp_targetILNS1_3genE5ELNS1_11target_archE942ELNS1_3gpuE9ELNS1_3repE0EEENS1_30default_config_static_selectorELNS0_4arch9wavefront6targetE0EEEvS14_
; %bb.0:
	.section	.rodata,"a",@progbits
	.p2align	6, 0x0
	.amdhsa_kernel _ZN7rocprim17ROCPRIM_400000_NS6detail17trampoline_kernelINS0_14default_configENS1_22reduce_config_selectorIN6thrust23THRUST_200600_302600_NS5tupleIblNS6_9null_typeES8_S8_S8_S8_S8_S8_S8_EEEEZNS1_11reduce_implILb1ES3_NS6_12zip_iteratorINS7_INS6_11hip_rocprim26transform_input_iterator_tIbNSD_35transform_pair_of_input_iterators_tIbNS6_6detail15normal_iteratorINS6_10device_ptrIKiEEEESL_NS6_8equal_toIiEEEENSG_9not_fun_tINSD_8identityEEEEENSD_19counting_iterator_tIlEES8_S8_S8_S8_S8_S8_S8_S8_EEEEPS9_S9_NSD_9__find_if7functorIS9_EEEE10hipError_tPvRmT1_T2_T3_mT4_P12ihipStream_tbEUlT_E1_NS1_11comp_targetILNS1_3genE5ELNS1_11target_archE942ELNS1_3gpuE9ELNS1_3repE0EEENS1_30default_config_static_selectorELNS0_4arch9wavefront6targetE0EEEvS14_
		.amdhsa_group_segment_fixed_size 0
		.amdhsa_private_segment_fixed_size 0
		.amdhsa_kernarg_size 88
		.amdhsa_user_sgpr_count 6
		.amdhsa_user_sgpr_private_segment_buffer 1
		.amdhsa_user_sgpr_dispatch_ptr 0
		.amdhsa_user_sgpr_queue_ptr 0
		.amdhsa_user_sgpr_kernarg_segment_ptr 1
		.amdhsa_user_sgpr_dispatch_id 0
		.amdhsa_user_sgpr_flat_scratch_init 0
		.amdhsa_user_sgpr_private_segment_size 0
		.amdhsa_wavefront_size32 1
		.amdhsa_uses_dynamic_stack 0
		.amdhsa_system_sgpr_private_segment_wavefront_offset 0
		.amdhsa_system_sgpr_workgroup_id_x 1
		.amdhsa_system_sgpr_workgroup_id_y 0
		.amdhsa_system_sgpr_workgroup_id_z 0
		.amdhsa_system_sgpr_workgroup_info 0
		.amdhsa_system_vgpr_workitem_id 0
		.amdhsa_next_free_vgpr 1
		.amdhsa_next_free_sgpr 1
		.amdhsa_reserve_vcc 0
		.amdhsa_reserve_flat_scratch 0
		.amdhsa_float_round_mode_32 0
		.amdhsa_float_round_mode_16_64 0
		.amdhsa_float_denorm_mode_32 3
		.amdhsa_float_denorm_mode_16_64 3
		.amdhsa_dx10_clamp 1
		.amdhsa_ieee_mode 1
		.amdhsa_fp16_overflow 0
		.amdhsa_workgroup_processor_mode 1
		.amdhsa_memory_ordered 1
		.amdhsa_forward_progress 1
		.amdhsa_shared_vgpr_count 0
		.amdhsa_exception_fp_ieee_invalid_op 0
		.amdhsa_exception_fp_denorm_src 0
		.amdhsa_exception_fp_ieee_div_zero 0
		.amdhsa_exception_fp_ieee_overflow 0
		.amdhsa_exception_fp_ieee_underflow 0
		.amdhsa_exception_fp_ieee_inexact 0
		.amdhsa_exception_int_div_zero 0
	.end_amdhsa_kernel
	.section	.text._ZN7rocprim17ROCPRIM_400000_NS6detail17trampoline_kernelINS0_14default_configENS1_22reduce_config_selectorIN6thrust23THRUST_200600_302600_NS5tupleIblNS6_9null_typeES8_S8_S8_S8_S8_S8_S8_EEEEZNS1_11reduce_implILb1ES3_NS6_12zip_iteratorINS7_INS6_11hip_rocprim26transform_input_iterator_tIbNSD_35transform_pair_of_input_iterators_tIbNS6_6detail15normal_iteratorINS6_10device_ptrIKiEEEESL_NS6_8equal_toIiEEEENSG_9not_fun_tINSD_8identityEEEEENSD_19counting_iterator_tIlEES8_S8_S8_S8_S8_S8_S8_S8_EEEEPS9_S9_NSD_9__find_if7functorIS9_EEEE10hipError_tPvRmT1_T2_T3_mT4_P12ihipStream_tbEUlT_E1_NS1_11comp_targetILNS1_3genE5ELNS1_11target_archE942ELNS1_3gpuE9ELNS1_3repE0EEENS1_30default_config_static_selectorELNS0_4arch9wavefront6targetE0EEEvS14_,"axG",@progbits,_ZN7rocprim17ROCPRIM_400000_NS6detail17trampoline_kernelINS0_14default_configENS1_22reduce_config_selectorIN6thrust23THRUST_200600_302600_NS5tupleIblNS6_9null_typeES8_S8_S8_S8_S8_S8_S8_EEEEZNS1_11reduce_implILb1ES3_NS6_12zip_iteratorINS7_INS6_11hip_rocprim26transform_input_iterator_tIbNSD_35transform_pair_of_input_iterators_tIbNS6_6detail15normal_iteratorINS6_10device_ptrIKiEEEESL_NS6_8equal_toIiEEEENSG_9not_fun_tINSD_8identityEEEEENSD_19counting_iterator_tIlEES8_S8_S8_S8_S8_S8_S8_S8_EEEEPS9_S9_NSD_9__find_if7functorIS9_EEEE10hipError_tPvRmT1_T2_T3_mT4_P12ihipStream_tbEUlT_E1_NS1_11comp_targetILNS1_3genE5ELNS1_11target_archE942ELNS1_3gpuE9ELNS1_3repE0EEENS1_30default_config_static_selectorELNS0_4arch9wavefront6targetE0EEEvS14_,comdat
.Lfunc_end271:
	.size	_ZN7rocprim17ROCPRIM_400000_NS6detail17trampoline_kernelINS0_14default_configENS1_22reduce_config_selectorIN6thrust23THRUST_200600_302600_NS5tupleIblNS6_9null_typeES8_S8_S8_S8_S8_S8_S8_EEEEZNS1_11reduce_implILb1ES3_NS6_12zip_iteratorINS7_INS6_11hip_rocprim26transform_input_iterator_tIbNSD_35transform_pair_of_input_iterators_tIbNS6_6detail15normal_iteratorINS6_10device_ptrIKiEEEESL_NS6_8equal_toIiEEEENSG_9not_fun_tINSD_8identityEEEEENSD_19counting_iterator_tIlEES8_S8_S8_S8_S8_S8_S8_S8_EEEEPS9_S9_NSD_9__find_if7functorIS9_EEEE10hipError_tPvRmT1_T2_T3_mT4_P12ihipStream_tbEUlT_E1_NS1_11comp_targetILNS1_3genE5ELNS1_11target_archE942ELNS1_3gpuE9ELNS1_3repE0EEENS1_30default_config_static_selectorELNS0_4arch9wavefront6targetE0EEEvS14_, .Lfunc_end271-_ZN7rocprim17ROCPRIM_400000_NS6detail17trampoline_kernelINS0_14default_configENS1_22reduce_config_selectorIN6thrust23THRUST_200600_302600_NS5tupleIblNS6_9null_typeES8_S8_S8_S8_S8_S8_S8_EEEEZNS1_11reduce_implILb1ES3_NS6_12zip_iteratorINS7_INS6_11hip_rocprim26transform_input_iterator_tIbNSD_35transform_pair_of_input_iterators_tIbNS6_6detail15normal_iteratorINS6_10device_ptrIKiEEEESL_NS6_8equal_toIiEEEENSG_9not_fun_tINSD_8identityEEEEENSD_19counting_iterator_tIlEES8_S8_S8_S8_S8_S8_S8_S8_EEEEPS9_S9_NSD_9__find_if7functorIS9_EEEE10hipError_tPvRmT1_T2_T3_mT4_P12ihipStream_tbEUlT_E1_NS1_11comp_targetILNS1_3genE5ELNS1_11target_archE942ELNS1_3gpuE9ELNS1_3repE0EEENS1_30default_config_static_selectorELNS0_4arch9wavefront6targetE0EEEvS14_
                                        ; -- End function
	.set _ZN7rocprim17ROCPRIM_400000_NS6detail17trampoline_kernelINS0_14default_configENS1_22reduce_config_selectorIN6thrust23THRUST_200600_302600_NS5tupleIblNS6_9null_typeES8_S8_S8_S8_S8_S8_S8_EEEEZNS1_11reduce_implILb1ES3_NS6_12zip_iteratorINS7_INS6_11hip_rocprim26transform_input_iterator_tIbNSD_35transform_pair_of_input_iterators_tIbNS6_6detail15normal_iteratorINS6_10device_ptrIKiEEEESL_NS6_8equal_toIiEEEENSG_9not_fun_tINSD_8identityEEEEENSD_19counting_iterator_tIlEES8_S8_S8_S8_S8_S8_S8_S8_EEEEPS9_S9_NSD_9__find_if7functorIS9_EEEE10hipError_tPvRmT1_T2_T3_mT4_P12ihipStream_tbEUlT_E1_NS1_11comp_targetILNS1_3genE5ELNS1_11target_archE942ELNS1_3gpuE9ELNS1_3repE0EEENS1_30default_config_static_selectorELNS0_4arch9wavefront6targetE0EEEvS14_.num_vgpr, 0
	.set _ZN7rocprim17ROCPRIM_400000_NS6detail17trampoline_kernelINS0_14default_configENS1_22reduce_config_selectorIN6thrust23THRUST_200600_302600_NS5tupleIblNS6_9null_typeES8_S8_S8_S8_S8_S8_S8_EEEEZNS1_11reduce_implILb1ES3_NS6_12zip_iteratorINS7_INS6_11hip_rocprim26transform_input_iterator_tIbNSD_35transform_pair_of_input_iterators_tIbNS6_6detail15normal_iteratorINS6_10device_ptrIKiEEEESL_NS6_8equal_toIiEEEENSG_9not_fun_tINSD_8identityEEEEENSD_19counting_iterator_tIlEES8_S8_S8_S8_S8_S8_S8_S8_EEEEPS9_S9_NSD_9__find_if7functorIS9_EEEE10hipError_tPvRmT1_T2_T3_mT4_P12ihipStream_tbEUlT_E1_NS1_11comp_targetILNS1_3genE5ELNS1_11target_archE942ELNS1_3gpuE9ELNS1_3repE0EEENS1_30default_config_static_selectorELNS0_4arch9wavefront6targetE0EEEvS14_.num_agpr, 0
	.set _ZN7rocprim17ROCPRIM_400000_NS6detail17trampoline_kernelINS0_14default_configENS1_22reduce_config_selectorIN6thrust23THRUST_200600_302600_NS5tupleIblNS6_9null_typeES8_S8_S8_S8_S8_S8_S8_EEEEZNS1_11reduce_implILb1ES3_NS6_12zip_iteratorINS7_INS6_11hip_rocprim26transform_input_iterator_tIbNSD_35transform_pair_of_input_iterators_tIbNS6_6detail15normal_iteratorINS6_10device_ptrIKiEEEESL_NS6_8equal_toIiEEEENSG_9not_fun_tINSD_8identityEEEEENSD_19counting_iterator_tIlEES8_S8_S8_S8_S8_S8_S8_S8_EEEEPS9_S9_NSD_9__find_if7functorIS9_EEEE10hipError_tPvRmT1_T2_T3_mT4_P12ihipStream_tbEUlT_E1_NS1_11comp_targetILNS1_3genE5ELNS1_11target_archE942ELNS1_3gpuE9ELNS1_3repE0EEENS1_30default_config_static_selectorELNS0_4arch9wavefront6targetE0EEEvS14_.numbered_sgpr, 0
	.set _ZN7rocprim17ROCPRIM_400000_NS6detail17trampoline_kernelINS0_14default_configENS1_22reduce_config_selectorIN6thrust23THRUST_200600_302600_NS5tupleIblNS6_9null_typeES8_S8_S8_S8_S8_S8_S8_EEEEZNS1_11reduce_implILb1ES3_NS6_12zip_iteratorINS7_INS6_11hip_rocprim26transform_input_iterator_tIbNSD_35transform_pair_of_input_iterators_tIbNS6_6detail15normal_iteratorINS6_10device_ptrIKiEEEESL_NS6_8equal_toIiEEEENSG_9not_fun_tINSD_8identityEEEEENSD_19counting_iterator_tIlEES8_S8_S8_S8_S8_S8_S8_S8_EEEEPS9_S9_NSD_9__find_if7functorIS9_EEEE10hipError_tPvRmT1_T2_T3_mT4_P12ihipStream_tbEUlT_E1_NS1_11comp_targetILNS1_3genE5ELNS1_11target_archE942ELNS1_3gpuE9ELNS1_3repE0EEENS1_30default_config_static_selectorELNS0_4arch9wavefront6targetE0EEEvS14_.num_named_barrier, 0
	.set _ZN7rocprim17ROCPRIM_400000_NS6detail17trampoline_kernelINS0_14default_configENS1_22reduce_config_selectorIN6thrust23THRUST_200600_302600_NS5tupleIblNS6_9null_typeES8_S8_S8_S8_S8_S8_S8_EEEEZNS1_11reduce_implILb1ES3_NS6_12zip_iteratorINS7_INS6_11hip_rocprim26transform_input_iterator_tIbNSD_35transform_pair_of_input_iterators_tIbNS6_6detail15normal_iteratorINS6_10device_ptrIKiEEEESL_NS6_8equal_toIiEEEENSG_9not_fun_tINSD_8identityEEEEENSD_19counting_iterator_tIlEES8_S8_S8_S8_S8_S8_S8_S8_EEEEPS9_S9_NSD_9__find_if7functorIS9_EEEE10hipError_tPvRmT1_T2_T3_mT4_P12ihipStream_tbEUlT_E1_NS1_11comp_targetILNS1_3genE5ELNS1_11target_archE942ELNS1_3gpuE9ELNS1_3repE0EEENS1_30default_config_static_selectorELNS0_4arch9wavefront6targetE0EEEvS14_.private_seg_size, 0
	.set _ZN7rocprim17ROCPRIM_400000_NS6detail17trampoline_kernelINS0_14default_configENS1_22reduce_config_selectorIN6thrust23THRUST_200600_302600_NS5tupleIblNS6_9null_typeES8_S8_S8_S8_S8_S8_S8_EEEEZNS1_11reduce_implILb1ES3_NS6_12zip_iteratorINS7_INS6_11hip_rocprim26transform_input_iterator_tIbNSD_35transform_pair_of_input_iterators_tIbNS6_6detail15normal_iteratorINS6_10device_ptrIKiEEEESL_NS6_8equal_toIiEEEENSG_9not_fun_tINSD_8identityEEEEENSD_19counting_iterator_tIlEES8_S8_S8_S8_S8_S8_S8_S8_EEEEPS9_S9_NSD_9__find_if7functorIS9_EEEE10hipError_tPvRmT1_T2_T3_mT4_P12ihipStream_tbEUlT_E1_NS1_11comp_targetILNS1_3genE5ELNS1_11target_archE942ELNS1_3gpuE9ELNS1_3repE0EEENS1_30default_config_static_selectorELNS0_4arch9wavefront6targetE0EEEvS14_.uses_vcc, 0
	.set _ZN7rocprim17ROCPRIM_400000_NS6detail17trampoline_kernelINS0_14default_configENS1_22reduce_config_selectorIN6thrust23THRUST_200600_302600_NS5tupleIblNS6_9null_typeES8_S8_S8_S8_S8_S8_S8_EEEEZNS1_11reduce_implILb1ES3_NS6_12zip_iteratorINS7_INS6_11hip_rocprim26transform_input_iterator_tIbNSD_35transform_pair_of_input_iterators_tIbNS6_6detail15normal_iteratorINS6_10device_ptrIKiEEEESL_NS6_8equal_toIiEEEENSG_9not_fun_tINSD_8identityEEEEENSD_19counting_iterator_tIlEES8_S8_S8_S8_S8_S8_S8_S8_EEEEPS9_S9_NSD_9__find_if7functorIS9_EEEE10hipError_tPvRmT1_T2_T3_mT4_P12ihipStream_tbEUlT_E1_NS1_11comp_targetILNS1_3genE5ELNS1_11target_archE942ELNS1_3gpuE9ELNS1_3repE0EEENS1_30default_config_static_selectorELNS0_4arch9wavefront6targetE0EEEvS14_.uses_flat_scratch, 0
	.set _ZN7rocprim17ROCPRIM_400000_NS6detail17trampoline_kernelINS0_14default_configENS1_22reduce_config_selectorIN6thrust23THRUST_200600_302600_NS5tupleIblNS6_9null_typeES8_S8_S8_S8_S8_S8_S8_EEEEZNS1_11reduce_implILb1ES3_NS6_12zip_iteratorINS7_INS6_11hip_rocprim26transform_input_iterator_tIbNSD_35transform_pair_of_input_iterators_tIbNS6_6detail15normal_iteratorINS6_10device_ptrIKiEEEESL_NS6_8equal_toIiEEEENSG_9not_fun_tINSD_8identityEEEEENSD_19counting_iterator_tIlEES8_S8_S8_S8_S8_S8_S8_S8_EEEEPS9_S9_NSD_9__find_if7functorIS9_EEEE10hipError_tPvRmT1_T2_T3_mT4_P12ihipStream_tbEUlT_E1_NS1_11comp_targetILNS1_3genE5ELNS1_11target_archE942ELNS1_3gpuE9ELNS1_3repE0EEENS1_30default_config_static_selectorELNS0_4arch9wavefront6targetE0EEEvS14_.has_dyn_sized_stack, 0
	.set _ZN7rocprim17ROCPRIM_400000_NS6detail17trampoline_kernelINS0_14default_configENS1_22reduce_config_selectorIN6thrust23THRUST_200600_302600_NS5tupleIblNS6_9null_typeES8_S8_S8_S8_S8_S8_S8_EEEEZNS1_11reduce_implILb1ES3_NS6_12zip_iteratorINS7_INS6_11hip_rocprim26transform_input_iterator_tIbNSD_35transform_pair_of_input_iterators_tIbNS6_6detail15normal_iteratorINS6_10device_ptrIKiEEEESL_NS6_8equal_toIiEEEENSG_9not_fun_tINSD_8identityEEEEENSD_19counting_iterator_tIlEES8_S8_S8_S8_S8_S8_S8_S8_EEEEPS9_S9_NSD_9__find_if7functorIS9_EEEE10hipError_tPvRmT1_T2_T3_mT4_P12ihipStream_tbEUlT_E1_NS1_11comp_targetILNS1_3genE5ELNS1_11target_archE942ELNS1_3gpuE9ELNS1_3repE0EEENS1_30default_config_static_selectorELNS0_4arch9wavefront6targetE0EEEvS14_.has_recursion, 0
	.set _ZN7rocprim17ROCPRIM_400000_NS6detail17trampoline_kernelINS0_14default_configENS1_22reduce_config_selectorIN6thrust23THRUST_200600_302600_NS5tupleIblNS6_9null_typeES8_S8_S8_S8_S8_S8_S8_EEEEZNS1_11reduce_implILb1ES3_NS6_12zip_iteratorINS7_INS6_11hip_rocprim26transform_input_iterator_tIbNSD_35transform_pair_of_input_iterators_tIbNS6_6detail15normal_iteratorINS6_10device_ptrIKiEEEESL_NS6_8equal_toIiEEEENSG_9not_fun_tINSD_8identityEEEEENSD_19counting_iterator_tIlEES8_S8_S8_S8_S8_S8_S8_S8_EEEEPS9_S9_NSD_9__find_if7functorIS9_EEEE10hipError_tPvRmT1_T2_T3_mT4_P12ihipStream_tbEUlT_E1_NS1_11comp_targetILNS1_3genE5ELNS1_11target_archE942ELNS1_3gpuE9ELNS1_3repE0EEENS1_30default_config_static_selectorELNS0_4arch9wavefront6targetE0EEEvS14_.has_indirect_call, 0
	.section	.AMDGPU.csdata,"",@progbits
; Kernel info:
; codeLenInByte = 0
; TotalNumSgprs: 0
; NumVgprs: 0
; ScratchSize: 0
; MemoryBound: 0
; FloatMode: 240
; IeeeMode: 1
; LDSByteSize: 0 bytes/workgroup (compile time only)
; SGPRBlocks: 0
; VGPRBlocks: 0
; NumSGPRsForWavesPerEU: 1
; NumVGPRsForWavesPerEU: 1
; Occupancy: 16
; WaveLimiterHint : 0
; COMPUTE_PGM_RSRC2:SCRATCH_EN: 0
; COMPUTE_PGM_RSRC2:USER_SGPR: 6
; COMPUTE_PGM_RSRC2:TRAP_HANDLER: 0
; COMPUTE_PGM_RSRC2:TGID_X_EN: 1
; COMPUTE_PGM_RSRC2:TGID_Y_EN: 0
; COMPUTE_PGM_RSRC2:TGID_Z_EN: 0
; COMPUTE_PGM_RSRC2:TIDIG_COMP_CNT: 0
	.section	.text._ZN7rocprim17ROCPRIM_400000_NS6detail17trampoline_kernelINS0_14default_configENS1_22reduce_config_selectorIN6thrust23THRUST_200600_302600_NS5tupleIblNS6_9null_typeES8_S8_S8_S8_S8_S8_S8_EEEEZNS1_11reduce_implILb1ES3_NS6_12zip_iteratorINS7_INS6_11hip_rocprim26transform_input_iterator_tIbNSD_35transform_pair_of_input_iterators_tIbNS6_6detail15normal_iteratorINS6_10device_ptrIKiEEEESL_NS6_8equal_toIiEEEENSG_9not_fun_tINSD_8identityEEEEENSD_19counting_iterator_tIlEES8_S8_S8_S8_S8_S8_S8_S8_EEEEPS9_S9_NSD_9__find_if7functorIS9_EEEE10hipError_tPvRmT1_T2_T3_mT4_P12ihipStream_tbEUlT_E1_NS1_11comp_targetILNS1_3genE4ELNS1_11target_archE910ELNS1_3gpuE8ELNS1_3repE0EEENS1_30default_config_static_selectorELNS0_4arch9wavefront6targetE0EEEvS14_,"axG",@progbits,_ZN7rocprim17ROCPRIM_400000_NS6detail17trampoline_kernelINS0_14default_configENS1_22reduce_config_selectorIN6thrust23THRUST_200600_302600_NS5tupleIblNS6_9null_typeES8_S8_S8_S8_S8_S8_S8_EEEEZNS1_11reduce_implILb1ES3_NS6_12zip_iteratorINS7_INS6_11hip_rocprim26transform_input_iterator_tIbNSD_35transform_pair_of_input_iterators_tIbNS6_6detail15normal_iteratorINS6_10device_ptrIKiEEEESL_NS6_8equal_toIiEEEENSG_9not_fun_tINSD_8identityEEEEENSD_19counting_iterator_tIlEES8_S8_S8_S8_S8_S8_S8_S8_EEEEPS9_S9_NSD_9__find_if7functorIS9_EEEE10hipError_tPvRmT1_T2_T3_mT4_P12ihipStream_tbEUlT_E1_NS1_11comp_targetILNS1_3genE4ELNS1_11target_archE910ELNS1_3gpuE8ELNS1_3repE0EEENS1_30default_config_static_selectorELNS0_4arch9wavefront6targetE0EEEvS14_,comdat
	.protected	_ZN7rocprim17ROCPRIM_400000_NS6detail17trampoline_kernelINS0_14default_configENS1_22reduce_config_selectorIN6thrust23THRUST_200600_302600_NS5tupleIblNS6_9null_typeES8_S8_S8_S8_S8_S8_S8_EEEEZNS1_11reduce_implILb1ES3_NS6_12zip_iteratorINS7_INS6_11hip_rocprim26transform_input_iterator_tIbNSD_35transform_pair_of_input_iterators_tIbNS6_6detail15normal_iteratorINS6_10device_ptrIKiEEEESL_NS6_8equal_toIiEEEENSG_9not_fun_tINSD_8identityEEEEENSD_19counting_iterator_tIlEES8_S8_S8_S8_S8_S8_S8_S8_EEEEPS9_S9_NSD_9__find_if7functorIS9_EEEE10hipError_tPvRmT1_T2_T3_mT4_P12ihipStream_tbEUlT_E1_NS1_11comp_targetILNS1_3genE4ELNS1_11target_archE910ELNS1_3gpuE8ELNS1_3repE0EEENS1_30default_config_static_selectorELNS0_4arch9wavefront6targetE0EEEvS14_ ; -- Begin function _ZN7rocprim17ROCPRIM_400000_NS6detail17trampoline_kernelINS0_14default_configENS1_22reduce_config_selectorIN6thrust23THRUST_200600_302600_NS5tupleIblNS6_9null_typeES8_S8_S8_S8_S8_S8_S8_EEEEZNS1_11reduce_implILb1ES3_NS6_12zip_iteratorINS7_INS6_11hip_rocprim26transform_input_iterator_tIbNSD_35transform_pair_of_input_iterators_tIbNS6_6detail15normal_iteratorINS6_10device_ptrIKiEEEESL_NS6_8equal_toIiEEEENSG_9not_fun_tINSD_8identityEEEEENSD_19counting_iterator_tIlEES8_S8_S8_S8_S8_S8_S8_S8_EEEEPS9_S9_NSD_9__find_if7functorIS9_EEEE10hipError_tPvRmT1_T2_T3_mT4_P12ihipStream_tbEUlT_E1_NS1_11comp_targetILNS1_3genE4ELNS1_11target_archE910ELNS1_3gpuE8ELNS1_3repE0EEENS1_30default_config_static_selectorELNS0_4arch9wavefront6targetE0EEEvS14_
	.globl	_ZN7rocprim17ROCPRIM_400000_NS6detail17trampoline_kernelINS0_14default_configENS1_22reduce_config_selectorIN6thrust23THRUST_200600_302600_NS5tupleIblNS6_9null_typeES8_S8_S8_S8_S8_S8_S8_EEEEZNS1_11reduce_implILb1ES3_NS6_12zip_iteratorINS7_INS6_11hip_rocprim26transform_input_iterator_tIbNSD_35transform_pair_of_input_iterators_tIbNS6_6detail15normal_iteratorINS6_10device_ptrIKiEEEESL_NS6_8equal_toIiEEEENSG_9not_fun_tINSD_8identityEEEEENSD_19counting_iterator_tIlEES8_S8_S8_S8_S8_S8_S8_S8_EEEEPS9_S9_NSD_9__find_if7functorIS9_EEEE10hipError_tPvRmT1_T2_T3_mT4_P12ihipStream_tbEUlT_E1_NS1_11comp_targetILNS1_3genE4ELNS1_11target_archE910ELNS1_3gpuE8ELNS1_3repE0EEENS1_30default_config_static_selectorELNS0_4arch9wavefront6targetE0EEEvS14_
	.p2align	8
	.type	_ZN7rocprim17ROCPRIM_400000_NS6detail17trampoline_kernelINS0_14default_configENS1_22reduce_config_selectorIN6thrust23THRUST_200600_302600_NS5tupleIblNS6_9null_typeES8_S8_S8_S8_S8_S8_S8_EEEEZNS1_11reduce_implILb1ES3_NS6_12zip_iteratorINS7_INS6_11hip_rocprim26transform_input_iterator_tIbNSD_35transform_pair_of_input_iterators_tIbNS6_6detail15normal_iteratorINS6_10device_ptrIKiEEEESL_NS6_8equal_toIiEEEENSG_9not_fun_tINSD_8identityEEEEENSD_19counting_iterator_tIlEES8_S8_S8_S8_S8_S8_S8_S8_EEEEPS9_S9_NSD_9__find_if7functorIS9_EEEE10hipError_tPvRmT1_T2_T3_mT4_P12ihipStream_tbEUlT_E1_NS1_11comp_targetILNS1_3genE4ELNS1_11target_archE910ELNS1_3gpuE8ELNS1_3repE0EEENS1_30default_config_static_selectorELNS0_4arch9wavefront6targetE0EEEvS14_,@function
_ZN7rocprim17ROCPRIM_400000_NS6detail17trampoline_kernelINS0_14default_configENS1_22reduce_config_selectorIN6thrust23THRUST_200600_302600_NS5tupleIblNS6_9null_typeES8_S8_S8_S8_S8_S8_S8_EEEEZNS1_11reduce_implILb1ES3_NS6_12zip_iteratorINS7_INS6_11hip_rocprim26transform_input_iterator_tIbNSD_35transform_pair_of_input_iterators_tIbNS6_6detail15normal_iteratorINS6_10device_ptrIKiEEEESL_NS6_8equal_toIiEEEENSG_9not_fun_tINSD_8identityEEEEENSD_19counting_iterator_tIlEES8_S8_S8_S8_S8_S8_S8_S8_EEEEPS9_S9_NSD_9__find_if7functorIS9_EEEE10hipError_tPvRmT1_T2_T3_mT4_P12ihipStream_tbEUlT_E1_NS1_11comp_targetILNS1_3genE4ELNS1_11target_archE910ELNS1_3gpuE8ELNS1_3repE0EEENS1_30default_config_static_selectorELNS0_4arch9wavefront6targetE0EEEvS14_: ; @_ZN7rocprim17ROCPRIM_400000_NS6detail17trampoline_kernelINS0_14default_configENS1_22reduce_config_selectorIN6thrust23THRUST_200600_302600_NS5tupleIblNS6_9null_typeES8_S8_S8_S8_S8_S8_S8_EEEEZNS1_11reduce_implILb1ES3_NS6_12zip_iteratorINS7_INS6_11hip_rocprim26transform_input_iterator_tIbNSD_35transform_pair_of_input_iterators_tIbNS6_6detail15normal_iteratorINS6_10device_ptrIKiEEEESL_NS6_8equal_toIiEEEENSG_9not_fun_tINSD_8identityEEEEENSD_19counting_iterator_tIlEES8_S8_S8_S8_S8_S8_S8_S8_EEEEPS9_S9_NSD_9__find_if7functorIS9_EEEE10hipError_tPvRmT1_T2_T3_mT4_P12ihipStream_tbEUlT_E1_NS1_11comp_targetILNS1_3genE4ELNS1_11target_archE910ELNS1_3gpuE8ELNS1_3repE0EEENS1_30default_config_static_selectorELNS0_4arch9wavefront6targetE0EEEvS14_
; %bb.0:
	.section	.rodata,"a",@progbits
	.p2align	6, 0x0
	.amdhsa_kernel _ZN7rocprim17ROCPRIM_400000_NS6detail17trampoline_kernelINS0_14default_configENS1_22reduce_config_selectorIN6thrust23THRUST_200600_302600_NS5tupleIblNS6_9null_typeES8_S8_S8_S8_S8_S8_S8_EEEEZNS1_11reduce_implILb1ES3_NS6_12zip_iteratorINS7_INS6_11hip_rocprim26transform_input_iterator_tIbNSD_35transform_pair_of_input_iterators_tIbNS6_6detail15normal_iteratorINS6_10device_ptrIKiEEEESL_NS6_8equal_toIiEEEENSG_9not_fun_tINSD_8identityEEEEENSD_19counting_iterator_tIlEES8_S8_S8_S8_S8_S8_S8_S8_EEEEPS9_S9_NSD_9__find_if7functorIS9_EEEE10hipError_tPvRmT1_T2_T3_mT4_P12ihipStream_tbEUlT_E1_NS1_11comp_targetILNS1_3genE4ELNS1_11target_archE910ELNS1_3gpuE8ELNS1_3repE0EEENS1_30default_config_static_selectorELNS0_4arch9wavefront6targetE0EEEvS14_
		.amdhsa_group_segment_fixed_size 0
		.amdhsa_private_segment_fixed_size 0
		.amdhsa_kernarg_size 88
		.amdhsa_user_sgpr_count 6
		.amdhsa_user_sgpr_private_segment_buffer 1
		.amdhsa_user_sgpr_dispatch_ptr 0
		.amdhsa_user_sgpr_queue_ptr 0
		.amdhsa_user_sgpr_kernarg_segment_ptr 1
		.amdhsa_user_sgpr_dispatch_id 0
		.amdhsa_user_sgpr_flat_scratch_init 0
		.amdhsa_user_sgpr_private_segment_size 0
		.amdhsa_wavefront_size32 1
		.amdhsa_uses_dynamic_stack 0
		.amdhsa_system_sgpr_private_segment_wavefront_offset 0
		.amdhsa_system_sgpr_workgroup_id_x 1
		.amdhsa_system_sgpr_workgroup_id_y 0
		.amdhsa_system_sgpr_workgroup_id_z 0
		.amdhsa_system_sgpr_workgroup_info 0
		.amdhsa_system_vgpr_workitem_id 0
		.amdhsa_next_free_vgpr 1
		.amdhsa_next_free_sgpr 1
		.amdhsa_reserve_vcc 0
		.amdhsa_reserve_flat_scratch 0
		.amdhsa_float_round_mode_32 0
		.amdhsa_float_round_mode_16_64 0
		.amdhsa_float_denorm_mode_32 3
		.amdhsa_float_denorm_mode_16_64 3
		.amdhsa_dx10_clamp 1
		.amdhsa_ieee_mode 1
		.amdhsa_fp16_overflow 0
		.amdhsa_workgroup_processor_mode 1
		.amdhsa_memory_ordered 1
		.amdhsa_forward_progress 1
		.amdhsa_shared_vgpr_count 0
		.amdhsa_exception_fp_ieee_invalid_op 0
		.amdhsa_exception_fp_denorm_src 0
		.amdhsa_exception_fp_ieee_div_zero 0
		.amdhsa_exception_fp_ieee_overflow 0
		.amdhsa_exception_fp_ieee_underflow 0
		.amdhsa_exception_fp_ieee_inexact 0
		.amdhsa_exception_int_div_zero 0
	.end_amdhsa_kernel
	.section	.text._ZN7rocprim17ROCPRIM_400000_NS6detail17trampoline_kernelINS0_14default_configENS1_22reduce_config_selectorIN6thrust23THRUST_200600_302600_NS5tupleIblNS6_9null_typeES8_S8_S8_S8_S8_S8_S8_EEEEZNS1_11reduce_implILb1ES3_NS6_12zip_iteratorINS7_INS6_11hip_rocprim26transform_input_iterator_tIbNSD_35transform_pair_of_input_iterators_tIbNS6_6detail15normal_iteratorINS6_10device_ptrIKiEEEESL_NS6_8equal_toIiEEEENSG_9not_fun_tINSD_8identityEEEEENSD_19counting_iterator_tIlEES8_S8_S8_S8_S8_S8_S8_S8_EEEEPS9_S9_NSD_9__find_if7functorIS9_EEEE10hipError_tPvRmT1_T2_T3_mT4_P12ihipStream_tbEUlT_E1_NS1_11comp_targetILNS1_3genE4ELNS1_11target_archE910ELNS1_3gpuE8ELNS1_3repE0EEENS1_30default_config_static_selectorELNS0_4arch9wavefront6targetE0EEEvS14_,"axG",@progbits,_ZN7rocprim17ROCPRIM_400000_NS6detail17trampoline_kernelINS0_14default_configENS1_22reduce_config_selectorIN6thrust23THRUST_200600_302600_NS5tupleIblNS6_9null_typeES8_S8_S8_S8_S8_S8_S8_EEEEZNS1_11reduce_implILb1ES3_NS6_12zip_iteratorINS7_INS6_11hip_rocprim26transform_input_iterator_tIbNSD_35transform_pair_of_input_iterators_tIbNS6_6detail15normal_iteratorINS6_10device_ptrIKiEEEESL_NS6_8equal_toIiEEEENSG_9not_fun_tINSD_8identityEEEEENSD_19counting_iterator_tIlEES8_S8_S8_S8_S8_S8_S8_S8_EEEEPS9_S9_NSD_9__find_if7functorIS9_EEEE10hipError_tPvRmT1_T2_T3_mT4_P12ihipStream_tbEUlT_E1_NS1_11comp_targetILNS1_3genE4ELNS1_11target_archE910ELNS1_3gpuE8ELNS1_3repE0EEENS1_30default_config_static_selectorELNS0_4arch9wavefront6targetE0EEEvS14_,comdat
.Lfunc_end272:
	.size	_ZN7rocprim17ROCPRIM_400000_NS6detail17trampoline_kernelINS0_14default_configENS1_22reduce_config_selectorIN6thrust23THRUST_200600_302600_NS5tupleIblNS6_9null_typeES8_S8_S8_S8_S8_S8_S8_EEEEZNS1_11reduce_implILb1ES3_NS6_12zip_iteratorINS7_INS6_11hip_rocprim26transform_input_iterator_tIbNSD_35transform_pair_of_input_iterators_tIbNS6_6detail15normal_iteratorINS6_10device_ptrIKiEEEESL_NS6_8equal_toIiEEEENSG_9not_fun_tINSD_8identityEEEEENSD_19counting_iterator_tIlEES8_S8_S8_S8_S8_S8_S8_S8_EEEEPS9_S9_NSD_9__find_if7functorIS9_EEEE10hipError_tPvRmT1_T2_T3_mT4_P12ihipStream_tbEUlT_E1_NS1_11comp_targetILNS1_3genE4ELNS1_11target_archE910ELNS1_3gpuE8ELNS1_3repE0EEENS1_30default_config_static_selectorELNS0_4arch9wavefront6targetE0EEEvS14_, .Lfunc_end272-_ZN7rocprim17ROCPRIM_400000_NS6detail17trampoline_kernelINS0_14default_configENS1_22reduce_config_selectorIN6thrust23THRUST_200600_302600_NS5tupleIblNS6_9null_typeES8_S8_S8_S8_S8_S8_S8_EEEEZNS1_11reduce_implILb1ES3_NS6_12zip_iteratorINS7_INS6_11hip_rocprim26transform_input_iterator_tIbNSD_35transform_pair_of_input_iterators_tIbNS6_6detail15normal_iteratorINS6_10device_ptrIKiEEEESL_NS6_8equal_toIiEEEENSG_9not_fun_tINSD_8identityEEEEENSD_19counting_iterator_tIlEES8_S8_S8_S8_S8_S8_S8_S8_EEEEPS9_S9_NSD_9__find_if7functorIS9_EEEE10hipError_tPvRmT1_T2_T3_mT4_P12ihipStream_tbEUlT_E1_NS1_11comp_targetILNS1_3genE4ELNS1_11target_archE910ELNS1_3gpuE8ELNS1_3repE0EEENS1_30default_config_static_selectorELNS0_4arch9wavefront6targetE0EEEvS14_
                                        ; -- End function
	.set _ZN7rocprim17ROCPRIM_400000_NS6detail17trampoline_kernelINS0_14default_configENS1_22reduce_config_selectorIN6thrust23THRUST_200600_302600_NS5tupleIblNS6_9null_typeES8_S8_S8_S8_S8_S8_S8_EEEEZNS1_11reduce_implILb1ES3_NS6_12zip_iteratorINS7_INS6_11hip_rocprim26transform_input_iterator_tIbNSD_35transform_pair_of_input_iterators_tIbNS6_6detail15normal_iteratorINS6_10device_ptrIKiEEEESL_NS6_8equal_toIiEEEENSG_9not_fun_tINSD_8identityEEEEENSD_19counting_iterator_tIlEES8_S8_S8_S8_S8_S8_S8_S8_EEEEPS9_S9_NSD_9__find_if7functorIS9_EEEE10hipError_tPvRmT1_T2_T3_mT4_P12ihipStream_tbEUlT_E1_NS1_11comp_targetILNS1_3genE4ELNS1_11target_archE910ELNS1_3gpuE8ELNS1_3repE0EEENS1_30default_config_static_selectorELNS0_4arch9wavefront6targetE0EEEvS14_.num_vgpr, 0
	.set _ZN7rocprim17ROCPRIM_400000_NS6detail17trampoline_kernelINS0_14default_configENS1_22reduce_config_selectorIN6thrust23THRUST_200600_302600_NS5tupleIblNS6_9null_typeES8_S8_S8_S8_S8_S8_S8_EEEEZNS1_11reduce_implILb1ES3_NS6_12zip_iteratorINS7_INS6_11hip_rocprim26transform_input_iterator_tIbNSD_35transform_pair_of_input_iterators_tIbNS6_6detail15normal_iteratorINS6_10device_ptrIKiEEEESL_NS6_8equal_toIiEEEENSG_9not_fun_tINSD_8identityEEEEENSD_19counting_iterator_tIlEES8_S8_S8_S8_S8_S8_S8_S8_EEEEPS9_S9_NSD_9__find_if7functorIS9_EEEE10hipError_tPvRmT1_T2_T3_mT4_P12ihipStream_tbEUlT_E1_NS1_11comp_targetILNS1_3genE4ELNS1_11target_archE910ELNS1_3gpuE8ELNS1_3repE0EEENS1_30default_config_static_selectorELNS0_4arch9wavefront6targetE0EEEvS14_.num_agpr, 0
	.set _ZN7rocprim17ROCPRIM_400000_NS6detail17trampoline_kernelINS0_14default_configENS1_22reduce_config_selectorIN6thrust23THRUST_200600_302600_NS5tupleIblNS6_9null_typeES8_S8_S8_S8_S8_S8_S8_EEEEZNS1_11reduce_implILb1ES3_NS6_12zip_iteratorINS7_INS6_11hip_rocprim26transform_input_iterator_tIbNSD_35transform_pair_of_input_iterators_tIbNS6_6detail15normal_iteratorINS6_10device_ptrIKiEEEESL_NS6_8equal_toIiEEEENSG_9not_fun_tINSD_8identityEEEEENSD_19counting_iterator_tIlEES8_S8_S8_S8_S8_S8_S8_S8_EEEEPS9_S9_NSD_9__find_if7functorIS9_EEEE10hipError_tPvRmT1_T2_T3_mT4_P12ihipStream_tbEUlT_E1_NS1_11comp_targetILNS1_3genE4ELNS1_11target_archE910ELNS1_3gpuE8ELNS1_3repE0EEENS1_30default_config_static_selectorELNS0_4arch9wavefront6targetE0EEEvS14_.numbered_sgpr, 0
	.set _ZN7rocprim17ROCPRIM_400000_NS6detail17trampoline_kernelINS0_14default_configENS1_22reduce_config_selectorIN6thrust23THRUST_200600_302600_NS5tupleIblNS6_9null_typeES8_S8_S8_S8_S8_S8_S8_EEEEZNS1_11reduce_implILb1ES3_NS6_12zip_iteratorINS7_INS6_11hip_rocprim26transform_input_iterator_tIbNSD_35transform_pair_of_input_iterators_tIbNS6_6detail15normal_iteratorINS6_10device_ptrIKiEEEESL_NS6_8equal_toIiEEEENSG_9not_fun_tINSD_8identityEEEEENSD_19counting_iterator_tIlEES8_S8_S8_S8_S8_S8_S8_S8_EEEEPS9_S9_NSD_9__find_if7functorIS9_EEEE10hipError_tPvRmT1_T2_T3_mT4_P12ihipStream_tbEUlT_E1_NS1_11comp_targetILNS1_3genE4ELNS1_11target_archE910ELNS1_3gpuE8ELNS1_3repE0EEENS1_30default_config_static_selectorELNS0_4arch9wavefront6targetE0EEEvS14_.num_named_barrier, 0
	.set _ZN7rocprim17ROCPRIM_400000_NS6detail17trampoline_kernelINS0_14default_configENS1_22reduce_config_selectorIN6thrust23THRUST_200600_302600_NS5tupleIblNS6_9null_typeES8_S8_S8_S8_S8_S8_S8_EEEEZNS1_11reduce_implILb1ES3_NS6_12zip_iteratorINS7_INS6_11hip_rocprim26transform_input_iterator_tIbNSD_35transform_pair_of_input_iterators_tIbNS6_6detail15normal_iteratorINS6_10device_ptrIKiEEEESL_NS6_8equal_toIiEEEENSG_9not_fun_tINSD_8identityEEEEENSD_19counting_iterator_tIlEES8_S8_S8_S8_S8_S8_S8_S8_EEEEPS9_S9_NSD_9__find_if7functorIS9_EEEE10hipError_tPvRmT1_T2_T3_mT4_P12ihipStream_tbEUlT_E1_NS1_11comp_targetILNS1_3genE4ELNS1_11target_archE910ELNS1_3gpuE8ELNS1_3repE0EEENS1_30default_config_static_selectorELNS0_4arch9wavefront6targetE0EEEvS14_.private_seg_size, 0
	.set _ZN7rocprim17ROCPRIM_400000_NS6detail17trampoline_kernelINS0_14default_configENS1_22reduce_config_selectorIN6thrust23THRUST_200600_302600_NS5tupleIblNS6_9null_typeES8_S8_S8_S8_S8_S8_S8_EEEEZNS1_11reduce_implILb1ES3_NS6_12zip_iteratorINS7_INS6_11hip_rocprim26transform_input_iterator_tIbNSD_35transform_pair_of_input_iterators_tIbNS6_6detail15normal_iteratorINS6_10device_ptrIKiEEEESL_NS6_8equal_toIiEEEENSG_9not_fun_tINSD_8identityEEEEENSD_19counting_iterator_tIlEES8_S8_S8_S8_S8_S8_S8_S8_EEEEPS9_S9_NSD_9__find_if7functorIS9_EEEE10hipError_tPvRmT1_T2_T3_mT4_P12ihipStream_tbEUlT_E1_NS1_11comp_targetILNS1_3genE4ELNS1_11target_archE910ELNS1_3gpuE8ELNS1_3repE0EEENS1_30default_config_static_selectorELNS0_4arch9wavefront6targetE0EEEvS14_.uses_vcc, 0
	.set _ZN7rocprim17ROCPRIM_400000_NS6detail17trampoline_kernelINS0_14default_configENS1_22reduce_config_selectorIN6thrust23THRUST_200600_302600_NS5tupleIblNS6_9null_typeES8_S8_S8_S8_S8_S8_S8_EEEEZNS1_11reduce_implILb1ES3_NS6_12zip_iteratorINS7_INS6_11hip_rocprim26transform_input_iterator_tIbNSD_35transform_pair_of_input_iterators_tIbNS6_6detail15normal_iteratorINS6_10device_ptrIKiEEEESL_NS6_8equal_toIiEEEENSG_9not_fun_tINSD_8identityEEEEENSD_19counting_iterator_tIlEES8_S8_S8_S8_S8_S8_S8_S8_EEEEPS9_S9_NSD_9__find_if7functorIS9_EEEE10hipError_tPvRmT1_T2_T3_mT4_P12ihipStream_tbEUlT_E1_NS1_11comp_targetILNS1_3genE4ELNS1_11target_archE910ELNS1_3gpuE8ELNS1_3repE0EEENS1_30default_config_static_selectorELNS0_4arch9wavefront6targetE0EEEvS14_.uses_flat_scratch, 0
	.set _ZN7rocprim17ROCPRIM_400000_NS6detail17trampoline_kernelINS0_14default_configENS1_22reduce_config_selectorIN6thrust23THRUST_200600_302600_NS5tupleIblNS6_9null_typeES8_S8_S8_S8_S8_S8_S8_EEEEZNS1_11reduce_implILb1ES3_NS6_12zip_iteratorINS7_INS6_11hip_rocprim26transform_input_iterator_tIbNSD_35transform_pair_of_input_iterators_tIbNS6_6detail15normal_iteratorINS6_10device_ptrIKiEEEESL_NS6_8equal_toIiEEEENSG_9not_fun_tINSD_8identityEEEEENSD_19counting_iterator_tIlEES8_S8_S8_S8_S8_S8_S8_S8_EEEEPS9_S9_NSD_9__find_if7functorIS9_EEEE10hipError_tPvRmT1_T2_T3_mT4_P12ihipStream_tbEUlT_E1_NS1_11comp_targetILNS1_3genE4ELNS1_11target_archE910ELNS1_3gpuE8ELNS1_3repE0EEENS1_30default_config_static_selectorELNS0_4arch9wavefront6targetE0EEEvS14_.has_dyn_sized_stack, 0
	.set _ZN7rocprim17ROCPRIM_400000_NS6detail17trampoline_kernelINS0_14default_configENS1_22reduce_config_selectorIN6thrust23THRUST_200600_302600_NS5tupleIblNS6_9null_typeES8_S8_S8_S8_S8_S8_S8_EEEEZNS1_11reduce_implILb1ES3_NS6_12zip_iteratorINS7_INS6_11hip_rocprim26transform_input_iterator_tIbNSD_35transform_pair_of_input_iterators_tIbNS6_6detail15normal_iteratorINS6_10device_ptrIKiEEEESL_NS6_8equal_toIiEEEENSG_9not_fun_tINSD_8identityEEEEENSD_19counting_iterator_tIlEES8_S8_S8_S8_S8_S8_S8_S8_EEEEPS9_S9_NSD_9__find_if7functorIS9_EEEE10hipError_tPvRmT1_T2_T3_mT4_P12ihipStream_tbEUlT_E1_NS1_11comp_targetILNS1_3genE4ELNS1_11target_archE910ELNS1_3gpuE8ELNS1_3repE0EEENS1_30default_config_static_selectorELNS0_4arch9wavefront6targetE0EEEvS14_.has_recursion, 0
	.set _ZN7rocprim17ROCPRIM_400000_NS6detail17trampoline_kernelINS0_14default_configENS1_22reduce_config_selectorIN6thrust23THRUST_200600_302600_NS5tupleIblNS6_9null_typeES8_S8_S8_S8_S8_S8_S8_EEEEZNS1_11reduce_implILb1ES3_NS6_12zip_iteratorINS7_INS6_11hip_rocprim26transform_input_iterator_tIbNSD_35transform_pair_of_input_iterators_tIbNS6_6detail15normal_iteratorINS6_10device_ptrIKiEEEESL_NS6_8equal_toIiEEEENSG_9not_fun_tINSD_8identityEEEEENSD_19counting_iterator_tIlEES8_S8_S8_S8_S8_S8_S8_S8_EEEEPS9_S9_NSD_9__find_if7functorIS9_EEEE10hipError_tPvRmT1_T2_T3_mT4_P12ihipStream_tbEUlT_E1_NS1_11comp_targetILNS1_3genE4ELNS1_11target_archE910ELNS1_3gpuE8ELNS1_3repE0EEENS1_30default_config_static_selectorELNS0_4arch9wavefront6targetE0EEEvS14_.has_indirect_call, 0
	.section	.AMDGPU.csdata,"",@progbits
; Kernel info:
; codeLenInByte = 0
; TotalNumSgprs: 0
; NumVgprs: 0
; ScratchSize: 0
; MemoryBound: 0
; FloatMode: 240
; IeeeMode: 1
; LDSByteSize: 0 bytes/workgroup (compile time only)
; SGPRBlocks: 0
; VGPRBlocks: 0
; NumSGPRsForWavesPerEU: 1
; NumVGPRsForWavesPerEU: 1
; Occupancy: 16
; WaveLimiterHint : 0
; COMPUTE_PGM_RSRC2:SCRATCH_EN: 0
; COMPUTE_PGM_RSRC2:USER_SGPR: 6
; COMPUTE_PGM_RSRC2:TRAP_HANDLER: 0
; COMPUTE_PGM_RSRC2:TGID_X_EN: 1
; COMPUTE_PGM_RSRC2:TGID_Y_EN: 0
; COMPUTE_PGM_RSRC2:TGID_Z_EN: 0
; COMPUTE_PGM_RSRC2:TIDIG_COMP_CNT: 0
	.section	.text._ZN7rocprim17ROCPRIM_400000_NS6detail17trampoline_kernelINS0_14default_configENS1_22reduce_config_selectorIN6thrust23THRUST_200600_302600_NS5tupleIblNS6_9null_typeES8_S8_S8_S8_S8_S8_S8_EEEEZNS1_11reduce_implILb1ES3_NS6_12zip_iteratorINS7_INS6_11hip_rocprim26transform_input_iterator_tIbNSD_35transform_pair_of_input_iterators_tIbNS6_6detail15normal_iteratorINS6_10device_ptrIKiEEEESL_NS6_8equal_toIiEEEENSG_9not_fun_tINSD_8identityEEEEENSD_19counting_iterator_tIlEES8_S8_S8_S8_S8_S8_S8_S8_EEEEPS9_S9_NSD_9__find_if7functorIS9_EEEE10hipError_tPvRmT1_T2_T3_mT4_P12ihipStream_tbEUlT_E1_NS1_11comp_targetILNS1_3genE3ELNS1_11target_archE908ELNS1_3gpuE7ELNS1_3repE0EEENS1_30default_config_static_selectorELNS0_4arch9wavefront6targetE0EEEvS14_,"axG",@progbits,_ZN7rocprim17ROCPRIM_400000_NS6detail17trampoline_kernelINS0_14default_configENS1_22reduce_config_selectorIN6thrust23THRUST_200600_302600_NS5tupleIblNS6_9null_typeES8_S8_S8_S8_S8_S8_S8_EEEEZNS1_11reduce_implILb1ES3_NS6_12zip_iteratorINS7_INS6_11hip_rocprim26transform_input_iterator_tIbNSD_35transform_pair_of_input_iterators_tIbNS6_6detail15normal_iteratorINS6_10device_ptrIKiEEEESL_NS6_8equal_toIiEEEENSG_9not_fun_tINSD_8identityEEEEENSD_19counting_iterator_tIlEES8_S8_S8_S8_S8_S8_S8_S8_EEEEPS9_S9_NSD_9__find_if7functorIS9_EEEE10hipError_tPvRmT1_T2_T3_mT4_P12ihipStream_tbEUlT_E1_NS1_11comp_targetILNS1_3genE3ELNS1_11target_archE908ELNS1_3gpuE7ELNS1_3repE0EEENS1_30default_config_static_selectorELNS0_4arch9wavefront6targetE0EEEvS14_,comdat
	.protected	_ZN7rocprim17ROCPRIM_400000_NS6detail17trampoline_kernelINS0_14default_configENS1_22reduce_config_selectorIN6thrust23THRUST_200600_302600_NS5tupleIblNS6_9null_typeES8_S8_S8_S8_S8_S8_S8_EEEEZNS1_11reduce_implILb1ES3_NS6_12zip_iteratorINS7_INS6_11hip_rocprim26transform_input_iterator_tIbNSD_35transform_pair_of_input_iterators_tIbNS6_6detail15normal_iteratorINS6_10device_ptrIKiEEEESL_NS6_8equal_toIiEEEENSG_9not_fun_tINSD_8identityEEEEENSD_19counting_iterator_tIlEES8_S8_S8_S8_S8_S8_S8_S8_EEEEPS9_S9_NSD_9__find_if7functorIS9_EEEE10hipError_tPvRmT1_T2_T3_mT4_P12ihipStream_tbEUlT_E1_NS1_11comp_targetILNS1_3genE3ELNS1_11target_archE908ELNS1_3gpuE7ELNS1_3repE0EEENS1_30default_config_static_selectorELNS0_4arch9wavefront6targetE0EEEvS14_ ; -- Begin function _ZN7rocprim17ROCPRIM_400000_NS6detail17trampoline_kernelINS0_14default_configENS1_22reduce_config_selectorIN6thrust23THRUST_200600_302600_NS5tupleIblNS6_9null_typeES8_S8_S8_S8_S8_S8_S8_EEEEZNS1_11reduce_implILb1ES3_NS6_12zip_iteratorINS7_INS6_11hip_rocprim26transform_input_iterator_tIbNSD_35transform_pair_of_input_iterators_tIbNS6_6detail15normal_iteratorINS6_10device_ptrIKiEEEESL_NS6_8equal_toIiEEEENSG_9not_fun_tINSD_8identityEEEEENSD_19counting_iterator_tIlEES8_S8_S8_S8_S8_S8_S8_S8_EEEEPS9_S9_NSD_9__find_if7functorIS9_EEEE10hipError_tPvRmT1_T2_T3_mT4_P12ihipStream_tbEUlT_E1_NS1_11comp_targetILNS1_3genE3ELNS1_11target_archE908ELNS1_3gpuE7ELNS1_3repE0EEENS1_30default_config_static_selectorELNS0_4arch9wavefront6targetE0EEEvS14_
	.globl	_ZN7rocprim17ROCPRIM_400000_NS6detail17trampoline_kernelINS0_14default_configENS1_22reduce_config_selectorIN6thrust23THRUST_200600_302600_NS5tupleIblNS6_9null_typeES8_S8_S8_S8_S8_S8_S8_EEEEZNS1_11reduce_implILb1ES3_NS6_12zip_iteratorINS7_INS6_11hip_rocprim26transform_input_iterator_tIbNSD_35transform_pair_of_input_iterators_tIbNS6_6detail15normal_iteratorINS6_10device_ptrIKiEEEESL_NS6_8equal_toIiEEEENSG_9not_fun_tINSD_8identityEEEEENSD_19counting_iterator_tIlEES8_S8_S8_S8_S8_S8_S8_S8_EEEEPS9_S9_NSD_9__find_if7functorIS9_EEEE10hipError_tPvRmT1_T2_T3_mT4_P12ihipStream_tbEUlT_E1_NS1_11comp_targetILNS1_3genE3ELNS1_11target_archE908ELNS1_3gpuE7ELNS1_3repE0EEENS1_30default_config_static_selectorELNS0_4arch9wavefront6targetE0EEEvS14_
	.p2align	8
	.type	_ZN7rocprim17ROCPRIM_400000_NS6detail17trampoline_kernelINS0_14default_configENS1_22reduce_config_selectorIN6thrust23THRUST_200600_302600_NS5tupleIblNS6_9null_typeES8_S8_S8_S8_S8_S8_S8_EEEEZNS1_11reduce_implILb1ES3_NS6_12zip_iteratorINS7_INS6_11hip_rocprim26transform_input_iterator_tIbNSD_35transform_pair_of_input_iterators_tIbNS6_6detail15normal_iteratorINS6_10device_ptrIKiEEEESL_NS6_8equal_toIiEEEENSG_9not_fun_tINSD_8identityEEEEENSD_19counting_iterator_tIlEES8_S8_S8_S8_S8_S8_S8_S8_EEEEPS9_S9_NSD_9__find_if7functorIS9_EEEE10hipError_tPvRmT1_T2_T3_mT4_P12ihipStream_tbEUlT_E1_NS1_11comp_targetILNS1_3genE3ELNS1_11target_archE908ELNS1_3gpuE7ELNS1_3repE0EEENS1_30default_config_static_selectorELNS0_4arch9wavefront6targetE0EEEvS14_,@function
_ZN7rocprim17ROCPRIM_400000_NS6detail17trampoline_kernelINS0_14default_configENS1_22reduce_config_selectorIN6thrust23THRUST_200600_302600_NS5tupleIblNS6_9null_typeES8_S8_S8_S8_S8_S8_S8_EEEEZNS1_11reduce_implILb1ES3_NS6_12zip_iteratorINS7_INS6_11hip_rocprim26transform_input_iterator_tIbNSD_35transform_pair_of_input_iterators_tIbNS6_6detail15normal_iteratorINS6_10device_ptrIKiEEEESL_NS6_8equal_toIiEEEENSG_9not_fun_tINSD_8identityEEEEENSD_19counting_iterator_tIlEES8_S8_S8_S8_S8_S8_S8_S8_EEEEPS9_S9_NSD_9__find_if7functorIS9_EEEE10hipError_tPvRmT1_T2_T3_mT4_P12ihipStream_tbEUlT_E1_NS1_11comp_targetILNS1_3genE3ELNS1_11target_archE908ELNS1_3gpuE7ELNS1_3repE0EEENS1_30default_config_static_selectorELNS0_4arch9wavefront6targetE0EEEvS14_: ; @_ZN7rocprim17ROCPRIM_400000_NS6detail17trampoline_kernelINS0_14default_configENS1_22reduce_config_selectorIN6thrust23THRUST_200600_302600_NS5tupleIblNS6_9null_typeES8_S8_S8_S8_S8_S8_S8_EEEEZNS1_11reduce_implILb1ES3_NS6_12zip_iteratorINS7_INS6_11hip_rocprim26transform_input_iterator_tIbNSD_35transform_pair_of_input_iterators_tIbNS6_6detail15normal_iteratorINS6_10device_ptrIKiEEEESL_NS6_8equal_toIiEEEENSG_9not_fun_tINSD_8identityEEEEENSD_19counting_iterator_tIlEES8_S8_S8_S8_S8_S8_S8_S8_EEEEPS9_S9_NSD_9__find_if7functorIS9_EEEE10hipError_tPvRmT1_T2_T3_mT4_P12ihipStream_tbEUlT_E1_NS1_11comp_targetILNS1_3genE3ELNS1_11target_archE908ELNS1_3gpuE7ELNS1_3repE0EEENS1_30default_config_static_selectorELNS0_4arch9wavefront6targetE0EEEvS14_
; %bb.0:
	.section	.rodata,"a",@progbits
	.p2align	6, 0x0
	.amdhsa_kernel _ZN7rocprim17ROCPRIM_400000_NS6detail17trampoline_kernelINS0_14default_configENS1_22reduce_config_selectorIN6thrust23THRUST_200600_302600_NS5tupleIblNS6_9null_typeES8_S8_S8_S8_S8_S8_S8_EEEEZNS1_11reduce_implILb1ES3_NS6_12zip_iteratorINS7_INS6_11hip_rocprim26transform_input_iterator_tIbNSD_35transform_pair_of_input_iterators_tIbNS6_6detail15normal_iteratorINS6_10device_ptrIKiEEEESL_NS6_8equal_toIiEEEENSG_9not_fun_tINSD_8identityEEEEENSD_19counting_iterator_tIlEES8_S8_S8_S8_S8_S8_S8_S8_EEEEPS9_S9_NSD_9__find_if7functorIS9_EEEE10hipError_tPvRmT1_T2_T3_mT4_P12ihipStream_tbEUlT_E1_NS1_11comp_targetILNS1_3genE3ELNS1_11target_archE908ELNS1_3gpuE7ELNS1_3repE0EEENS1_30default_config_static_selectorELNS0_4arch9wavefront6targetE0EEEvS14_
		.amdhsa_group_segment_fixed_size 0
		.amdhsa_private_segment_fixed_size 0
		.amdhsa_kernarg_size 88
		.amdhsa_user_sgpr_count 6
		.amdhsa_user_sgpr_private_segment_buffer 1
		.amdhsa_user_sgpr_dispatch_ptr 0
		.amdhsa_user_sgpr_queue_ptr 0
		.amdhsa_user_sgpr_kernarg_segment_ptr 1
		.amdhsa_user_sgpr_dispatch_id 0
		.amdhsa_user_sgpr_flat_scratch_init 0
		.amdhsa_user_sgpr_private_segment_size 0
		.amdhsa_wavefront_size32 1
		.amdhsa_uses_dynamic_stack 0
		.amdhsa_system_sgpr_private_segment_wavefront_offset 0
		.amdhsa_system_sgpr_workgroup_id_x 1
		.amdhsa_system_sgpr_workgroup_id_y 0
		.amdhsa_system_sgpr_workgroup_id_z 0
		.amdhsa_system_sgpr_workgroup_info 0
		.amdhsa_system_vgpr_workitem_id 0
		.amdhsa_next_free_vgpr 1
		.amdhsa_next_free_sgpr 1
		.amdhsa_reserve_vcc 0
		.amdhsa_reserve_flat_scratch 0
		.amdhsa_float_round_mode_32 0
		.amdhsa_float_round_mode_16_64 0
		.amdhsa_float_denorm_mode_32 3
		.amdhsa_float_denorm_mode_16_64 3
		.amdhsa_dx10_clamp 1
		.amdhsa_ieee_mode 1
		.amdhsa_fp16_overflow 0
		.amdhsa_workgroup_processor_mode 1
		.amdhsa_memory_ordered 1
		.amdhsa_forward_progress 1
		.amdhsa_shared_vgpr_count 0
		.amdhsa_exception_fp_ieee_invalid_op 0
		.amdhsa_exception_fp_denorm_src 0
		.amdhsa_exception_fp_ieee_div_zero 0
		.amdhsa_exception_fp_ieee_overflow 0
		.amdhsa_exception_fp_ieee_underflow 0
		.amdhsa_exception_fp_ieee_inexact 0
		.amdhsa_exception_int_div_zero 0
	.end_amdhsa_kernel
	.section	.text._ZN7rocprim17ROCPRIM_400000_NS6detail17trampoline_kernelINS0_14default_configENS1_22reduce_config_selectorIN6thrust23THRUST_200600_302600_NS5tupleIblNS6_9null_typeES8_S8_S8_S8_S8_S8_S8_EEEEZNS1_11reduce_implILb1ES3_NS6_12zip_iteratorINS7_INS6_11hip_rocprim26transform_input_iterator_tIbNSD_35transform_pair_of_input_iterators_tIbNS6_6detail15normal_iteratorINS6_10device_ptrIKiEEEESL_NS6_8equal_toIiEEEENSG_9not_fun_tINSD_8identityEEEEENSD_19counting_iterator_tIlEES8_S8_S8_S8_S8_S8_S8_S8_EEEEPS9_S9_NSD_9__find_if7functorIS9_EEEE10hipError_tPvRmT1_T2_T3_mT4_P12ihipStream_tbEUlT_E1_NS1_11comp_targetILNS1_3genE3ELNS1_11target_archE908ELNS1_3gpuE7ELNS1_3repE0EEENS1_30default_config_static_selectorELNS0_4arch9wavefront6targetE0EEEvS14_,"axG",@progbits,_ZN7rocprim17ROCPRIM_400000_NS6detail17trampoline_kernelINS0_14default_configENS1_22reduce_config_selectorIN6thrust23THRUST_200600_302600_NS5tupleIblNS6_9null_typeES8_S8_S8_S8_S8_S8_S8_EEEEZNS1_11reduce_implILb1ES3_NS6_12zip_iteratorINS7_INS6_11hip_rocprim26transform_input_iterator_tIbNSD_35transform_pair_of_input_iterators_tIbNS6_6detail15normal_iteratorINS6_10device_ptrIKiEEEESL_NS6_8equal_toIiEEEENSG_9not_fun_tINSD_8identityEEEEENSD_19counting_iterator_tIlEES8_S8_S8_S8_S8_S8_S8_S8_EEEEPS9_S9_NSD_9__find_if7functorIS9_EEEE10hipError_tPvRmT1_T2_T3_mT4_P12ihipStream_tbEUlT_E1_NS1_11comp_targetILNS1_3genE3ELNS1_11target_archE908ELNS1_3gpuE7ELNS1_3repE0EEENS1_30default_config_static_selectorELNS0_4arch9wavefront6targetE0EEEvS14_,comdat
.Lfunc_end273:
	.size	_ZN7rocprim17ROCPRIM_400000_NS6detail17trampoline_kernelINS0_14default_configENS1_22reduce_config_selectorIN6thrust23THRUST_200600_302600_NS5tupleIblNS6_9null_typeES8_S8_S8_S8_S8_S8_S8_EEEEZNS1_11reduce_implILb1ES3_NS6_12zip_iteratorINS7_INS6_11hip_rocprim26transform_input_iterator_tIbNSD_35transform_pair_of_input_iterators_tIbNS6_6detail15normal_iteratorINS6_10device_ptrIKiEEEESL_NS6_8equal_toIiEEEENSG_9not_fun_tINSD_8identityEEEEENSD_19counting_iterator_tIlEES8_S8_S8_S8_S8_S8_S8_S8_EEEEPS9_S9_NSD_9__find_if7functorIS9_EEEE10hipError_tPvRmT1_T2_T3_mT4_P12ihipStream_tbEUlT_E1_NS1_11comp_targetILNS1_3genE3ELNS1_11target_archE908ELNS1_3gpuE7ELNS1_3repE0EEENS1_30default_config_static_selectorELNS0_4arch9wavefront6targetE0EEEvS14_, .Lfunc_end273-_ZN7rocprim17ROCPRIM_400000_NS6detail17trampoline_kernelINS0_14default_configENS1_22reduce_config_selectorIN6thrust23THRUST_200600_302600_NS5tupleIblNS6_9null_typeES8_S8_S8_S8_S8_S8_S8_EEEEZNS1_11reduce_implILb1ES3_NS6_12zip_iteratorINS7_INS6_11hip_rocprim26transform_input_iterator_tIbNSD_35transform_pair_of_input_iterators_tIbNS6_6detail15normal_iteratorINS6_10device_ptrIKiEEEESL_NS6_8equal_toIiEEEENSG_9not_fun_tINSD_8identityEEEEENSD_19counting_iterator_tIlEES8_S8_S8_S8_S8_S8_S8_S8_EEEEPS9_S9_NSD_9__find_if7functorIS9_EEEE10hipError_tPvRmT1_T2_T3_mT4_P12ihipStream_tbEUlT_E1_NS1_11comp_targetILNS1_3genE3ELNS1_11target_archE908ELNS1_3gpuE7ELNS1_3repE0EEENS1_30default_config_static_selectorELNS0_4arch9wavefront6targetE0EEEvS14_
                                        ; -- End function
	.set _ZN7rocprim17ROCPRIM_400000_NS6detail17trampoline_kernelINS0_14default_configENS1_22reduce_config_selectorIN6thrust23THRUST_200600_302600_NS5tupleIblNS6_9null_typeES8_S8_S8_S8_S8_S8_S8_EEEEZNS1_11reduce_implILb1ES3_NS6_12zip_iteratorINS7_INS6_11hip_rocprim26transform_input_iterator_tIbNSD_35transform_pair_of_input_iterators_tIbNS6_6detail15normal_iteratorINS6_10device_ptrIKiEEEESL_NS6_8equal_toIiEEEENSG_9not_fun_tINSD_8identityEEEEENSD_19counting_iterator_tIlEES8_S8_S8_S8_S8_S8_S8_S8_EEEEPS9_S9_NSD_9__find_if7functorIS9_EEEE10hipError_tPvRmT1_T2_T3_mT4_P12ihipStream_tbEUlT_E1_NS1_11comp_targetILNS1_3genE3ELNS1_11target_archE908ELNS1_3gpuE7ELNS1_3repE0EEENS1_30default_config_static_selectorELNS0_4arch9wavefront6targetE0EEEvS14_.num_vgpr, 0
	.set _ZN7rocprim17ROCPRIM_400000_NS6detail17trampoline_kernelINS0_14default_configENS1_22reduce_config_selectorIN6thrust23THRUST_200600_302600_NS5tupleIblNS6_9null_typeES8_S8_S8_S8_S8_S8_S8_EEEEZNS1_11reduce_implILb1ES3_NS6_12zip_iteratorINS7_INS6_11hip_rocprim26transform_input_iterator_tIbNSD_35transform_pair_of_input_iterators_tIbNS6_6detail15normal_iteratorINS6_10device_ptrIKiEEEESL_NS6_8equal_toIiEEEENSG_9not_fun_tINSD_8identityEEEEENSD_19counting_iterator_tIlEES8_S8_S8_S8_S8_S8_S8_S8_EEEEPS9_S9_NSD_9__find_if7functorIS9_EEEE10hipError_tPvRmT1_T2_T3_mT4_P12ihipStream_tbEUlT_E1_NS1_11comp_targetILNS1_3genE3ELNS1_11target_archE908ELNS1_3gpuE7ELNS1_3repE0EEENS1_30default_config_static_selectorELNS0_4arch9wavefront6targetE0EEEvS14_.num_agpr, 0
	.set _ZN7rocprim17ROCPRIM_400000_NS6detail17trampoline_kernelINS0_14default_configENS1_22reduce_config_selectorIN6thrust23THRUST_200600_302600_NS5tupleIblNS6_9null_typeES8_S8_S8_S8_S8_S8_S8_EEEEZNS1_11reduce_implILb1ES3_NS6_12zip_iteratorINS7_INS6_11hip_rocprim26transform_input_iterator_tIbNSD_35transform_pair_of_input_iterators_tIbNS6_6detail15normal_iteratorINS6_10device_ptrIKiEEEESL_NS6_8equal_toIiEEEENSG_9not_fun_tINSD_8identityEEEEENSD_19counting_iterator_tIlEES8_S8_S8_S8_S8_S8_S8_S8_EEEEPS9_S9_NSD_9__find_if7functorIS9_EEEE10hipError_tPvRmT1_T2_T3_mT4_P12ihipStream_tbEUlT_E1_NS1_11comp_targetILNS1_3genE3ELNS1_11target_archE908ELNS1_3gpuE7ELNS1_3repE0EEENS1_30default_config_static_selectorELNS0_4arch9wavefront6targetE0EEEvS14_.numbered_sgpr, 0
	.set _ZN7rocprim17ROCPRIM_400000_NS6detail17trampoline_kernelINS0_14default_configENS1_22reduce_config_selectorIN6thrust23THRUST_200600_302600_NS5tupleIblNS6_9null_typeES8_S8_S8_S8_S8_S8_S8_EEEEZNS1_11reduce_implILb1ES3_NS6_12zip_iteratorINS7_INS6_11hip_rocprim26transform_input_iterator_tIbNSD_35transform_pair_of_input_iterators_tIbNS6_6detail15normal_iteratorINS6_10device_ptrIKiEEEESL_NS6_8equal_toIiEEEENSG_9not_fun_tINSD_8identityEEEEENSD_19counting_iterator_tIlEES8_S8_S8_S8_S8_S8_S8_S8_EEEEPS9_S9_NSD_9__find_if7functorIS9_EEEE10hipError_tPvRmT1_T2_T3_mT4_P12ihipStream_tbEUlT_E1_NS1_11comp_targetILNS1_3genE3ELNS1_11target_archE908ELNS1_3gpuE7ELNS1_3repE0EEENS1_30default_config_static_selectorELNS0_4arch9wavefront6targetE0EEEvS14_.num_named_barrier, 0
	.set _ZN7rocprim17ROCPRIM_400000_NS6detail17trampoline_kernelINS0_14default_configENS1_22reduce_config_selectorIN6thrust23THRUST_200600_302600_NS5tupleIblNS6_9null_typeES8_S8_S8_S8_S8_S8_S8_EEEEZNS1_11reduce_implILb1ES3_NS6_12zip_iteratorINS7_INS6_11hip_rocprim26transform_input_iterator_tIbNSD_35transform_pair_of_input_iterators_tIbNS6_6detail15normal_iteratorINS6_10device_ptrIKiEEEESL_NS6_8equal_toIiEEEENSG_9not_fun_tINSD_8identityEEEEENSD_19counting_iterator_tIlEES8_S8_S8_S8_S8_S8_S8_S8_EEEEPS9_S9_NSD_9__find_if7functorIS9_EEEE10hipError_tPvRmT1_T2_T3_mT4_P12ihipStream_tbEUlT_E1_NS1_11comp_targetILNS1_3genE3ELNS1_11target_archE908ELNS1_3gpuE7ELNS1_3repE0EEENS1_30default_config_static_selectorELNS0_4arch9wavefront6targetE0EEEvS14_.private_seg_size, 0
	.set _ZN7rocprim17ROCPRIM_400000_NS6detail17trampoline_kernelINS0_14default_configENS1_22reduce_config_selectorIN6thrust23THRUST_200600_302600_NS5tupleIblNS6_9null_typeES8_S8_S8_S8_S8_S8_S8_EEEEZNS1_11reduce_implILb1ES3_NS6_12zip_iteratorINS7_INS6_11hip_rocprim26transform_input_iterator_tIbNSD_35transform_pair_of_input_iterators_tIbNS6_6detail15normal_iteratorINS6_10device_ptrIKiEEEESL_NS6_8equal_toIiEEEENSG_9not_fun_tINSD_8identityEEEEENSD_19counting_iterator_tIlEES8_S8_S8_S8_S8_S8_S8_S8_EEEEPS9_S9_NSD_9__find_if7functorIS9_EEEE10hipError_tPvRmT1_T2_T3_mT4_P12ihipStream_tbEUlT_E1_NS1_11comp_targetILNS1_3genE3ELNS1_11target_archE908ELNS1_3gpuE7ELNS1_3repE0EEENS1_30default_config_static_selectorELNS0_4arch9wavefront6targetE0EEEvS14_.uses_vcc, 0
	.set _ZN7rocprim17ROCPRIM_400000_NS6detail17trampoline_kernelINS0_14default_configENS1_22reduce_config_selectorIN6thrust23THRUST_200600_302600_NS5tupleIblNS6_9null_typeES8_S8_S8_S8_S8_S8_S8_EEEEZNS1_11reduce_implILb1ES3_NS6_12zip_iteratorINS7_INS6_11hip_rocprim26transform_input_iterator_tIbNSD_35transform_pair_of_input_iterators_tIbNS6_6detail15normal_iteratorINS6_10device_ptrIKiEEEESL_NS6_8equal_toIiEEEENSG_9not_fun_tINSD_8identityEEEEENSD_19counting_iterator_tIlEES8_S8_S8_S8_S8_S8_S8_S8_EEEEPS9_S9_NSD_9__find_if7functorIS9_EEEE10hipError_tPvRmT1_T2_T3_mT4_P12ihipStream_tbEUlT_E1_NS1_11comp_targetILNS1_3genE3ELNS1_11target_archE908ELNS1_3gpuE7ELNS1_3repE0EEENS1_30default_config_static_selectorELNS0_4arch9wavefront6targetE0EEEvS14_.uses_flat_scratch, 0
	.set _ZN7rocprim17ROCPRIM_400000_NS6detail17trampoline_kernelINS0_14default_configENS1_22reduce_config_selectorIN6thrust23THRUST_200600_302600_NS5tupleIblNS6_9null_typeES8_S8_S8_S8_S8_S8_S8_EEEEZNS1_11reduce_implILb1ES3_NS6_12zip_iteratorINS7_INS6_11hip_rocprim26transform_input_iterator_tIbNSD_35transform_pair_of_input_iterators_tIbNS6_6detail15normal_iteratorINS6_10device_ptrIKiEEEESL_NS6_8equal_toIiEEEENSG_9not_fun_tINSD_8identityEEEEENSD_19counting_iterator_tIlEES8_S8_S8_S8_S8_S8_S8_S8_EEEEPS9_S9_NSD_9__find_if7functorIS9_EEEE10hipError_tPvRmT1_T2_T3_mT4_P12ihipStream_tbEUlT_E1_NS1_11comp_targetILNS1_3genE3ELNS1_11target_archE908ELNS1_3gpuE7ELNS1_3repE0EEENS1_30default_config_static_selectorELNS0_4arch9wavefront6targetE0EEEvS14_.has_dyn_sized_stack, 0
	.set _ZN7rocprim17ROCPRIM_400000_NS6detail17trampoline_kernelINS0_14default_configENS1_22reduce_config_selectorIN6thrust23THRUST_200600_302600_NS5tupleIblNS6_9null_typeES8_S8_S8_S8_S8_S8_S8_EEEEZNS1_11reduce_implILb1ES3_NS6_12zip_iteratorINS7_INS6_11hip_rocprim26transform_input_iterator_tIbNSD_35transform_pair_of_input_iterators_tIbNS6_6detail15normal_iteratorINS6_10device_ptrIKiEEEESL_NS6_8equal_toIiEEEENSG_9not_fun_tINSD_8identityEEEEENSD_19counting_iterator_tIlEES8_S8_S8_S8_S8_S8_S8_S8_EEEEPS9_S9_NSD_9__find_if7functorIS9_EEEE10hipError_tPvRmT1_T2_T3_mT4_P12ihipStream_tbEUlT_E1_NS1_11comp_targetILNS1_3genE3ELNS1_11target_archE908ELNS1_3gpuE7ELNS1_3repE0EEENS1_30default_config_static_selectorELNS0_4arch9wavefront6targetE0EEEvS14_.has_recursion, 0
	.set _ZN7rocprim17ROCPRIM_400000_NS6detail17trampoline_kernelINS0_14default_configENS1_22reduce_config_selectorIN6thrust23THRUST_200600_302600_NS5tupleIblNS6_9null_typeES8_S8_S8_S8_S8_S8_S8_EEEEZNS1_11reduce_implILb1ES3_NS6_12zip_iteratorINS7_INS6_11hip_rocprim26transform_input_iterator_tIbNSD_35transform_pair_of_input_iterators_tIbNS6_6detail15normal_iteratorINS6_10device_ptrIKiEEEESL_NS6_8equal_toIiEEEENSG_9not_fun_tINSD_8identityEEEEENSD_19counting_iterator_tIlEES8_S8_S8_S8_S8_S8_S8_S8_EEEEPS9_S9_NSD_9__find_if7functorIS9_EEEE10hipError_tPvRmT1_T2_T3_mT4_P12ihipStream_tbEUlT_E1_NS1_11comp_targetILNS1_3genE3ELNS1_11target_archE908ELNS1_3gpuE7ELNS1_3repE0EEENS1_30default_config_static_selectorELNS0_4arch9wavefront6targetE0EEEvS14_.has_indirect_call, 0
	.section	.AMDGPU.csdata,"",@progbits
; Kernel info:
; codeLenInByte = 0
; TotalNumSgprs: 0
; NumVgprs: 0
; ScratchSize: 0
; MemoryBound: 0
; FloatMode: 240
; IeeeMode: 1
; LDSByteSize: 0 bytes/workgroup (compile time only)
; SGPRBlocks: 0
; VGPRBlocks: 0
; NumSGPRsForWavesPerEU: 1
; NumVGPRsForWavesPerEU: 1
; Occupancy: 16
; WaveLimiterHint : 0
; COMPUTE_PGM_RSRC2:SCRATCH_EN: 0
; COMPUTE_PGM_RSRC2:USER_SGPR: 6
; COMPUTE_PGM_RSRC2:TRAP_HANDLER: 0
; COMPUTE_PGM_RSRC2:TGID_X_EN: 1
; COMPUTE_PGM_RSRC2:TGID_Y_EN: 0
; COMPUTE_PGM_RSRC2:TGID_Z_EN: 0
; COMPUTE_PGM_RSRC2:TIDIG_COMP_CNT: 0
	.section	.text._ZN7rocprim17ROCPRIM_400000_NS6detail17trampoline_kernelINS0_14default_configENS1_22reduce_config_selectorIN6thrust23THRUST_200600_302600_NS5tupleIblNS6_9null_typeES8_S8_S8_S8_S8_S8_S8_EEEEZNS1_11reduce_implILb1ES3_NS6_12zip_iteratorINS7_INS6_11hip_rocprim26transform_input_iterator_tIbNSD_35transform_pair_of_input_iterators_tIbNS6_6detail15normal_iteratorINS6_10device_ptrIKiEEEESL_NS6_8equal_toIiEEEENSG_9not_fun_tINSD_8identityEEEEENSD_19counting_iterator_tIlEES8_S8_S8_S8_S8_S8_S8_S8_EEEEPS9_S9_NSD_9__find_if7functorIS9_EEEE10hipError_tPvRmT1_T2_T3_mT4_P12ihipStream_tbEUlT_E1_NS1_11comp_targetILNS1_3genE2ELNS1_11target_archE906ELNS1_3gpuE6ELNS1_3repE0EEENS1_30default_config_static_selectorELNS0_4arch9wavefront6targetE0EEEvS14_,"axG",@progbits,_ZN7rocprim17ROCPRIM_400000_NS6detail17trampoline_kernelINS0_14default_configENS1_22reduce_config_selectorIN6thrust23THRUST_200600_302600_NS5tupleIblNS6_9null_typeES8_S8_S8_S8_S8_S8_S8_EEEEZNS1_11reduce_implILb1ES3_NS6_12zip_iteratorINS7_INS6_11hip_rocprim26transform_input_iterator_tIbNSD_35transform_pair_of_input_iterators_tIbNS6_6detail15normal_iteratorINS6_10device_ptrIKiEEEESL_NS6_8equal_toIiEEEENSG_9not_fun_tINSD_8identityEEEEENSD_19counting_iterator_tIlEES8_S8_S8_S8_S8_S8_S8_S8_EEEEPS9_S9_NSD_9__find_if7functorIS9_EEEE10hipError_tPvRmT1_T2_T3_mT4_P12ihipStream_tbEUlT_E1_NS1_11comp_targetILNS1_3genE2ELNS1_11target_archE906ELNS1_3gpuE6ELNS1_3repE0EEENS1_30default_config_static_selectorELNS0_4arch9wavefront6targetE0EEEvS14_,comdat
	.protected	_ZN7rocprim17ROCPRIM_400000_NS6detail17trampoline_kernelINS0_14default_configENS1_22reduce_config_selectorIN6thrust23THRUST_200600_302600_NS5tupleIblNS6_9null_typeES8_S8_S8_S8_S8_S8_S8_EEEEZNS1_11reduce_implILb1ES3_NS6_12zip_iteratorINS7_INS6_11hip_rocprim26transform_input_iterator_tIbNSD_35transform_pair_of_input_iterators_tIbNS6_6detail15normal_iteratorINS6_10device_ptrIKiEEEESL_NS6_8equal_toIiEEEENSG_9not_fun_tINSD_8identityEEEEENSD_19counting_iterator_tIlEES8_S8_S8_S8_S8_S8_S8_S8_EEEEPS9_S9_NSD_9__find_if7functorIS9_EEEE10hipError_tPvRmT1_T2_T3_mT4_P12ihipStream_tbEUlT_E1_NS1_11comp_targetILNS1_3genE2ELNS1_11target_archE906ELNS1_3gpuE6ELNS1_3repE0EEENS1_30default_config_static_selectorELNS0_4arch9wavefront6targetE0EEEvS14_ ; -- Begin function _ZN7rocprim17ROCPRIM_400000_NS6detail17trampoline_kernelINS0_14default_configENS1_22reduce_config_selectorIN6thrust23THRUST_200600_302600_NS5tupleIblNS6_9null_typeES8_S8_S8_S8_S8_S8_S8_EEEEZNS1_11reduce_implILb1ES3_NS6_12zip_iteratorINS7_INS6_11hip_rocprim26transform_input_iterator_tIbNSD_35transform_pair_of_input_iterators_tIbNS6_6detail15normal_iteratorINS6_10device_ptrIKiEEEESL_NS6_8equal_toIiEEEENSG_9not_fun_tINSD_8identityEEEEENSD_19counting_iterator_tIlEES8_S8_S8_S8_S8_S8_S8_S8_EEEEPS9_S9_NSD_9__find_if7functorIS9_EEEE10hipError_tPvRmT1_T2_T3_mT4_P12ihipStream_tbEUlT_E1_NS1_11comp_targetILNS1_3genE2ELNS1_11target_archE906ELNS1_3gpuE6ELNS1_3repE0EEENS1_30default_config_static_selectorELNS0_4arch9wavefront6targetE0EEEvS14_
	.globl	_ZN7rocprim17ROCPRIM_400000_NS6detail17trampoline_kernelINS0_14default_configENS1_22reduce_config_selectorIN6thrust23THRUST_200600_302600_NS5tupleIblNS6_9null_typeES8_S8_S8_S8_S8_S8_S8_EEEEZNS1_11reduce_implILb1ES3_NS6_12zip_iteratorINS7_INS6_11hip_rocprim26transform_input_iterator_tIbNSD_35transform_pair_of_input_iterators_tIbNS6_6detail15normal_iteratorINS6_10device_ptrIKiEEEESL_NS6_8equal_toIiEEEENSG_9not_fun_tINSD_8identityEEEEENSD_19counting_iterator_tIlEES8_S8_S8_S8_S8_S8_S8_S8_EEEEPS9_S9_NSD_9__find_if7functorIS9_EEEE10hipError_tPvRmT1_T2_T3_mT4_P12ihipStream_tbEUlT_E1_NS1_11comp_targetILNS1_3genE2ELNS1_11target_archE906ELNS1_3gpuE6ELNS1_3repE0EEENS1_30default_config_static_selectorELNS0_4arch9wavefront6targetE0EEEvS14_
	.p2align	8
	.type	_ZN7rocprim17ROCPRIM_400000_NS6detail17trampoline_kernelINS0_14default_configENS1_22reduce_config_selectorIN6thrust23THRUST_200600_302600_NS5tupleIblNS6_9null_typeES8_S8_S8_S8_S8_S8_S8_EEEEZNS1_11reduce_implILb1ES3_NS6_12zip_iteratorINS7_INS6_11hip_rocprim26transform_input_iterator_tIbNSD_35transform_pair_of_input_iterators_tIbNS6_6detail15normal_iteratorINS6_10device_ptrIKiEEEESL_NS6_8equal_toIiEEEENSG_9not_fun_tINSD_8identityEEEEENSD_19counting_iterator_tIlEES8_S8_S8_S8_S8_S8_S8_S8_EEEEPS9_S9_NSD_9__find_if7functorIS9_EEEE10hipError_tPvRmT1_T2_T3_mT4_P12ihipStream_tbEUlT_E1_NS1_11comp_targetILNS1_3genE2ELNS1_11target_archE906ELNS1_3gpuE6ELNS1_3repE0EEENS1_30default_config_static_selectorELNS0_4arch9wavefront6targetE0EEEvS14_,@function
_ZN7rocprim17ROCPRIM_400000_NS6detail17trampoline_kernelINS0_14default_configENS1_22reduce_config_selectorIN6thrust23THRUST_200600_302600_NS5tupleIblNS6_9null_typeES8_S8_S8_S8_S8_S8_S8_EEEEZNS1_11reduce_implILb1ES3_NS6_12zip_iteratorINS7_INS6_11hip_rocprim26transform_input_iterator_tIbNSD_35transform_pair_of_input_iterators_tIbNS6_6detail15normal_iteratorINS6_10device_ptrIKiEEEESL_NS6_8equal_toIiEEEENSG_9not_fun_tINSD_8identityEEEEENSD_19counting_iterator_tIlEES8_S8_S8_S8_S8_S8_S8_S8_EEEEPS9_S9_NSD_9__find_if7functorIS9_EEEE10hipError_tPvRmT1_T2_T3_mT4_P12ihipStream_tbEUlT_E1_NS1_11comp_targetILNS1_3genE2ELNS1_11target_archE906ELNS1_3gpuE6ELNS1_3repE0EEENS1_30default_config_static_selectorELNS0_4arch9wavefront6targetE0EEEvS14_: ; @_ZN7rocprim17ROCPRIM_400000_NS6detail17trampoline_kernelINS0_14default_configENS1_22reduce_config_selectorIN6thrust23THRUST_200600_302600_NS5tupleIblNS6_9null_typeES8_S8_S8_S8_S8_S8_S8_EEEEZNS1_11reduce_implILb1ES3_NS6_12zip_iteratorINS7_INS6_11hip_rocprim26transform_input_iterator_tIbNSD_35transform_pair_of_input_iterators_tIbNS6_6detail15normal_iteratorINS6_10device_ptrIKiEEEESL_NS6_8equal_toIiEEEENSG_9not_fun_tINSD_8identityEEEEENSD_19counting_iterator_tIlEES8_S8_S8_S8_S8_S8_S8_S8_EEEEPS9_S9_NSD_9__find_if7functorIS9_EEEE10hipError_tPvRmT1_T2_T3_mT4_P12ihipStream_tbEUlT_E1_NS1_11comp_targetILNS1_3genE2ELNS1_11target_archE906ELNS1_3gpuE6ELNS1_3repE0EEENS1_30default_config_static_selectorELNS0_4arch9wavefront6targetE0EEEvS14_
; %bb.0:
	.section	.rodata,"a",@progbits
	.p2align	6, 0x0
	.amdhsa_kernel _ZN7rocprim17ROCPRIM_400000_NS6detail17trampoline_kernelINS0_14default_configENS1_22reduce_config_selectorIN6thrust23THRUST_200600_302600_NS5tupleIblNS6_9null_typeES8_S8_S8_S8_S8_S8_S8_EEEEZNS1_11reduce_implILb1ES3_NS6_12zip_iteratorINS7_INS6_11hip_rocprim26transform_input_iterator_tIbNSD_35transform_pair_of_input_iterators_tIbNS6_6detail15normal_iteratorINS6_10device_ptrIKiEEEESL_NS6_8equal_toIiEEEENSG_9not_fun_tINSD_8identityEEEEENSD_19counting_iterator_tIlEES8_S8_S8_S8_S8_S8_S8_S8_EEEEPS9_S9_NSD_9__find_if7functorIS9_EEEE10hipError_tPvRmT1_T2_T3_mT4_P12ihipStream_tbEUlT_E1_NS1_11comp_targetILNS1_3genE2ELNS1_11target_archE906ELNS1_3gpuE6ELNS1_3repE0EEENS1_30default_config_static_selectorELNS0_4arch9wavefront6targetE0EEEvS14_
		.amdhsa_group_segment_fixed_size 0
		.amdhsa_private_segment_fixed_size 0
		.amdhsa_kernarg_size 88
		.amdhsa_user_sgpr_count 6
		.amdhsa_user_sgpr_private_segment_buffer 1
		.amdhsa_user_sgpr_dispatch_ptr 0
		.amdhsa_user_sgpr_queue_ptr 0
		.amdhsa_user_sgpr_kernarg_segment_ptr 1
		.amdhsa_user_sgpr_dispatch_id 0
		.amdhsa_user_sgpr_flat_scratch_init 0
		.amdhsa_user_sgpr_private_segment_size 0
		.amdhsa_wavefront_size32 1
		.amdhsa_uses_dynamic_stack 0
		.amdhsa_system_sgpr_private_segment_wavefront_offset 0
		.amdhsa_system_sgpr_workgroup_id_x 1
		.amdhsa_system_sgpr_workgroup_id_y 0
		.amdhsa_system_sgpr_workgroup_id_z 0
		.amdhsa_system_sgpr_workgroup_info 0
		.amdhsa_system_vgpr_workitem_id 0
		.amdhsa_next_free_vgpr 1
		.amdhsa_next_free_sgpr 1
		.amdhsa_reserve_vcc 0
		.amdhsa_reserve_flat_scratch 0
		.amdhsa_float_round_mode_32 0
		.amdhsa_float_round_mode_16_64 0
		.amdhsa_float_denorm_mode_32 3
		.amdhsa_float_denorm_mode_16_64 3
		.amdhsa_dx10_clamp 1
		.amdhsa_ieee_mode 1
		.amdhsa_fp16_overflow 0
		.amdhsa_workgroup_processor_mode 1
		.amdhsa_memory_ordered 1
		.amdhsa_forward_progress 1
		.amdhsa_shared_vgpr_count 0
		.amdhsa_exception_fp_ieee_invalid_op 0
		.amdhsa_exception_fp_denorm_src 0
		.amdhsa_exception_fp_ieee_div_zero 0
		.amdhsa_exception_fp_ieee_overflow 0
		.amdhsa_exception_fp_ieee_underflow 0
		.amdhsa_exception_fp_ieee_inexact 0
		.amdhsa_exception_int_div_zero 0
	.end_amdhsa_kernel
	.section	.text._ZN7rocprim17ROCPRIM_400000_NS6detail17trampoline_kernelINS0_14default_configENS1_22reduce_config_selectorIN6thrust23THRUST_200600_302600_NS5tupleIblNS6_9null_typeES8_S8_S8_S8_S8_S8_S8_EEEEZNS1_11reduce_implILb1ES3_NS6_12zip_iteratorINS7_INS6_11hip_rocprim26transform_input_iterator_tIbNSD_35transform_pair_of_input_iterators_tIbNS6_6detail15normal_iteratorINS6_10device_ptrIKiEEEESL_NS6_8equal_toIiEEEENSG_9not_fun_tINSD_8identityEEEEENSD_19counting_iterator_tIlEES8_S8_S8_S8_S8_S8_S8_S8_EEEEPS9_S9_NSD_9__find_if7functorIS9_EEEE10hipError_tPvRmT1_T2_T3_mT4_P12ihipStream_tbEUlT_E1_NS1_11comp_targetILNS1_3genE2ELNS1_11target_archE906ELNS1_3gpuE6ELNS1_3repE0EEENS1_30default_config_static_selectorELNS0_4arch9wavefront6targetE0EEEvS14_,"axG",@progbits,_ZN7rocprim17ROCPRIM_400000_NS6detail17trampoline_kernelINS0_14default_configENS1_22reduce_config_selectorIN6thrust23THRUST_200600_302600_NS5tupleIblNS6_9null_typeES8_S8_S8_S8_S8_S8_S8_EEEEZNS1_11reduce_implILb1ES3_NS6_12zip_iteratorINS7_INS6_11hip_rocprim26transform_input_iterator_tIbNSD_35transform_pair_of_input_iterators_tIbNS6_6detail15normal_iteratorINS6_10device_ptrIKiEEEESL_NS6_8equal_toIiEEEENSG_9not_fun_tINSD_8identityEEEEENSD_19counting_iterator_tIlEES8_S8_S8_S8_S8_S8_S8_S8_EEEEPS9_S9_NSD_9__find_if7functorIS9_EEEE10hipError_tPvRmT1_T2_T3_mT4_P12ihipStream_tbEUlT_E1_NS1_11comp_targetILNS1_3genE2ELNS1_11target_archE906ELNS1_3gpuE6ELNS1_3repE0EEENS1_30default_config_static_selectorELNS0_4arch9wavefront6targetE0EEEvS14_,comdat
.Lfunc_end274:
	.size	_ZN7rocprim17ROCPRIM_400000_NS6detail17trampoline_kernelINS0_14default_configENS1_22reduce_config_selectorIN6thrust23THRUST_200600_302600_NS5tupleIblNS6_9null_typeES8_S8_S8_S8_S8_S8_S8_EEEEZNS1_11reduce_implILb1ES3_NS6_12zip_iteratorINS7_INS6_11hip_rocprim26transform_input_iterator_tIbNSD_35transform_pair_of_input_iterators_tIbNS6_6detail15normal_iteratorINS6_10device_ptrIKiEEEESL_NS6_8equal_toIiEEEENSG_9not_fun_tINSD_8identityEEEEENSD_19counting_iterator_tIlEES8_S8_S8_S8_S8_S8_S8_S8_EEEEPS9_S9_NSD_9__find_if7functorIS9_EEEE10hipError_tPvRmT1_T2_T3_mT4_P12ihipStream_tbEUlT_E1_NS1_11comp_targetILNS1_3genE2ELNS1_11target_archE906ELNS1_3gpuE6ELNS1_3repE0EEENS1_30default_config_static_selectorELNS0_4arch9wavefront6targetE0EEEvS14_, .Lfunc_end274-_ZN7rocprim17ROCPRIM_400000_NS6detail17trampoline_kernelINS0_14default_configENS1_22reduce_config_selectorIN6thrust23THRUST_200600_302600_NS5tupleIblNS6_9null_typeES8_S8_S8_S8_S8_S8_S8_EEEEZNS1_11reduce_implILb1ES3_NS6_12zip_iteratorINS7_INS6_11hip_rocprim26transform_input_iterator_tIbNSD_35transform_pair_of_input_iterators_tIbNS6_6detail15normal_iteratorINS6_10device_ptrIKiEEEESL_NS6_8equal_toIiEEEENSG_9not_fun_tINSD_8identityEEEEENSD_19counting_iterator_tIlEES8_S8_S8_S8_S8_S8_S8_S8_EEEEPS9_S9_NSD_9__find_if7functorIS9_EEEE10hipError_tPvRmT1_T2_T3_mT4_P12ihipStream_tbEUlT_E1_NS1_11comp_targetILNS1_3genE2ELNS1_11target_archE906ELNS1_3gpuE6ELNS1_3repE0EEENS1_30default_config_static_selectorELNS0_4arch9wavefront6targetE0EEEvS14_
                                        ; -- End function
	.set _ZN7rocprim17ROCPRIM_400000_NS6detail17trampoline_kernelINS0_14default_configENS1_22reduce_config_selectorIN6thrust23THRUST_200600_302600_NS5tupleIblNS6_9null_typeES8_S8_S8_S8_S8_S8_S8_EEEEZNS1_11reduce_implILb1ES3_NS6_12zip_iteratorINS7_INS6_11hip_rocprim26transform_input_iterator_tIbNSD_35transform_pair_of_input_iterators_tIbNS6_6detail15normal_iteratorINS6_10device_ptrIKiEEEESL_NS6_8equal_toIiEEEENSG_9not_fun_tINSD_8identityEEEEENSD_19counting_iterator_tIlEES8_S8_S8_S8_S8_S8_S8_S8_EEEEPS9_S9_NSD_9__find_if7functorIS9_EEEE10hipError_tPvRmT1_T2_T3_mT4_P12ihipStream_tbEUlT_E1_NS1_11comp_targetILNS1_3genE2ELNS1_11target_archE906ELNS1_3gpuE6ELNS1_3repE0EEENS1_30default_config_static_selectorELNS0_4arch9wavefront6targetE0EEEvS14_.num_vgpr, 0
	.set _ZN7rocprim17ROCPRIM_400000_NS6detail17trampoline_kernelINS0_14default_configENS1_22reduce_config_selectorIN6thrust23THRUST_200600_302600_NS5tupleIblNS6_9null_typeES8_S8_S8_S8_S8_S8_S8_EEEEZNS1_11reduce_implILb1ES3_NS6_12zip_iteratorINS7_INS6_11hip_rocprim26transform_input_iterator_tIbNSD_35transform_pair_of_input_iterators_tIbNS6_6detail15normal_iteratorINS6_10device_ptrIKiEEEESL_NS6_8equal_toIiEEEENSG_9not_fun_tINSD_8identityEEEEENSD_19counting_iterator_tIlEES8_S8_S8_S8_S8_S8_S8_S8_EEEEPS9_S9_NSD_9__find_if7functorIS9_EEEE10hipError_tPvRmT1_T2_T3_mT4_P12ihipStream_tbEUlT_E1_NS1_11comp_targetILNS1_3genE2ELNS1_11target_archE906ELNS1_3gpuE6ELNS1_3repE0EEENS1_30default_config_static_selectorELNS0_4arch9wavefront6targetE0EEEvS14_.num_agpr, 0
	.set _ZN7rocprim17ROCPRIM_400000_NS6detail17trampoline_kernelINS0_14default_configENS1_22reduce_config_selectorIN6thrust23THRUST_200600_302600_NS5tupleIblNS6_9null_typeES8_S8_S8_S8_S8_S8_S8_EEEEZNS1_11reduce_implILb1ES3_NS6_12zip_iteratorINS7_INS6_11hip_rocprim26transform_input_iterator_tIbNSD_35transform_pair_of_input_iterators_tIbNS6_6detail15normal_iteratorINS6_10device_ptrIKiEEEESL_NS6_8equal_toIiEEEENSG_9not_fun_tINSD_8identityEEEEENSD_19counting_iterator_tIlEES8_S8_S8_S8_S8_S8_S8_S8_EEEEPS9_S9_NSD_9__find_if7functorIS9_EEEE10hipError_tPvRmT1_T2_T3_mT4_P12ihipStream_tbEUlT_E1_NS1_11comp_targetILNS1_3genE2ELNS1_11target_archE906ELNS1_3gpuE6ELNS1_3repE0EEENS1_30default_config_static_selectorELNS0_4arch9wavefront6targetE0EEEvS14_.numbered_sgpr, 0
	.set _ZN7rocprim17ROCPRIM_400000_NS6detail17trampoline_kernelINS0_14default_configENS1_22reduce_config_selectorIN6thrust23THRUST_200600_302600_NS5tupleIblNS6_9null_typeES8_S8_S8_S8_S8_S8_S8_EEEEZNS1_11reduce_implILb1ES3_NS6_12zip_iteratorINS7_INS6_11hip_rocprim26transform_input_iterator_tIbNSD_35transform_pair_of_input_iterators_tIbNS6_6detail15normal_iteratorINS6_10device_ptrIKiEEEESL_NS6_8equal_toIiEEEENSG_9not_fun_tINSD_8identityEEEEENSD_19counting_iterator_tIlEES8_S8_S8_S8_S8_S8_S8_S8_EEEEPS9_S9_NSD_9__find_if7functorIS9_EEEE10hipError_tPvRmT1_T2_T3_mT4_P12ihipStream_tbEUlT_E1_NS1_11comp_targetILNS1_3genE2ELNS1_11target_archE906ELNS1_3gpuE6ELNS1_3repE0EEENS1_30default_config_static_selectorELNS0_4arch9wavefront6targetE0EEEvS14_.num_named_barrier, 0
	.set _ZN7rocprim17ROCPRIM_400000_NS6detail17trampoline_kernelINS0_14default_configENS1_22reduce_config_selectorIN6thrust23THRUST_200600_302600_NS5tupleIblNS6_9null_typeES8_S8_S8_S8_S8_S8_S8_EEEEZNS1_11reduce_implILb1ES3_NS6_12zip_iteratorINS7_INS6_11hip_rocprim26transform_input_iterator_tIbNSD_35transform_pair_of_input_iterators_tIbNS6_6detail15normal_iteratorINS6_10device_ptrIKiEEEESL_NS6_8equal_toIiEEEENSG_9not_fun_tINSD_8identityEEEEENSD_19counting_iterator_tIlEES8_S8_S8_S8_S8_S8_S8_S8_EEEEPS9_S9_NSD_9__find_if7functorIS9_EEEE10hipError_tPvRmT1_T2_T3_mT4_P12ihipStream_tbEUlT_E1_NS1_11comp_targetILNS1_3genE2ELNS1_11target_archE906ELNS1_3gpuE6ELNS1_3repE0EEENS1_30default_config_static_selectorELNS0_4arch9wavefront6targetE0EEEvS14_.private_seg_size, 0
	.set _ZN7rocprim17ROCPRIM_400000_NS6detail17trampoline_kernelINS0_14default_configENS1_22reduce_config_selectorIN6thrust23THRUST_200600_302600_NS5tupleIblNS6_9null_typeES8_S8_S8_S8_S8_S8_S8_EEEEZNS1_11reduce_implILb1ES3_NS6_12zip_iteratorINS7_INS6_11hip_rocprim26transform_input_iterator_tIbNSD_35transform_pair_of_input_iterators_tIbNS6_6detail15normal_iteratorINS6_10device_ptrIKiEEEESL_NS6_8equal_toIiEEEENSG_9not_fun_tINSD_8identityEEEEENSD_19counting_iterator_tIlEES8_S8_S8_S8_S8_S8_S8_S8_EEEEPS9_S9_NSD_9__find_if7functorIS9_EEEE10hipError_tPvRmT1_T2_T3_mT4_P12ihipStream_tbEUlT_E1_NS1_11comp_targetILNS1_3genE2ELNS1_11target_archE906ELNS1_3gpuE6ELNS1_3repE0EEENS1_30default_config_static_selectorELNS0_4arch9wavefront6targetE0EEEvS14_.uses_vcc, 0
	.set _ZN7rocprim17ROCPRIM_400000_NS6detail17trampoline_kernelINS0_14default_configENS1_22reduce_config_selectorIN6thrust23THRUST_200600_302600_NS5tupleIblNS6_9null_typeES8_S8_S8_S8_S8_S8_S8_EEEEZNS1_11reduce_implILb1ES3_NS6_12zip_iteratorINS7_INS6_11hip_rocprim26transform_input_iterator_tIbNSD_35transform_pair_of_input_iterators_tIbNS6_6detail15normal_iteratorINS6_10device_ptrIKiEEEESL_NS6_8equal_toIiEEEENSG_9not_fun_tINSD_8identityEEEEENSD_19counting_iterator_tIlEES8_S8_S8_S8_S8_S8_S8_S8_EEEEPS9_S9_NSD_9__find_if7functorIS9_EEEE10hipError_tPvRmT1_T2_T3_mT4_P12ihipStream_tbEUlT_E1_NS1_11comp_targetILNS1_3genE2ELNS1_11target_archE906ELNS1_3gpuE6ELNS1_3repE0EEENS1_30default_config_static_selectorELNS0_4arch9wavefront6targetE0EEEvS14_.uses_flat_scratch, 0
	.set _ZN7rocprim17ROCPRIM_400000_NS6detail17trampoline_kernelINS0_14default_configENS1_22reduce_config_selectorIN6thrust23THRUST_200600_302600_NS5tupleIblNS6_9null_typeES8_S8_S8_S8_S8_S8_S8_EEEEZNS1_11reduce_implILb1ES3_NS6_12zip_iteratorINS7_INS6_11hip_rocprim26transform_input_iterator_tIbNSD_35transform_pair_of_input_iterators_tIbNS6_6detail15normal_iteratorINS6_10device_ptrIKiEEEESL_NS6_8equal_toIiEEEENSG_9not_fun_tINSD_8identityEEEEENSD_19counting_iterator_tIlEES8_S8_S8_S8_S8_S8_S8_S8_EEEEPS9_S9_NSD_9__find_if7functorIS9_EEEE10hipError_tPvRmT1_T2_T3_mT4_P12ihipStream_tbEUlT_E1_NS1_11comp_targetILNS1_3genE2ELNS1_11target_archE906ELNS1_3gpuE6ELNS1_3repE0EEENS1_30default_config_static_selectorELNS0_4arch9wavefront6targetE0EEEvS14_.has_dyn_sized_stack, 0
	.set _ZN7rocprim17ROCPRIM_400000_NS6detail17trampoline_kernelINS0_14default_configENS1_22reduce_config_selectorIN6thrust23THRUST_200600_302600_NS5tupleIblNS6_9null_typeES8_S8_S8_S8_S8_S8_S8_EEEEZNS1_11reduce_implILb1ES3_NS6_12zip_iteratorINS7_INS6_11hip_rocprim26transform_input_iterator_tIbNSD_35transform_pair_of_input_iterators_tIbNS6_6detail15normal_iteratorINS6_10device_ptrIKiEEEESL_NS6_8equal_toIiEEEENSG_9not_fun_tINSD_8identityEEEEENSD_19counting_iterator_tIlEES8_S8_S8_S8_S8_S8_S8_S8_EEEEPS9_S9_NSD_9__find_if7functorIS9_EEEE10hipError_tPvRmT1_T2_T3_mT4_P12ihipStream_tbEUlT_E1_NS1_11comp_targetILNS1_3genE2ELNS1_11target_archE906ELNS1_3gpuE6ELNS1_3repE0EEENS1_30default_config_static_selectorELNS0_4arch9wavefront6targetE0EEEvS14_.has_recursion, 0
	.set _ZN7rocprim17ROCPRIM_400000_NS6detail17trampoline_kernelINS0_14default_configENS1_22reduce_config_selectorIN6thrust23THRUST_200600_302600_NS5tupleIblNS6_9null_typeES8_S8_S8_S8_S8_S8_S8_EEEEZNS1_11reduce_implILb1ES3_NS6_12zip_iteratorINS7_INS6_11hip_rocprim26transform_input_iterator_tIbNSD_35transform_pair_of_input_iterators_tIbNS6_6detail15normal_iteratorINS6_10device_ptrIKiEEEESL_NS6_8equal_toIiEEEENSG_9not_fun_tINSD_8identityEEEEENSD_19counting_iterator_tIlEES8_S8_S8_S8_S8_S8_S8_S8_EEEEPS9_S9_NSD_9__find_if7functorIS9_EEEE10hipError_tPvRmT1_T2_T3_mT4_P12ihipStream_tbEUlT_E1_NS1_11comp_targetILNS1_3genE2ELNS1_11target_archE906ELNS1_3gpuE6ELNS1_3repE0EEENS1_30default_config_static_selectorELNS0_4arch9wavefront6targetE0EEEvS14_.has_indirect_call, 0
	.section	.AMDGPU.csdata,"",@progbits
; Kernel info:
; codeLenInByte = 0
; TotalNumSgprs: 0
; NumVgprs: 0
; ScratchSize: 0
; MemoryBound: 0
; FloatMode: 240
; IeeeMode: 1
; LDSByteSize: 0 bytes/workgroup (compile time only)
; SGPRBlocks: 0
; VGPRBlocks: 0
; NumSGPRsForWavesPerEU: 1
; NumVGPRsForWavesPerEU: 1
; Occupancy: 16
; WaveLimiterHint : 0
; COMPUTE_PGM_RSRC2:SCRATCH_EN: 0
; COMPUTE_PGM_RSRC2:USER_SGPR: 6
; COMPUTE_PGM_RSRC2:TRAP_HANDLER: 0
; COMPUTE_PGM_RSRC2:TGID_X_EN: 1
; COMPUTE_PGM_RSRC2:TGID_Y_EN: 0
; COMPUTE_PGM_RSRC2:TGID_Z_EN: 0
; COMPUTE_PGM_RSRC2:TIDIG_COMP_CNT: 0
	.section	.text._ZN7rocprim17ROCPRIM_400000_NS6detail17trampoline_kernelINS0_14default_configENS1_22reduce_config_selectorIN6thrust23THRUST_200600_302600_NS5tupleIblNS6_9null_typeES8_S8_S8_S8_S8_S8_S8_EEEEZNS1_11reduce_implILb1ES3_NS6_12zip_iteratorINS7_INS6_11hip_rocprim26transform_input_iterator_tIbNSD_35transform_pair_of_input_iterators_tIbNS6_6detail15normal_iteratorINS6_10device_ptrIKiEEEESL_NS6_8equal_toIiEEEENSG_9not_fun_tINSD_8identityEEEEENSD_19counting_iterator_tIlEES8_S8_S8_S8_S8_S8_S8_S8_EEEEPS9_S9_NSD_9__find_if7functorIS9_EEEE10hipError_tPvRmT1_T2_T3_mT4_P12ihipStream_tbEUlT_E1_NS1_11comp_targetILNS1_3genE10ELNS1_11target_archE1201ELNS1_3gpuE5ELNS1_3repE0EEENS1_30default_config_static_selectorELNS0_4arch9wavefront6targetE0EEEvS14_,"axG",@progbits,_ZN7rocprim17ROCPRIM_400000_NS6detail17trampoline_kernelINS0_14default_configENS1_22reduce_config_selectorIN6thrust23THRUST_200600_302600_NS5tupleIblNS6_9null_typeES8_S8_S8_S8_S8_S8_S8_EEEEZNS1_11reduce_implILb1ES3_NS6_12zip_iteratorINS7_INS6_11hip_rocprim26transform_input_iterator_tIbNSD_35transform_pair_of_input_iterators_tIbNS6_6detail15normal_iteratorINS6_10device_ptrIKiEEEESL_NS6_8equal_toIiEEEENSG_9not_fun_tINSD_8identityEEEEENSD_19counting_iterator_tIlEES8_S8_S8_S8_S8_S8_S8_S8_EEEEPS9_S9_NSD_9__find_if7functorIS9_EEEE10hipError_tPvRmT1_T2_T3_mT4_P12ihipStream_tbEUlT_E1_NS1_11comp_targetILNS1_3genE10ELNS1_11target_archE1201ELNS1_3gpuE5ELNS1_3repE0EEENS1_30default_config_static_selectorELNS0_4arch9wavefront6targetE0EEEvS14_,comdat
	.protected	_ZN7rocprim17ROCPRIM_400000_NS6detail17trampoline_kernelINS0_14default_configENS1_22reduce_config_selectorIN6thrust23THRUST_200600_302600_NS5tupleIblNS6_9null_typeES8_S8_S8_S8_S8_S8_S8_EEEEZNS1_11reduce_implILb1ES3_NS6_12zip_iteratorINS7_INS6_11hip_rocprim26transform_input_iterator_tIbNSD_35transform_pair_of_input_iterators_tIbNS6_6detail15normal_iteratorINS6_10device_ptrIKiEEEESL_NS6_8equal_toIiEEEENSG_9not_fun_tINSD_8identityEEEEENSD_19counting_iterator_tIlEES8_S8_S8_S8_S8_S8_S8_S8_EEEEPS9_S9_NSD_9__find_if7functorIS9_EEEE10hipError_tPvRmT1_T2_T3_mT4_P12ihipStream_tbEUlT_E1_NS1_11comp_targetILNS1_3genE10ELNS1_11target_archE1201ELNS1_3gpuE5ELNS1_3repE0EEENS1_30default_config_static_selectorELNS0_4arch9wavefront6targetE0EEEvS14_ ; -- Begin function _ZN7rocprim17ROCPRIM_400000_NS6detail17trampoline_kernelINS0_14default_configENS1_22reduce_config_selectorIN6thrust23THRUST_200600_302600_NS5tupleIblNS6_9null_typeES8_S8_S8_S8_S8_S8_S8_EEEEZNS1_11reduce_implILb1ES3_NS6_12zip_iteratorINS7_INS6_11hip_rocprim26transform_input_iterator_tIbNSD_35transform_pair_of_input_iterators_tIbNS6_6detail15normal_iteratorINS6_10device_ptrIKiEEEESL_NS6_8equal_toIiEEEENSG_9not_fun_tINSD_8identityEEEEENSD_19counting_iterator_tIlEES8_S8_S8_S8_S8_S8_S8_S8_EEEEPS9_S9_NSD_9__find_if7functorIS9_EEEE10hipError_tPvRmT1_T2_T3_mT4_P12ihipStream_tbEUlT_E1_NS1_11comp_targetILNS1_3genE10ELNS1_11target_archE1201ELNS1_3gpuE5ELNS1_3repE0EEENS1_30default_config_static_selectorELNS0_4arch9wavefront6targetE0EEEvS14_
	.globl	_ZN7rocprim17ROCPRIM_400000_NS6detail17trampoline_kernelINS0_14default_configENS1_22reduce_config_selectorIN6thrust23THRUST_200600_302600_NS5tupleIblNS6_9null_typeES8_S8_S8_S8_S8_S8_S8_EEEEZNS1_11reduce_implILb1ES3_NS6_12zip_iteratorINS7_INS6_11hip_rocprim26transform_input_iterator_tIbNSD_35transform_pair_of_input_iterators_tIbNS6_6detail15normal_iteratorINS6_10device_ptrIKiEEEESL_NS6_8equal_toIiEEEENSG_9not_fun_tINSD_8identityEEEEENSD_19counting_iterator_tIlEES8_S8_S8_S8_S8_S8_S8_S8_EEEEPS9_S9_NSD_9__find_if7functorIS9_EEEE10hipError_tPvRmT1_T2_T3_mT4_P12ihipStream_tbEUlT_E1_NS1_11comp_targetILNS1_3genE10ELNS1_11target_archE1201ELNS1_3gpuE5ELNS1_3repE0EEENS1_30default_config_static_selectorELNS0_4arch9wavefront6targetE0EEEvS14_
	.p2align	8
	.type	_ZN7rocprim17ROCPRIM_400000_NS6detail17trampoline_kernelINS0_14default_configENS1_22reduce_config_selectorIN6thrust23THRUST_200600_302600_NS5tupleIblNS6_9null_typeES8_S8_S8_S8_S8_S8_S8_EEEEZNS1_11reduce_implILb1ES3_NS6_12zip_iteratorINS7_INS6_11hip_rocprim26transform_input_iterator_tIbNSD_35transform_pair_of_input_iterators_tIbNS6_6detail15normal_iteratorINS6_10device_ptrIKiEEEESL_NS6_8equal_toIiEEEENSG_9not_fun_tINSD_8identityEEEEENSD_19counting_iterator_tIlEES8_S8_S8_S8_S8_S8_S8_S8_EEEEPS9_S9_NSD_9__find_if7functorIS9_EEEE10hipError_tPvRmT1_T2_T3_mT4_P12ihipStream_tbEUlT_E1_NS1_11comp_targetILNS1_3genE10ELNS1_11target_archE1201ELNS1_3gpuE5ELNS1_3repE0EEENS1_30default_config_static_selectorELNS0_4arch9wavefront6targetE0EEEvS14_,@function
_ZN7rocprim17ROCPRIM_400000_NS6detail17trampoline_kernelINS0_14default_configENS1_22reduce_config_selectorIN6thrust23THRUST_200600_302600_NS5tupleIblNS6_9null_typeES8_S8_S8_S8_S8_S8_S8_EEEEZNS1_11reduce_implILb1ES3_NS6_12zip_iteratorINS7_INS6_11hip_rocprim26transform_input_iterator_tIbNSD_35transform_pair_of_input_iterators_tIbNS6_6detail15normal_iteratorINS6_10device_ptrIKiEEEESL_NS6_8equal_toIiEEEENSG_9not_fun_tINSD_8identityEEEEENSD_19counting_iterator_tIlEES8_S8_S8_S8_S8_S8_S8_S8_EEEEPS9_S9_NSD_9__find_if7functorIS9_EEEE10hipError_tPvRmT1_T2_T3_mT4_P12ihipStream_tbEUlT_E1_NS1_11comp_targetILNS1_3genE10ELNS1_11target_archE1201ELNS1_3gpuE5ELNS1_3repE0EEENS1_30default_config_static_selectorELNS0_4arch9wavefront6targetE0EEEvS14_: ; @_ZN7rocprim17ROCPRIM_400000_NS6detail17trampoline_kernelINS0_14default_configENS1_22reduce_config_selectorIN6thrust23THRUST_200600_302600_NS5tupleIblNS6_9null_typeES8_S8_S8_S8_S8_S8_S8_EEEEZNS1_11reduce_implILb1ES3_NS6_12zip_iteratorINS7_INS6_11hip_rocprim26transform_input_iterator_tIbNSD_35transform_pair_of_input_iterators_tIbNS6_6detail15normal_iteratorINS6_10device_ptrIKiEEEESL_NS6_8equal_toIiEEEENSG_9not_fun_tINSD_8identityEEEEENSD_19counting_iterator_tIlEES8_S8_S8_S8_S8_S8_S8_S8_EEEEPS9_S9_NSD_9__find_if7functorIS9_EEEE10hipError_tPvRmT1_T2_T3_mT4_P12ihipStream_tbEUlT_E1_NS1_11comp_targetILNS1_3genE10ELNS1_11target_archE1201ELNS1_3gpuE5ELNS1_3repE0EEENS1_30default_config_static_selectorELNS0_4arch9wavefront6targetE0EEEvS14_
; %bb.0:
	.section	.rodata,"a",@progbits
	.p2align	6, 0x0
	.amdhsa_kernel _ZN7rocprim17ROCPRIM_400000_NS6detail17trampoline_kernelINS0_14default_configENS1_22reduce_config_selectorIN6thrust23THRUST_200600_302600_NS5tupleIblNS6_9null_typeES8_S8_S8_S8_S8_S8_S8_EEEEZNS1_11reduce_implILb1ES3_NS6_12zip_iteratorINS7_INS6_11hip_rocprim26transform_input_iterator_tIbNSD_35transform_pair_of_input_iterators_tIbNS6_6detail15normal_iteratorINS6_10device_ptrIKiEEEESL_NS6_8equal_toIiEEEENSG_9not_fun_tINSD_8identityEEEEENSD_19counting_iterator_tIlEES8_S8_S8_S8_S8_S8_S8_S8_EEEEPS9_S9_NSD_9__find_if7functorIS9_EEEE10hipError_tPvRmT1_T2_T3_mT4_P12ihipStream_tbEUlT_E1_NS1_11comp_targetILNS1_3genE10ELNS1_11target_archE1201ELNS1_3gpuE5ELNS1_3repE0EEENS1_30default_config_static_selectorELNS0_4arch9wavefront6targetE0EEEvS14_
		.amdhsa_group_segment_fixed_size 0
		.amdhsa_private_segment_fixed_size 0
		.amdhsa_kernarg_size 88
		.amdhsa_user_sgpr_count 6
		.amdhsa_user_sgpr_private_segment_buffer 1
		.amdhsa_user_sgpr_dispatch_ptr 0
		.amdhsa_user_sgpr_queue_ptr 0
		.amdhsa_user_sgpr_kernarg_segment_ptr 1
		.amdhsa_user_sgpr_dispatch_id 0
		.amdhsa_user_sgpr_flat_scratch_init 0
		.amdhsa_user_sgpr_private_segment_size 0
		.amdhsa_wavefront_size32 1
		.amdhsa_uses_dynamic_stack 0
		.amdhsa_system_sgpr_private_segment_wavefront_offset 0
		.amdhsa_system_sgpr_workgroup_id_x 1
		.amdhsa_system_sgpr_workgroup_id_y 0
		.amdhsa_system_sgpr_workgroup_id_z 0
		.amdhsa_system_sgpr_workgroup_info 0
		.amdhsa_system_vgpr_workitem_id 0
		.amdhsa_next_free_vgpr 1
		.amdhsa_next_free_sgpr 1
		.amdhsa_reserve_vcc 0
		.amdhsa_reserve_flat_scratch 0
		.amdhsa_float_round_mode_32 0
		.amdhsa_float_round_mode_16_64 0
		.amdhsa_float_denorm_mode_32 3
		.amdhsa_float_denorm_mode_16_64 3
		.amdhsa_dx10_clamp 1
		.amdhsa_ieee_mode 1
		.amdhsa_fp16_overflow 0
		.amdhsa_workgroup_processor_mode 1
		.amdhsa_memory_ordered 1
		.amdhsa_forward_progress 1
		.amdhsa_shared_vgpr_count 0
		.amdhsa_exception_fp_ieee_invalid_op 0
		.amdhsa_exception_fp_denorm_src 0
		.amdhsa_exception_fp_ieee_div_zero 0
		.amdhsa_exception_fp_ieee_overflow 0
		.amdhsa_exception_fp_ieee_underflow 0
		.amdhsa_exception_fp_ieee_inexact 0
		.amdhsa_exception_int_div_zero 0
	.end_amdhsa_kernel
	.section	.text._ZN7rocprim17ROCPRIM_400000_NS6detail17trampoline_kernelINS0_14default_configENS1_22reduce_config_selectorIN6thrust23THRUST_200600_302600_NS5tupleIblNS6_9null_typeES8_S8_S8_S8_S8_S8_S8_EEEEZNS1_11reduce_implILb1ES3_NS6_12zip_iteratorINS7_INS6_11hip_rocprim26transform_input_iterator_tIbNSD_35transform_pair_of_input_iterators_tIbNS6_6detail15normal_iteratorINS6_10device_ptrIKiEEEESL_NS6_8equal_toIiEEEENSG_9not_fun_tINSD_8identityEEEEENSD_19counting_iterator_tIlEES8_S8_S8_S8_S8_S8_S8_S8_EEEEPS9_S9_NSD_9__find_if7functorIS9_EEEE10hipError_tPvRmT1_T2_T3_mT4_P12ihipStream_tbEUlT_E1_NS1_11comp_targetILNS1_3genE10ELNS1_11target_archE1201ELNS1_3gpuE5ELNS1_3repE0EEENS1_30default_config_static_selectorELNS0_4arch9wavefront6targetE0EEEvS14_,"axG",@progbits,_ZN7rocprim17ROCPRIM_400000_NS6detail17trampoline_kernelINS0_14default_configENS1_22reduce_config_selectorIN6thrust23THRUST_200600_302600_NS5tupleIblNS6_9null_typeES8_S8_S8_S8_S8_S8_S8_EEEEZNS1_11reduce_implILb1ES3_NS6_12zip_iteratorINS7_INS6_11hip_rocprim26transform_input_iterator_tIbNSD_35transform_pair_of_input_iterators_tIbNS6_6detail15normal_iteratorINS6_10device_ptrIKiEEEESL_NS6_8equal_toIiEEEENSG_9not_fun_tINSD_8identityEEEEENSD_19counting_iterator_tIlEES8_S8_S8_S8_S8_S8_S8_S8_EEEEPS9_S9_NSD_9__find_if7functorIS9_EEEE10hipError_tPvRmT1_T2_T3_mT4_P12ihipStream_tbEUlT_E1_NS1_11comp_targetILNS1_3genE10ELNS1_11target_archE1201ELNS1_3gpuE5ELNS1_3repE0EEENS1_30default_config_static_selectorELNS0_4arch9wavefront6targetE0EEEvS14_,comdat
.Lfunc_end275:
	.size	_ZN7rocprim17ROCPRIM_400000_NS6detail17trampoline_kernelINS0_14default_configENS1_22reduce_config_selectorIN6thrust23THRUST_200600_302600_NS5tupleIblNS6_9null_typeES8_S8_S8_S8_S8_S8_S8_EEEEZNS1_11reduce_implILb1ES3_NS6_12zip_iteratorINS7_INS6_11hip_rocprim26transform_input_iterator_tIbNSD_35transform_pair_of_input_iterators_tIbNS6_6detail15normal_iteratorINS6_10device_ptrIKiEEEESL_NS6_8equal_toIiEEEENSG_9not_fun_tINSD_8identityEEEEENSD_19counting_iterator_tIlEES8_S8_S8_S8_S8_S8_S8_S8_EEEEPS9_S9_NSD_9__find_if7functorIS9_EEEE10hipError_tPvRmT1_T2_T3_mT4_P12ihipStream_tbEUlT_E1_NS1_11comp_targetILNS1_3genE10ELNS1_11target_archE1201ELNS1_3gpuE5ELNS1_3repE0EEENS1_30default_config_static_selectorELNS0_4arch9wavefront6targetE0EEEvS14_, .Lfunc_end275-_ZN7rocprim17ROCPRIM_400000_NS6detail17trampoline_kernelINS0_14default_configENS1_22reduce_config_selectorIN6thrust23THRUST_200600_302600_NS5tupleIblNS6_9null_typeES8_S8_S8_S8_S8_S8_S8_EEEEZNS1_11reduce_implILb1ES3_NS6_12zip_iteratorINS7_INS6_11hip_rocprim26transform_input_iterator_tIbNSD_35transform_pair_of_input_iterators_tIbNS6_6detail15normal_iteratorINS6_10device_ptrIKiEEEESL_NS6_8equal_toIiEEEENSG_9not_fun_tINSD_8identityEEEEENSD_19counting_iterator_tIlEES8_S8_S8_S8_S8_S8_S8_S8_EEEEPS9_S9_NSD_9__find_if7functorIS9_EEEE10hipError_tPvRmT1_T2_T3_mT4_P12ihipStream_tbEUlT_E1_NS1_11comp_targetILNS1_3genE10ELNS1_11target_archE1201ELNS1_3gpuE5ELNS1_3repE0EEENS1_30default_config_static_selectorELNS0_4arch9wavefront6targetE0EEEvS14_
                                        ; -- End function
	.set _ZN7rocprim17ROCPRIM_400000_NS6detail17trampoline_kernelINS0_14default_configENS1_22reduce_config_selectorIN6thrust23THRUST_200600_302600_NS5tupleIblNS6_9null_typeES8_S8_S8_S8_S8_S8_S8_EEEEZNS1_11reduce_implILb1ES3_NS6_12zip_iteratorINS7_INS6_11hip_rocprim26transform_input_iterator_tIbNSD_35transform_pair_of_input_iterators_tIbNS6_6detail15normal_iteratorINS6_10device_ptrIKiEEEESL_NS6_8equal_toIiEEEENSG_9not_fun_tINSD_8identityEEEEENSD_19counting_iterator_tIlEES8_S8_S8_S8_S8_S8_S8_S8_EEEEPS9_S9_NSD_9__find_if7functorIS9_EEEE10hipError_tPvRmT1_T2_T3_mT4_P12ihipStream_tbEUlT_E1_NS1_11comp_targetILNS1_3genE10ELNS1_11target_archE1201ELNS1_3gpuE5ELNS1_3repE0EEENS1_30default_config_static_selectorELNS0_4arch9wavefront6targetE0EEEvS14_.num_vgpr, 0
	.set _ZN7rocprim17ROCPRIM_400000_NS6detail17trampoline_kernelINS0_14default_configENS1_22reduce_config_selectorIN6thrust23THRUST_200600_302600_NS5tupleIblNS6_9null_typeES8_S8_S8_S8_S8_S8_S8_EEEEZNS1_11reduce_implILb1ES3_NS6_12zip_iteratorINS7_INS6_11hip_rocprim26transform_input_iterator_tIbNSD_35transform_pair_of_input_iterators_tIbNS6_6detail15normal_iteratorINS6_10device_ptrIKiEEEESL_NS6_8equal_toIiEEEENSG_9not_fun_tINSD_8identityEEEEENSD_19counting_iterator_tIlEES8_S8_S8_S8_S8_S8_S8_S8_EEEEPS9_S9_NSD_9__find_if7functorIS9_EEEE10hipError_tPvRmT1_T2_T3_mT4_P12ihipStream_tbEUlT_E1_NS1_11comp_targetILNS1_3genE10ELNS1_11target_archE1201ELNS1_3gpuE5ELNS1_3repE0EEENS1_30default_config_static_selectorELNS0_4arch9wavefront6targetE0EEEvS14_.num_agpr, 0
	.set _ZN7rocprim17ROCPRIM_400000_NS6detail17trampoline_kernelINS0_14default_configENS1_22reduce_config_selectorIN6thrust23THRUST_200600_302600_NS5tupleIblNS6_9null_typeES8_S8_S8_S8_S8_S8_S8_EEEEZNS1_11reduce_implILb1ES3_NS6_12zip_iteratorINS7_INS6_11hip_rocprim26transform_input_iterator_tIbNSD_35transform_pair_of_input_iterators_tIbNS6_6detail15normal_iteratorINS6_10device_ptrIKiEEEESL_NS6_8equal_toIiEEEENSG_9not_fun_tINSD_8identityEEEEENSD_19counting_iterator_tIlEES8_S8_S8_S8_S8_S8_S8_S8_EEEEPS9_S9_NSD_9__find_if7functorIS9_EEEE10hipError_tPvRmT1_T2_T3_mT4_P12ihipStream_tbEUlT_E1_NS1_11comp_targetILNS1_3genE10ELNS1_11target_archE1201ELNS1_3gpuE5ELNS1_3repE0EEENS1_30default_config_static_selectorELNS0_4arch9wavefront6targetE0EEEvS14_.numbered_sgpr, 0
	.set _ZN7rocprim17ROCPRIM_400000_NS6detail17trampoline_kernelINS0_14default_configENS1_22reduce_config_selectorIN6thrust23THRUST_200600_302600_NS5tupleIblNS6_9null_typeES8_S8_S8_S8_S8_S8_S8_EEEEZNS1_11reduce_implILb1ES3_NS6_12zip_iteratorINS7_INS6_11hip_rocprim26transform_input_iterator_tIbNSD_35transform_pair_of_input_iterators_tIbNS6_6detail15normal_iteratorINS6_10device_ptrIKiEEEESL_NS6_8equal_toIiEEEENSG_9not_fun_tINSD_8identityEEEEENSD_19counting_iterator_tIlEES8_S8_S8_S8_S8_S8_S8_S8_EEEEPS9_S9_NSD_9__find_if7functorIS9_EEEE10hipError_tPvRmT1_T2_T3_mT4_P12ihipStream_tbEUlT_E1_NS1_11comp_targetILNS1_3genE10ELNS1_11target_archE1201ELNS1_3gpuE5ELNS1_3repE0EEENS1_30default_config_static_selectorELNS0_4arch9wavefront6targetE0EEEvS14_.num_named_barrier, 0
	.set _ZN7rocprim17ROCPRIM_400000_NS6detail17trampoline_kernelINS0_14default_configENS1_22reduce_config_selectorIN6thrust23THRUST_200600_302600_NS5tupleIblNS6_9null_typeES8_S8_S8_S8_S8_S8_S8_EEEEZNS1_11reduce_implILb1ES3_NS6_12zip_iteratorINS7_INS6_11hip_rocprim26transform_input_iterator_tIbNSD_35transform_pair_of_input_iterators_tIbNS6_6detail15normal_iteratorINS6_10device_ptrIKiEEEESL_NS6_8equal_toIiEEEENSG_9not_fun_tINSD_8identityEEEEENSD_19counting_iterator_tIlEES8_S8_S8_S8_S8_S8_S8_S8_EEEEPS9_S9_NSD_9__find_if7functorIS9_EEEE10hipError_tPvRmT1_T2_T3_mT4_P12ihipStream_tbEUlT_E1_NS1_11comp_targetILNS1_3genE10ELNS1_11target_archE1201ELNS1_3gpuE5ELNS1_3repE0EEENS1_30default_config_static_selectorELNS0_4arch9wavefront6targetE0EEEvS14_.private_seg_size, 0
	.set _ZN7rocprim17ROCPRIM_400000_NS6detail17trampoline_kernelINS0_14default_configENS1_22reduce_config_selectorIN6thrust23THRUST_200600_302600_NS5tupleIblNS6_9null_typeES8_S8_S8_S8_S8_S8_S8_EEEEZNS1_11reduce_implILb1ES3_NS6_12zip_iteratorINS7_INS6_11hip_rocprim26transform_input_iterator_tIbNSD_35transform_pair_of_input_iterators_tIbNS6_6detail15normal_iteratorINS6_10device_ptrIKiEEEESL_NS6_8equal_toIiEEEENSG_9not_fun_tINSD_8identityEEEEENSD_19counting_iterator_tIlEES8_S8_S8_S8_S8_S8_S8_S8_EEEEPS9_S9_NSD_9__find_if7functorIS9_EEEE10hipError_tPvRmT1_T2_T3_mT4_P12ihipStream_tbEUlT_E1_NS1_11comp_targetILNS1_3genE10ELNS1_11target_archE1201ELNS1_3gpuE5ELNS1_3repE0EEENS1_30default_config_static_selectorELNS0_4arch9wavefront6targetE0EEEvS14_.uses_vcc, 0
	.set _ZN7rocprim17ROCPRIM_400000_NS6detail17trampoline_kernelINS0_14default_configENS1_22reduce_config_selectorIN6thrust23THRUST_200600_302600_NS5tupleIblNS6_9null_typeES8_S8_S8_S8_S8_S8_S8_EEEEZNS1_11reduce_implILb1ES3_NS6_12zip_iteratorINS7_INS6_11hip_rocprim26transform_input_iterator_tIbNSD_35transform_pair_of_input_iterators_tIbNS6_6detail15normal_iteratorINS6_10device_ptrIKiEEEESL_NS6_8equal_toIiEEEENSG_9not_fun_tINSD_8identityEEEEENSD_19counting_iterator_tIlEES8_S8_S8_S8_S8_S8_S8_S8_EEEEPS9_S9_NSD_9__find_if7functorIS9_EEEE10hipError_tPvRmT1_T2_T3_mT4_P12ihipStream_tbEUlT_E1_NS1_11comp_targetILNS1_3genE10ELNS1_11target_archE1201ELNS1_3gpuE5ELNS1_3repE0EEENS1_30default_config_static_selectorELNS0_4arch9wavefront6targetE0EEEvS14_.uses_flat_scratch, 0
	.set _ZN7rocprim17ROCPRIM_400000_NS6detail17trampoline_kernelINS0_14default_configENS1_22reduce_config_selectorIN6thrust23THRUST_200600_302600_NS5tupleIblNS6_9null_typeES8_S8_S8_S8_S8_S8_S8_EEEEZNS1_11reduce_implILb1ES3_NS6_12zip_iteratorINS7_INS6_11hip_rocprim26transform_input_iterator_tIbNSD_35transform_pair_of_input_iterators_tIbNS6_6detail15normal_iteratorINS6_10device_ptrIKiEEEESL_NS6_8equal_toIiEEEENSG_9not_fun_tINSD_8identityEEEEENSD_19counting_iterator_tIlEES8_S8_S8_S8_S8_S8_S8_S8_EEEEPS9_S9_NSD_9__find_if7functorIS9_EEEE10hipError_tPvRmT1_T2_T3_mT4_P12ihipStream_tbEUlT_E1_NS1_11comp_targetILNS1_3genE10ELNS1_11target_archE1201ELNS1_3gpuE5ELNS1_3repE0EEENS1_30default_config_static_selectorELNS0_4arch9wavefront6targetE0EEEvS14_.has_dyn_sized_stack, 0
	.set _ZN7rocprim17ROCPRIM_400000_NS6detail17trampoline_kernelINS0_14default_configENS1_22reduce_config_selectorIN6thrust23THRUST_200600_302600_NS5tupleIblNS6_9null_typeES8_S8_S8_S8_S8_S8_S8_EEEEZNS1_11reduce_implILb1ES3_NS6_12zip_iteratorINS7_INS6_11hip_rocprim26transform_input_iterator_tIbNSD_35transform_pair_of_input_iterators_tIbNS6_6detail15normal_iteratorINS6_10device_ptrIKiEEEESL_NS6_8equal_toIiEEEENSG_9not_fun_tINSD_8identityEEEEENSD_19counting_iterator_tIlEES8_S8_S8_S8_S8_S8_S8_S8_EEEEPS9_S9_NSD_9__find_if7functorIS9_EEEE10hipError_tPvRmT1_T2_T3_mT4_P12ihipStream_tbEUlT_E1_NS1_11comp_targetILNS1_3genE10ELNS1_11target_archE1201ELNS1_3gpuE5ELNS1_3repE0EEENS1_30default_config_static_selectorELNS0_4arch9wavefront6targetE0EEEvS14_.has_recursion, 0
	.set _ZN7rocprim17ROCPRIM_400000_NS6detail17trampoline_kernelINS0_14default_configENS1_22reduce_config_selectorIN6thrust23THRUST_200600_302600_NS5tupleIblNS6_9null_typeES8_S8_S8_S8_S8_S8_S8_EEEEZNS1_11reduce_implILb1ES3_NS6_12zip_iteratorINS7_INS6_11hip_rocprim26transform_input_iterator_tIbNSD_35transform_pair_of_input_iterators_tIbNS6_6detail15normal_iteratorINS6_10device_ptrIKiEEEESL_NS6_8equal_toIiEEEENSG_9not_fun_tINSD_8identityEEEEENSD_19counting_iterator_tIlEES8_S8_S8_S8_S8_S8_S8_S8_EEEEPS9_S9_NSD_9__find_if7functorIS9_EEEE10hipError_tPvRmT1_T2_T3_mT4_P12ihipStream_tbEUlT_E1_NS1_11comp_targetILNS1_3genE10ELNS1_11target_archE1201ELNS1_3gpuE5ELNS1_3repE0EEENS1_30default_config_static_selectorELNS0_4arch9wavefront6targetE0EEEvS14_.has_indirect_call, 0
	.section	.AMDGPU.csdata,"",@progbits
; Kernel info:
; codeLenInByte = 0
; TotalNumSgprs: 0
; NumVgprs: 0
; ScratchSize: 0
; MemoryBound: 0
; FloatMode: 240
; IeeeMode: 1
; LDSByteSize: 0 bytes/workgroup (compile time only)
; SGPRBlocks: 0
; VGPRBlocks: 0
; NumSGPRsForWavesPerEU: 1
; NumVGPRsForWavesPerEU: 1
; Occupancy: 16
; WaveLimiterHint : 0
; COMPUTE_PGM_RSRC2:SCRATCH_EN: 0
; COMPUTE_PGM_RSRC2:USER_SGPR: 6
; COMPUTE_PGM_RSRC2:TRAP_HANDLER: 0
; COMPUTE_PGM_RSRC2:TGID_X_EN: 1
; COMPUTE_PGM_RSRC2:TGID_Y_EN: 0
; COMPUTE_PGM_RSRC2:TGID_Z_EN: 0
; COMPUTE_PGM_RSRC2:TIDIG_COMP_CNT: 0
	.section	.text._ZN7rocprim17ROCPRIM_400000_NS6detail17trampoline_kernelINS0_14default_configENS1_22reduce_config_selectorIN6thrust23THRUST_200600_302600_NS5tupleIblNS6_9null_typeES8_S8_S8_S8_S8_S8_S8_EEEEZNS1_11reduce_implILb1ES3_NS6_12zip_iteratorINS7_INS6_11hip_rocprim26transform_input_iterator_tIbNSD_35transform_pair_of_input_iterators_tIbNS6_6detail15normal_iteratorINS6_10device_ptrIKiEEEESL_NS6_8equal_toIiEEEENSG_9not_fun_tINSD_8identityEEEEENSD_19counting_iterator_tIlEES8_S8_S8_S8_S8_S8_S8_S8_EEEEPS9_S9_NSD_9__find_if7functorIS9_EEEE10hipError_tPvRmT1_T2_T3_mT4_P12ihipStream_tbEUlT_E1_NS1_11comp_targetILNS1_3genE10ELNS1_11target_archE1200ELNS1_3gpuE4ELNS1_3repE0EEENS1_30default_config_static_selectorELNS0_4arch9wavefront6targetE0EEEvS14_,"axG",@progbits,_ZN7rocprim17ROCPRIM_400000_NS6detail17trampoline_kernelINS0_14default_configENS1_22reduce_config_selectorIN6thrust23THRUST_200600_302600_NS5tupleIblNS6_9null_typeES8_S8_S8_S8_S8_S8_S8_EEEEZNS1_11reduce_implILb1ES3_NS6_12zip_iteratorINS7_INS6_11hip_rocprim26transform_input_iterator_tIbNSD_35transform_pair_of_input_iterators_tIbNS6_6detail15normal_iteratorINS6_10device_ptrIKiEEEESL_NS6_8equal_toIiEEEENSG_9not_fun_tINSD_8identityEEEEENSD_19counting_iterator_tIlEES8_S8_S8_S8_S8_S8_S8_S8_EEEEPS9_S9_NSD_9__find_if7functorIS9_EEEE10hipError_tPvRmT1_T2_T3_mT4_P12ihipStream_tbEUlT_E1_NS1_11comp_targetILNS1_3genE10ELNS1_11target_archE1200ELNS1_3gpuE4ELNS1_3repE0EEENS1_30default_config_static_selectorELNS0_4arch9wavefront6targetE0EEEvS14_,comdat
	.protected	_ZN7rocprim17ROCPRIM_400000_NS6detail17trampoline_kernelINS0_14default_configENS1_22reduce_config_selectorIN6thrust23THRUST_200600_302600_NS5tupleIblNS6_9null_typeES8_S8_S8_S8_S8_S8_S8_EEEEZNS1_11reduce_implILb1ES3_NS6_12zip_iteratorINS7_INS6_11hip_rocprim26transform_input_iterator_tIbNSD_35transform_pair_of_input_iterators_tIbNS6_6detail15normal_iteratorINS6_10device_ptrIKiEEEESL_NS6_8equal_toIiEEEENSG_9not_fun_tINSD_8identityEEEEENSD_19counting_iterator_tIlEES8_S8_S8_S8_S8_S8_S8_S8_EEEEPS9_S9_NSD_9__find_if7functorIS9_EEEE10hipError_tPvRmT1_T2_T3_mT4_P12ihipStream_tbEUlT_E1_NS1_11comp_targetILNS1_3genE10ELNS1_11target_archE1200ELNS1_3gpuE4ELNS1_3repE0EEENS1_30default_config_static_selectorELNS0_4arch9wavefront6targetE0EEEvS14_ ; -- Begin function _ZN7rocprim17ROCPRIM_400000_NS6detail17trampoline_kernelINS0_14default_configENS1_22reduce_config_selectorIN6thrust23THRUST_200600_302600_NS5tupleIblNS6_9null_typeES8_S8_S8_S8_S8_S8_S8_EEEEZNS1_11reduce_implILb1ES3_NS6_12zip_iteratorINS7_INS6_11hip_rocprim26transform_input_iterator_tIbNSD_35transform_pair_of_input_iterators_tIbNS6_6detail15normal_iteratorINS6_10device_ptrIKiEEEESL_NS6_8equal_toIiEEEENSG_9not_fun_tINSD_8identityEEEEENSD_19counting_iterator_tIlEES8_S8_S8_S8_S8_S8_S8_S8_EEEEPS9_S9_NSD_9__find_if7functorIS9_EEEE10hipError_tPvRmT1_T2_T3_mT4_P12ihipStream_tbEUlT_E1_NS1_11comp_targetILNS1_3genE10ELNS1_11target_archE1200ELNS1_3gpuE4ELNS1_3repE0EEENS1_30default_config_static_selectorELNS0_4arch9wavefront6targetE0EEEvS14_
	.globl	_ZN7rocprim17ROCPRIM_400000_NS6detail17trampoline_kernelINS0_14default_configENS1_22reduce_config_selectorIN6thrust23THRUST_200600_302600_NS5tupleIblNS6_9null_typeES8_S8_S8_S8_S8_S8_S8_EEEEZNS1_11reduce_implILb1ES3_NS6_12zip_iteratorINS7_INS6_11hip_rocprim26transform_input_iterator_tIbNSD_35transform_pair_of_input_iterators_tIbNS6_6detail15normal_iteratorINS6_10device_ptrIKiEEEESL_NS6_8equal_toIiEEEENSG_9not_fun_tINSD_8identityEEEEENSD_19counting_iterator_tIlEES8_S8_S8_S8_S8_S8_S8_S8_EEEEPS9_S9_NSD_9__find_if7functorIS9_EEEE10hipError_tPvRmT1_T2_T3_mT4_P12ihipStream_tbEUlT_E1_NS1_11comp_targetILNS1_3genE10ELNS1_11target_archE1200ELNS1_3gpuE4ELNS1_3repE0EEENS1_30default_config_static_selectorELNS0_4arch9wavefront6targetE0EEEvS14_
	.p2align	8
	.type	_ZN7rocprim17ROCPRIM_400000_NS6detail17trampoline_kernelINS0_14default_configENS1_22reduce_config_selectorIN6thrust23THRUST_200600_302600_NS5tupleIblNS6_9null_typeES8_S8_S8_S8_S8_S8_S8_EEEEZNS1_11reduce_implILb1ES3_NS6_12zip_iteratorINS7_INS6_11hip_rocprim26transform_input_iterator_tIbNSD_35transform_pair_of_input_iterators_tIbNS6_6detail15normal_iteratorINS6_10device_ptrIKiEEEESL_NS6_8equal_toIiEEEENSG_9not_fun_tINSD_8identityEEEEENSD_19counting_iterator_tIlEES8_S8_S8_S8_S8_S8_S8_S8_EEEEPS9_S9_NSD_9__find_if7functorIS9_EEEE10hipError_tPvRmT1_T2_T3_mT4_P12ihipStream_tbEUlT_E1_NS1_11comp_targetILNS1_3genE10ELNS1_11target_archE1200ELNS1_3gpuE4ELNS1_3repE0EEENS1_30default_config_static_selectorELNS0_4arch9wavefront6targetE0EEEvS14_,@function
_ZN7rocprim17ROCPRIM_400000_NS6detail17trampoline_kernelINS0_14default_configENS1_22reduce_config_selectorIN6thrust23THRUST_200600_302600_NS5tupleIblNS6_9null_typeES8_S8_S8_S8_S8_S8_S8_EEEEZNS1_11reduce_implILb1ES3_NS6_12zip_iteratorINS7_INS6_11hip_rocprim26transform_input_iterator_tIbNSD_35transform_pair_of_input_iterators_tIbNS6_6detail15normal_iteratorINS6_10device_ptrIKiEEEESL_NS6_8equal_toIiEEEENSG_9not_fun_tINSD_8identityEEEEENSD_19counting_iterator_tIlEES8_S8_S8_S8_S8_S8_S8_S8_EEEEPS9_S9_NSD_9__find_if7functorIS9_EEEE10hipError_tPvRmT1_T2_T3_mT4_P12ihipStream_tbEUlT_E1_NS1_11comp_targetILNS1_3genE10ELNS1_11target_archE1200ELNS1_3gpuE4ELNS1_3repE0EEENS1_30default_config_static_selectorELNS0_4arch9wavefront6targetE0EEEvS14_: ; @_ZN7rocprim17ROCPRIM_400000_NS6detail17trampoline_kernelINS0_14default_configENS1_22reduce_config_selectorIN6thrust23THRUST_200600_302600_NS5tupleIblNS6_9null_typeES8_S8_S8_S8_S8_S8_S8_EEEEZNS1_11reduce_implILb1ES3_NS6_12zip_iteratorINS7_INS6_11hip_rocprim26transform_input_iterator_tIbNSD_35transform_pair_of_input_iterators_tIbNS6_6detail15normal_iteratorINS6_10device_ptrIKiEEEESL_NS6_8equal_toIiEEEENSG_9not_fun_tINSD_8identityEEEEENSD_19counting_iterator_tIlEES8_S8_S8_S8_S8_S8_S8_S8_EEEEPS9_S9_NSD_9__find_if7functorIS9_EEEE10hipError_tPvRmT1_T2_T3_mT4_P12ihipStream_tbEUlT_E1_NS1_11comp_targetILNS1_3genE10ELNS1_11target_archE1200ELNS1_3gpuE4ELNS1_3repE0EEENS1_30default_config_static_selectorELNS0_4arch9wavefront6targetE0EEEvS14_
; %bb.0:
	.section	.rodata,"a",@progbits
	.p2align	6, 0x0
	.amdhsa_kernel _ZN7rocprim17ROCPRIM_400000_NS6detail17trampoline_kernelINS0_14default_configENS1_22reduce_config_selectorIN6thrust23THRUST_200600_302600_NS5tupleIblNS6_9null_typeES8_S8_S8_S8_S8_S8_S8_EEEEZNS1_11reduce_implILb1ES3_NS6_12zip_iteratorINS7_INS6_11hip_rocprim26transform_input_iterator_tIbNSD_35transform_pair_of_input_iterators_tIbNS6_6detail15normal_iteratorINS6_10device_ptrIKiEEEESL_NS6_8equal_toIiEEEENSG_9not_fun_tINSD_8identityEEEEENSD_19counting_iterator_tIlEES8_S8_S8_S8_S8_S8_S8_S8_EEEEPS9_S9_NSD_9__find_if7functorIS9_EEEE10hipError_tPvRmT1_T2_T3_mT4_P12ihipStream_tbEUlT_E1_NS1_11comp_targetILNS1_3genE10ELNS1_11target_archE1200ELNS1_3gpuE4ELNS1_3repE0EEENS1_30default_config_static_selectorELNS0_4arch9wavefront6targetE0EEEvS14_
		.amdhsa_group_segment_fixed_size 0
		.amdhsa_private_segment_fixed_size 0
		.amdhsa_kernarg_size 88
		.amdhsa_user_sgpr_count 6
		.amdhsa_user_sgpr_private_segment_buffer 1
		.amdhsa_user_sgpr_dispatch_ptr 0
		.amdhsa_user_sgpr_queue_ptr 0
		.amdhsa_user_sgpr_kernarg_segment_ptr 1
		.amdhsa_user_sgpr_dispatch_id 0
		.amdhsa_user_sgpr_flat_scratch_init 0
		.amdhsa_user_sgpr_private_segment_size 0
		.amdhsa_wavefront_size32 1
		.amdhsa_uses_dynamic_stack 0
		.amdhsa_system_sgpr_private_segment_wavefront_offset 0
		.amdhsa_system_sgpr_workgroup_id_x 1
		.amdhsa_system_sgpr_workgroup_id_y 0
		.amdhsa_system_sgpr_workgroup_id_z 0
		.amdhsa_system_sgpr_workgroup_info 0
		.amdhsa_system_vgpr_workitem_id 0
		.amdhsa_next_free_vgpr 1
		.amdhsa_next_free_sgpr 1
		.amdhsa_reserve_vcc 0
		.amdhsa_reserve_flat_scratch 0
		.amdhsa_float_round_mode_32 0
		.amdhsa_float_round_mode_16_64 0
		.amdhsa_float_denorm_mode_32 3
		.amdhsa_float_denorm_mode_16_64 3
		.amdhsa_dx10_clamp 1
		.amdhsa_ieee_mode 1
		.amdhsa_fp16_overflow 0
		.amdhsa_workgroup_processor_mode 1
		.amdhsa_memory_ordered 1
		.amdhsa_forward_progress 1
		.amdhsa_shared_vgpr_count 0
		.amdhsa_exception_fp_ieee_invalid_op 0
		.amdhsa_exception_fp_denorm_src 0
		.amdhsa_exception_fp_ieee_div_zero 0
		.amdhsa_exception_fp_ieee_overflow 0
		.amdhsa_exception_fp_ieee_underflow 0
		.amdhsa_exception_fp_ieee_inexact 0
		.amdhsa_exception_int_div_zero 0
	.end_amdhsa_kernel
	.section	.text._ZN7rocprim17ROCPRIM_400000_NS6detail17trampoline_kernelINS0_14default_configENS1_22reduce_config_selectorIN6thrust23THRUST_200600_302600_NS5tupleIblNS6_9null_typeES8_S8_S8_S8_S8_S8_S8_EEEEZNS1_11reduce_implILb1ES3_NS6_12zip_iteratorINS7_INS6_11hip_rocprim26transform_input_iterator_tIbNSD_35transform_pair_of_input_iterators_tIbNS6_6detail15normal_iteratorINS6_10device_ptrIKiEEEESL_NS6_8equal_toIiEEEENSG_9not_fun_tINSD_8identityEEEEENSD_19counting_iterator_tIlEES8_S8_S8_S8_S8_S8_S8_S8_EEEEPS9_S9_NSD_9__find_if7functorIS9_EEEE10hipError_tPvRmT1_T2_T3_mT4_P12ihipStream_tbEUlT_E1_NS1_11comp_targetILNS1_3genE10ELNS1_11target_archE1200ELNS1_3gpuE4ELNS1_3repE0EEENS1_30default_config_static_selectorELNS0_4arch9wavefront6targetE0EEEvS14_,"axG",@progbits,_ZN7rocprim17ROCPRIM_400000_NS6detail17trampoline_kernelINS0_14default_configENS1_22reduce_config_selectorIN6thrust23THRUST_200600_302600_NS5tupleIblNS6_9null_typeES8_S8_S8_S8_S8_S8_S8_EEEEZNS1_11reduce_implILb1ES3_NS6_12zip_iteratorINS7_INS6_11hip_rocprim26transform_input_iterator_tIbNSD_35transform_pair_of_input_iterators_tIbNS6_6detail15normal_iteratorINS6_10device_ptrIKiEEEESL_NS6_8equal_toIiEEEENSG_9not_fun_tINSD_8identityEEEEENSD_19counting_iterator_tIlEES8_S8_S8_S8_S8_S8_S8_S8_EEEEPS9_S9_NSD_9__find_if7functorIS9_EEEE10hipError_tPvRmT1_T2_T3_mT4_P12ihipStream_tbEUlT_E1_NS1_11comp_targetILNS1_3genE10ELNS1_11target_archE1200ELNS1_3gpuE4ELNS1_3repE0EEENS1_30default_config_static_selectorELNS0_4arch9wavefront6targetE0EEEvS14_,comdat
.Lfunc_end276:
	.size	_ZN7rocprim17ROCPRIM_400000_NS6detail17trampoline_kernelINS0_14default_configENS1_22reduce_config_selectorIN6thrust23THRUST_200600_302600_NS5tupleIblNS6_9null_typeES8_S8_S8_S8_S8_S8_S8_EEEEZNS1_11reduce_implILb1ES3_NS6_12zip_iteratorINS7_INS6_11hip_rocprim26transform_input_iterator_tIbNSD_35transform_pair_of_input_iterators_tIbNS6_6detail15normal_iteratorINS6_10device_ptrIKiEEEESL_NS6_8equal_toIiEEEENSG_9not_fun_tINSD_8identityEEEEENSD_19counting_iterator_tIlEES8_S8_S8_S8_S8_S8_S8_S8_EEEEPS9_S9_NSD_9__find_if7functorIS9_EEEE10hipError_tPvRmT1_T2_T3_mT4_P12ihipStream_tbEUlT_E1_NS1_11comp_targetILNS1_3genE10ELNS1_11target_archE1200ELNS1_3gpuE4ELNS1_3repE0EEENS1_30default_config_static_selectorELNS0_4arch9wavefront6targetE0EEEvS14_, .Lfunc_end276-_ZN7rocprim17ROCPRIM_400000_NS6detail17trampoline_kernelINS0_14default_configENS1_22reduce_config_selectorIN6thrust23THRUST_200600_302600_NS5tupleIblNS6_9null_typeES8_S8_S8_S8_S8_S8_S8_EEEEZNS1_11reduce_implILb1ES3_NS6_12zip_iteratorINS7_INS6_11hip_rocprim26transform_input_iterator_tIbNSD_35transform_pair_of_input_iterators_tIbNS6_6detail15normal_iteratorINS6_10device_ptrIKiEEEESL_NS6_8equal_toIiEEEENSG_9not_fun_tINSD_8identityEEEEENSD_19counting_iterator_tIlEES8_S8_S8_S8_S8_S8_S8_S8_EEEEPS9_S9_NSD_9__find_if7functorIS9_EEEE10hipError_tPvRmT1_T2_T3_mT4_P12ihipStream_tbEUlT_E1_NS1_11comp_targetILNS1_3genE10ELNS1_11target_archE1200ELNS1_3gpuE4ELNS1_3repE0EEENS1_30default_config_static_selectorELNS0_4arch9wavefront6targetE0EEEvS14_
                                        ; -- End function
	.set _ZN7rocprim17ROCPRIM_400000_NS6detail17trampoline_kernelINS0_14default_configENS1_22reduce_config_selectorIN6thrust23THRUST_200600_302600_NS5tupleIblNS6_9null_typeES8_S8_S8_S8_S8_S8_S8_EEEEZNS1_11reduce_implILb1ES3_NS6_12zip_iteratorINS7_INS6_11hip_rocprim26transform_input_iterator_tIbNSD_35transform_pair_of_input_iterators_tIbNS6_6detail15normal_iteratorINS6_10device_ptrIKiEEEESL_NS6_8equal_toIiEEEENSG_9not_fun_tINSD_8identityEEEEENSD_19counting_iterator_tIlEES8_S8_S8_S8_S8_S8_S8_S8_EEEEPS9_S9_NSD_9__find_if7functorIS9_EEEE10hipError_tPvRmT1_T2_T3_mT4_P12ihipStream_tbEUlT_E1_NS1_11comp_targetILNS1_3genE10ELNS1_11target_archE1200ELNS1_3gpuE4ELNS1_3repE0EEENS1_30default_config_static_selectorELNS0_4arch9wavefront6targetE0EEEvS14_.num_vgpr, 0
	.set _ZN7rocprim17ROCPRIM_400000_NS6detail17trampoline_kernelINS0_14default_configENS1_22reduce_config_selectorIN6thrust23THRUST_200600_302600_NS5tupleIblNS6_9null_typeES8_S8_S8_S8_S8_S8_S8_EEEEZNS1_11reduce_implILb1ES3_NS6_12zip_iteratorINS7_INS6_11hip_rocprim26transform_input_iterator_tIbNSD_35transform_pair_of_input_iterators_tIbNS6_6detail15normal_iteratorINS6_10device_ptrIKiEEEESL_NS6_8equal_toIiEEEENSG_9not_fun_tINSD_8identityEEEEENSD_19counting_iterator_tIlEES8_S8_S8_S8_S8_S8_S8_S8_EEEEPS9_S9_NSD_9__find_if7functorIS9_EEEE10hipError_tPvRmT1_T2_T3_mT4_P12ihipStream_tbEUlT_E1_NS1_11comp_targetILNS1_3genE10ELNS1_11target_archE1200ELNS1_3gpuE4ELNS1_3repE0EEENS1_30default_config_static_selectorELNS0_4arch9wavefront6targetE0EEEvS14_.num_agpr, 0
	.set _ZN7rocprim17ROCPRIM_400000_NS6detail17trampoline_kernelINS0_14default_configENS1_22reduce_config_selectorIN6thrust23THRUST_200600_302600_NS5tupleIblNS6_9null_typeES8_S8_S8_S8_S8_S8_S8_EEEEZNS1_11reduce_implILb1ES3_NS6_12zip_iteratorINS7_INS6_11hip_rocprim26transform_input_iterator_tIbNSD_35transform_pair_of_input_iterators_tIbNS6_6detail15normal_iteratorINS6_10device_ptrIKiEEEESL_NS6_8equal_toIiEEEENSG_9not_fun_tINSD_8identityEEEEENSD_19counting_iterator_tIlEES8_S8_S8_S8_S8_S8_S8_S8_EEEEPS9_S9_NSD_9__find_if7functorIS9_EEEE10hipError_tPvRmT1_T2_T3_mT4_P12ihipStream_tbEUlT_E1_NS1_11comp_targetILNS1_3genE10ELNS1_11target_archE1200ELNS1_3gpuE4ELNS1_3repE0EEENS1_30default_config_static_selectorELNS0_4arch9wavefront6targetE0EEEvS14_.numbered_sgpr, 0
	.set _ZN7rocprim17ROCPRIM_400000_NS6detail17trampoline_kernelINS0_14default_configENS1_22reduce_config_selectorIN6thrust23THRUST_200600_302600_NS5tupleIblNS6_9null_typeES8_S8_S8_S8_S8_S8_S8_EEEEZNS1_11reduce_implILb1ES3_NS6_12zip_iteratorINS7_INS6_11hip_rocprim26transform_input_iterator_tIbNSD_35transform_pair_of_input_iterators_tIbNS6_6detail15normal_iteratorINS6_10device_ptrIKiEEEESL_NS6_8equal_toIiEEEENSG_9not_fun_tINSD_8identityEEEEENSD_19counting_iterator_tIlEES8_S8_S8_S8_S8_S8_S8_S8_EEEEPS9_S9_NSD_9__find_if7functorIS9_EEEE10hipError_tPvRmT1_T2_T3_mT4_P12ihipStream_tbEUlT_E1_NS1_11comp_targetILNS1_3genE10ELNS1_11target_archE1200ELNS1_3gpuE4ELNS1_3repE0EEENS1_30default_config_static_selectorELNS0_4arch9wavefront6targetE0EEEvS14_.num_named_barrier, 0
	.set _ZN7rocprim17ROCPRIM_400000_NS6detail17trampoline_kernelINS0_14default_configENS1_22reduce_config_selectorIN6thrust23THRUST_200600_302600_NS5tupleIblNS6_9null_typeES8_S8_S8_S8_S8_S8_S8_EEEEZNS1_11reduce_implILb1ES3_NS6_12zip_iteratorINS7_INS6_11hip_rocprim26transform_input_iterator_tIbNSD_35transform_pair_of_input_iterators_tIbNS6_6detail15normal_iteratorINS6_10device_ptrIKiEEEESL_NS6_8equal_toIiEEEENSG_9not_fun_tINSD_8identityEEEEENSD_19counting_iterator_tIlEES8_S8_S8_S8_S8_S8_S8_S8_EEEEPS9_S9_NSD_9__find_if7functorIS9_EEEE10hipError_tPvRmT1_T2_T3_mT4_P12ihipStream_tbEUlT_E1_NS1_11comp_targetILNS1_3genE10ELNS1_11target_archE1200ELNS1_3gpuE4ELNS1_3repE0EEENS1_30default_config_static_selectorELNS0_4arch9wavefront6targetE0EEEvS14_.private_seg_size, 0
	.set _ZN7rocprim17ROCPRIM_400000_NS6detail17trampoline_kernelINS0_14default_configENS1_22reduce_config_selectorIN6thrust23THRUST_200600_302600_NS5tupleIblNS6_9null_typeES8_S8_S8_S8_S8_S8_S8_EEEEZNS1_11reduce_implILb1ES3_NS6_12zip_iteratorINS7_INS6_11hip_rocprim26transform_input_iterator_tIbNSD_35transform_pair_of_input_iterators_tIbNS6_6detail15normal_iteratorINS6_10device_ptrIKiEEEESL_NS6_8equal_toIiEEEENSG_9not_fun_tINSD_8identityEEEEENSD_19counting_iterator_tIlEES8_S8_S8_S8_S8_S8_S8_S8_EEEEPS9_S9_NSD_9__find_if7functorIS9_EEEE10hipError_tPvRmT1_T2_T3_mT4_P12ihipStream_tbEUlT_E1_NS1_11comp_targetILNS1_3genE10ELNS1_11target_archE1200ELNS1_3gpuE4ELNS1_3repE0EEENS1_30default_config_static_selectorELNS0_4arch9wavefront6targetE0EEEvS14_.uses_vcc, 0
	.set _ZN7rocprim17ROCPRIM_400000_NS6detail17trampoline_kernelINS0_14default_configENS1_22reduce_config_selectorIN6thrust23THRUST_200600_302600_NS5tupleIblNS6_9null_typeES8_S8_S8_S8_S8_S8_S8_EEEEZNS1_11reduce_implILb1ES3_NS6_12zip_iteratorINS7_INS6_11hip_rocprim26transform_input_iterator_tIbNSD_35transform_pair_of_input_iterators_tIbNS6_6detail15normal_iteratorINS6_10device_ptrIKiEEEESL_NS6_8equal_toIiEEEENSG_9not_fun_tINSD_8identityEEEEENSD_19counting_iterator_tIlEES8_S8_S8_S8_S8_S8_S8_S8_EEEEPS9_S9_NSD_9__find_if7functorIS9_EEEE10hipError_tPvRmT1_T2_T3_mT4_P12ihipStream_tbEUlT_E1_NS1_11comp_targetILNS1_3genE10ELNS1_11target_archE1200ELNS1_3gpuE4ELNS1_3repE0EEENS1_30default_config_static_selectorELNS0_4arch9wavefront6targetE0EEEvS14_.uses_flat_scratch, 0
	.set _ZN7rocprim17ROCPRIM_400000_NS6detail17trampoline_kernelINS0_14default_configENS1_22reduce_config_selectorIN6thrust23THRUST_200600_302600_NS5tupleIblNS6_9null_typeES8_S8_S8_S8_S8_S8_S8_EEEEZNS1_11reduce_implILb1ES3_NS6_12zip_iteratorINS7_INS6_11hip_rocprim26transform_input_iterator_tIbNSD_35transform_pair_of_input_iterators_tIbNS6_6detail15normal_iteratorINS6_10device_ptrIKiEEEESL_NS6_8equal_toIiEEEENSG_9not_fun_tINSD_8identityEEEEENSD_19counting_iterator_tIlEES8_S8_S8_S8_S8_S8_S8_S8_EEEEPS9_S9_NSD_9__find_if7functorIS9_EEEE10hipError_tPvRmT1_T2_T3_mT4_P12ihipStream_tbEUlT_E1_NS1_11comp_targetILNS1_3genE10ELNS1_11target_archE1200ELNS1_3gpuE4ELNS1_3repE0EEENS1_30default_config_static_selectorELNS0_4arch9wavefront6targetE0EEEvS14_.has_dyn_sized_stack, 0
	.set _ZN7rocprim17ROCPRIM_400000_NS6detail17trampoline_kernelINS0_14default_configENS1_22reduce_config_selectorIN6thrust23THRUST_200600_302600_NS5tupleIblNS6_9null_typeES8_S8_S8_S8_S8_S8_S8_EEEEZNS1_11reduce_implILb1ES3_NS6_12zip_iteratorINS7_INS6_11hip_rocprim26transform_input_iterator_tIbNSD_35transform_pair_of_input_iterators_tIbNS6_6detail15normal_iteratorINS6_10device_ptrIKiEEEESL_NS6_8equal_toIiEEEENSG_9not_fun_tINSD_8identityEEEEENSD_19counting_iterator_tIlEES8_S8_S8_S8_S8_S8_S8_S8_EEEEPS9_S9_NSD_9__find_if7functorIS9_EEEE10hipError_tPvRmT1_T2_T3_mT4_P12ihipStream_tbEUlT_E1_NS1_11comp_targetILNS1_3genE10ELNS1_11target_archE1200ELNS1_3gpuE4ELNS1_3repE0EEENS1_30default_config_static_selectorELNS0_4arch9wavefront6targetE0EEEvS14_.has_recursion, 0
	.set _ZN7rocprim17ROCPRIM_400000_NS6detail17trampoline_kernelINS0_14default_configENS1_22reduce_config_selectorIN6thrust23THRUST_200600_302600_NS5tupleIblNS6_9null_typeES8_S8_S8_S8_S8_S8_S8_EEEEZNS1_11reduce_implILb1ES3_NS6_12zip_iteratorINS7_INS6_11hip_rocprim26transform_input_iterator_tIbNSD_35transform_pair_of_input_iterators_tIbNS6_6detail15normal_iteratorINS6_10device_ptrIKiEEEESL_NS6_8equal_toIiEEEENSG_9not_fun_tINSD_8identityEEEEENSD_19counting_iterator_tIlEES8_S8_S8_S8_S8_S8_S8_S8_EEEEPS9_S9_NSD_9__find_if7functorIS9_EEEE10hipError_tPvRmT1_T2_T3_mT4_P12ihipStream_tbEUlT_E1_NS1_11comp_targetILNS1_3genE10ELNS1_11target_archE1200ELNS1_3gpuE4ELNS1_3repE0EEENS1_30default_config_static_selectorELNS0_4arch9wavefront6targetE0EEEvS14_.has_indirect_call, 0
	.section	.AMDGPU.csdata,"",@progbits
; Kernel info:
; codeLenInByte = 0
; TotalNumSgprs: 0
; NumVgprs: 0
; ScratchSize: 0
; MemoryBound: 0
; FloatMode: 240
; IeeeMode: 1
; LDSByteSize: 0 bytes/workgroup (compile time only)
; SGPRBlocks: 0
; VGPRBlocks: 0
; NumSGPRsForWavesPerEU: 1
; NumVGPRsForWavesPerEU: 1
; Occupancy: 16
; WaveLimiterHint : 0
; COMPUTE_PGM_RSRC2:SCRATCH_EN: 0
; COMPUTE_PGM_RSRC2:USER_SGPR: 6
; COMPUTE_PGM_RSRC2:TRAP_HANDLER: 0
; COMPUTE_PGM_RSRC2:TGID_X_EN: 1
; COMPUTE_PGM_RSRC2:TGID_Y_EN: 0
; COMPUTE_PGM_RSRC2:TGID_Z_EN: 0
; COMPUTE_PGM_RSRC2:TIDIG_COMP_CNT: 0
	.section	.text._ZN7rocprim17ROCPRIM_400000_NS6detail17trampoline_kernelINS0_14default_configENS1_22reduce_config_selectorIN6thrust23THRUST_200600_302600_NS5tupleIblNS6_9null_typeES8_S8_S8_S8_S8_S8_S8_EEEEZNS1_11reduce_implILb1ES3_NS6_12zip_iteratorINS7_INS6_11hip_rocprim26transform_input_iterator_tIbNSD_35transform_pair_of_input_iterators_tIbNS6_6detail15normal_iteratorINS6_10device_ptrIKiEEEESL_NS6_8equal_toIiEEEENSG_9not_fun_tINSD_8identityEEEEENSD_19counting_iterator_tIlEES8_S8_S8_S8_S8_S8_S8_S8_EEEEPS9_S9_NSD_9__find_if7functorIS9_EEEE10hipError_tPvRmT1_T2_T3_mT4_P12ihipStream_tbEUlT_E1_NS1_11comp_targetILNS1_3genE9ELNS1_11target_archE1100ELNS1_3gpuE3ELNS1_3repE0EEENS1_30default_config_static_selectorELNS0_4arch9wavefront6targetE0EEEvS14_,"axG",@progbits,_ZN7rocprim17ROCPRIM_400000_NS6detail17trampoline_kernelINS0_14default_configENS1_22reduce_config_selectorIN6thrust23THRUST_200600_302600_NS5tupleIblNS6_9null_typeES8_S8_S8_S8_S8_S8_S8_EEEEZNS1_11reduce_implILb1ES3_NS6_12zip_iteratorINS7_INS6_11hip_rocprim26transform_input_iterator_tIbNSD_35transform_pair_of_input_iterators_tIbNS6_6detail15normal_iteratorINS6_10device_ptrIKiEEEESL_NS6_8equal_toIiEEEENSG_9not_fun_tINSD_8identityEEEEENSD_19counting_iterator_tIlEES8_S8_S8_S8_S8_S8_S8_S8_EEEEPS9_S9_NSD_9__find_if7functorIS9_EEEE10hipError_tPvRmT1_T2_T3_mT4_P12ihipStream_tbEUlT_E1_NS1_11comp_targetILNS1_3genE9ELNS1_11target_archE1100ELNS1_3gpuE3ELNS1_3repE0EEENS1_30default_config_static_selectorELNS0_4arch9wavefront6targetE0EEEvS14_,comdat
	.protected	_ZN7rocprim17ROCPRIM_400000_NS6detail17trampoline_kernelINS0_14default_configENS1_22reduce_config_selectorIN6thrust23THRUST_200600_302600_NS5tupleIblNS6_9null_typeES8_S8_S8_S8_S8_S8_S8_EEEEZNS1_11reduce_implILb1ES3_NS6_12zip_iteratorINS7_INS6_11hip_rocprim26transform_input_iterator_tIbNSD_35transform_pair_of_input_iterators_tIbNS6_6detail15normal_iteratorINS6_10device_ptrIKiEEEESL_NS6_8equal_toIiEEEENSG_9not_fun_tINSD_8identityEEEEENSD_19counting_iterator_tIlEES8_S8_S8_S8_S8_S8_S8_S8_EEEEPS9_S9_NSD_9__find_if7functorIS9_EEEE10hipError_tPvRmT1_T2_T3_mT4_P12ihipStream_tbEUlT_E1_NS1_11comp_targetILNS1_3genE9ELNS1_11target_archE1100ELNS1_3gpuE3ELNS1_3repE0EEENS1_30default_config_static_selectorELNS0_4arch9wavefront6targetE0EEEvS14_ ; -- Begin function _ZN7rocprim17ROCPRIM_400000_NS6detail17trampoline_kernelINS0_14default_configENS1_22reduce_config_selectorIN6thrust23THRUST_200600_302600_NS5tupleIblNS6_9null_typeES8_S8_S8_S8_S8_S8_S8_EEEEZNS1_11reduce_implILb1ES3_NS6_12zip_iteratorINS7_INS6_11hip_rocprim26transform_input_iterator_tIbNSD_35transform_pair_of_input_iterators_tIbNS6_6detail15normal_iteratorINS6_10device_ptrIKiEEEESL_NS6_8equal_toIiEEEENSG_9not_fun_tINSD_8identityEEEEENSD_19counting_iterator_tIlEES8_S8_S8_S8_S8_S8_S8_S8_EEEEPS9_S9_NSD_9__find_if7functorIS9_EEEE10hipError_tPvRmT1_T2_T3_mT4_P12ihipStream_tbEUlT_E1_NS1_11comp_targetILNS1_3genE9ELNS1_11target_archE1100ELNS1_3gpuE3ELNS1_3repE0EEENS1_30default_config_static_selectorELNS0_4arch9wavefront6targetE0EEEvS14_
	.globl	_ZN7rocprim17ROCPRIM_400000_NS6detail17trampoline_kernelINS0_14default_configENS1_22reduce_config_selectorIN6thrust23THRUST_200600_302600_NS5tupleIblNS6_9null_typeES8_S8_S8_S8_S8_S8_S8_EEEEZNS1_11reduce_implILb1ES3_NS6_12zip_iteratorINS7_INS6_11hip_rocprim26transform_input_iterator_tIbNSD_35transform_pair_of_input_iterators_tIbNS6_6detail15normal_iteratorINS6_10device_ptrIKiEEEESL_NS6_8equal_toIiEEEENSG_9not_fun_tINSD_8identityEEEEENSD_19counting_iterator_tIlEES8_S8_S8_S8_S8_S8_S8_S8_EEEEPS9_S9_NSD_9__find_if7functorIS9_EEEE10hipError_tPvRmT1_T2_T3_mT4_P12ihipStream_tbEUlT_E1_NS1_11comp_targetILNS1_3genE9ELNS1_11target_archE1100ELNS1_3gpuE3ELNS1_3repE0EEENS1_30default_config_static_selectorELNS0_4arch9wavefront6targetE0EEEvS14_
	.p2align	8
	.type	_ZN7rocprim17ROCPRIM_400000_NS6detail17trampoline_kernelINS0_14default_configENS1_22reduce_config_selectorIN6thrust23THRUST_200600_302600_NS5tupleIblNS6_9null_typeES8_S8_S8_S8_S8_S8_S8_EEEEZNS1_11reduce_implILb1ES3_NS6_12zip_iteratorINS7_INS6_11hip_rocprim26transform_input_iterator_tIbNSD_35transform_pair_of_input_iterators_tIbNS6_6detail15normal_iteratorINS6_10device_ptrIKiEEEESL_NS6_8equal_toIiEEEENSG_9not_fun_tINSD_8identityEEEEENSD_19counting_iterator_tIlEES8_S8_S8_S8_S8_S8_S8_S8_EEEEPS9_S9_NSD_9__find_if7functorIS9_EEEE10hipError_tPvRmT1_T2_T3_mT4_P12ihipStream_tbEUlT_E1_NS1_11comp_targetILNS1_3genE9ELNS1_11target_archE1100ELNS1_3gpuE3ELNS1_3repE0EEENS1_30default_config_static_selectorELNS0_4arch9wavefront6targetE0EEEvS14_,@function
_ZN7rocprim17ROCPRIM_400000_NS6detail17trampoline_kernelINS0_14default_configENS1_22reduce_config_selectorIN6thrust23THRUST_200600_302600_NS5tupleIblNS6_9null_typeES8_S8_S8_S8_S8_S8_S8_EEEEZNS1_11reduce_implILb1ES3_NS6_12zip_iteratorINS7_INS6_11hip_rocprim26transform_input_iterator_tIbNSD_35transform_pair_of_input_iterators_tIbNS6_6detail15normal_iteratorINS6_10device_ptrIKiEEEESL_NS6_8equal_toIiEEEENSG_9not_fun_tINSD_8identityEEEEENSD_19counting_iterator_tIlEES8_S8_S8_S8_S8_S8_S8_S8_EEEEPS9_S9_NSD_9__find_if7functorIS9_EEEE10hipError_tPvRmT1_T2_T3_mT4_P12ihipStream_tbEUlT_E1_NS1_11comp_targetILNS1_3genE9ELNS1_11target_archE1100ELNS1_3gpuE3ELNS1_3repE0EEENS1_30default_config_static_selectorELNS0_4arch9wavefront6targetE0EEEvS14_: ; @_ZN7rocprim17ROCPRIM_400000_NS6detail17trampoline_kernelINS0_14default_configENS1_22reduce_config_selectorIN6thrust23THRUST_200600_302600_NS5tupleIblNS6_9null_typeES8_S8_S8_S8_S8_S8_S8_EEEEZNS1_11reduce_implILb1ES3_NS6_12zip_iteratorINS7_INS6_11hip_rocprim26transform_input_iterator_tIbNSD_35transform_pair_of_input_iterators_tIbNS6_6detail15normal_iteratorINS6_10device_ptrIKiEEEESL_NS6_8equal_toIiEEEENSG_9not_fun_tINSD_8identityEEEEENSD_19counting_iterator_tIlEES8_S8_S8_S8_S8_S8_S8_S8_EEEEPS9_S9_NSD_9__find_if7functorIS9_EEEE10hipError_tPvRmT1_T2_T3_mT4_P12ihipStream_tbEUlT_E1_NS1_11comp_targetILNS1_3genE9ELNS1_11target_archE1100ELNS1_3gpuE3ELNS1_3repE0EEENS1_30default_config_static_selectorELNS0_4arch9wavefront6targetE0EEEvS14_
; %bb.0:
	.section	.rodata,"a",@progbits
	.p2align	6, 0x0
	.amdhsa_kernel _ZN7rocprim17ROCPRIM_400000_NS6detail17trampoline_kernelINS0_14default_configENS1_22reduce_config_selectorIN6thrust23THRUST_200600_302600_NS5tupleIblNS6_9null_typeES8_S8_S8_S8_S8_S8_S8_EEEEZNS1_11reduce_implILb1ES3_NS6_12zip_iteratorINS7_INS6_11hip_rocprim26transform_input_iterator_tIbNSD_35transform_pair_of_input_iterators_tIbNS6_6detail15normal_iteratorINS6_10device_ptrIKiEEEESL_NS6_8equal_toIiEEEENSG_9not_fun_tINSD_8identityEEEEENSD_19counting_iterator_tIlEES8_S8_S8_S8_S8_S8_S8_S8_EEEEPS9_S9_NSD_9__find_if7functorIS9_EEEE10hipError_tPvRmT1_T2_T3_mT4_P12ihipStream_tbEUlT_E1_NS1_11comp_targetILNS1_3genE9ELNS1_11target_archE1100ELNS1_3gpuE3ELNS1_3repE0EEENS1_30default_config_static_selectorELNS0_4arch9wavefront6targetE0EEEvS14_
		.amdhsa_group_segment_fixed_size 0
		.amdhsa_private_segment_fixed_size 0
		.amdhsa_kernarg_size 88
		.amdhsa_user_sgpr_count 6
		.amdhsa_user_sgpr_private_segment_buffer 1
		.amdhsa_user_sgpr_dispatch_ptr 0
		.amdhsa_user_sgpr_queue_ptr 0
		.amdhsa_user_sgpr_kernarg_segment_ptr 1
		.amdhsa_user_sgpr_dispatch_id 0
		.amdhsa_user_sgpr_flat_scratch_init 0
		.amdhsa_user_sgpr_private_segment_size 0
		.amdhsa_wavefront_size32 1
		.amdhsa_uses_dynamic_stack 0
		.amdhsa_system_sgpr_private_segment_wavefront_offset 0
		.amdhsa_system_sgpr_workgroup_id_x 1
		.amdhsa_system_sgpr_workgroup_id_y 0
		.amdhsa_system_sgpr_workgroup_id_z 0
		.amdhsa_system_sgpr_workgroup_info 0
		.amdhsa_system_vgpr_workitem_id 0
		.amdhsa_next_free_vgpr 1
		.amdhsa_next_free_sgpr 1
		.amdhsa_reserve_vcc 0
		.amdhsa_reserve_flat_scratch 0
		.amdhsa_float_round_mode_32 0
		.amdhsa_float_round_mode_16_64 0
		.amdhsa_float_denorm_mode_32 3
		.amdhsa_float_denorm_mode_16_64 3
		.amdhsa_dx10_clamp 1
		.amdhsa_ieee_mode 1
		.amdhsa_fp16_overflow 0
		.amdhsa_workgroup_processor_mode 1
		.amdhsa_memory_ordered 1
		.amdhsa_forward_progress 1
		.amdhsa_shared_vgpr_count 0
		.amdhsa_exception_fp_ieee_invalid_op 0
		.amdhsa_exception_fp_denorm_src 0
		.amdhsa_exception_fp_ieee_div_zero 0
		.amdhsa_exception_fp_ieee_overflow 0
		.amdhsa_exception_fp_ieee_underflow 0
		.amdhsa_exception_fp_ieee_inexact 0
		.amdhsa_exception_int_div_zero 0
	.end_amdhsa_kernel
	.section	.text._ZN7rocprim17ROCPRIM_400000_NS6detail17trampoline_kernelINS0_14default_configENS1_22reduce_config_selectorIN6thrust23THRUST_200600_302600_NS5tupleIblNS6_9null_typeES8_S8_S8_S8_S8_S8_S8_EEEEZNS1_11reduce_implILb1ES3_NS6_12zip_iteratorINS7_INS6_11hip_rocprim26transform_input_iterator_tIbNSD_35transform_pair_of_input_iterators_tIbNS6_6detail15normal_iteratorINS6_10device_ptrIKiEEEESL_NS6_8equal_toIiEEEENSG_9not_fun_tINSD_8identityEEEEENSD_19counting_iterator_tIlEES8_S8_S8_S8_S8_S8_S8_S8_EEEEPS9_S9_NSD_9__find_if7functorIS9_EEEE10hipError_tPvRmT1_T2_T3_mT4_P12ihipStream_tbEUlT_E1_NS1_11comp_targetILNS1_3genE9ELNS1_11target_archE1100ELNS1_3gpuE3ELNS1_3repE0EEENS1_30default_config_static_selectorELNS0_4arch9wavefront6targetE0EEEvS14_,"axG",@progbits,_ZN7rocprim17ROCPRIM_400000_NS6detail17trampoline_kernelINS0_14default_configENS1_22reduce_config_selectorIN6thrust23THRUST_200600_302600_NS5tupleIblNS6_9null_typeES8_S8_S8_S8_S8_S8_S8_EEEEZNS1_11reduce_implILb1ES3_NS6_12zip_iteratorINS7_INS6_11hip_rocprim26transform_input_iterator_tIbNSD_35transform_pair_of_input_iterators_tIbNS6_6detail15normal_iteratorINS6_10device_ptrIKiEEEESL_NS6_8equal_toIiEEEENSG_9not_fun_tINSD_8identityEEEEENSD_19counting_iterator_tIlEES8_S8_S8_S8_S8_S8_S8_S8_EEEEPS9_S9_NSD_9__find_if7functorIS9_EEEE10hipError_tPvRmT1_T2_T3_mT4_P12ihipStream_tbEUlT_E1_NS1_11comp_targetILNS1_3genE9ELNS1_11target_archE1100ELNS1_3gpuE3ELNS1_3repE0EEENS1_30default_config_static_selectorELNS0_4arch9wavefront6targetE0EEEvS14_,comdat
.Lfunc_end277:
	.size	_ZN7rocprim17ROCPRIM_400000_NS6detail17trampoline_kernelINS0_14default_configENS1_22reduce_config_selectorIN6thrust23THRUST_200600_302600_NS5tupleIblNS6_9null_typeES8_S8_S8_S8_S8_S8_S8_EEEEZNS1_11reduce_implILb1ES3_NS6_12zip_iteratorINS7_INS6_11hip_rocprim26transform_input_iterator_tIbNSD_35transform_pair_of_input_iterators_tIbNS6_6detail15normal_iteratorINS6_10device_ptrIKiEEEESL_NS6_8equal_toIiEEEENSG_9not_fun_tINSD_8identityEEEEENSD_19counting_iterator_tIlEES8_S8_S8_S8_S8_S8_S8_S8_EEEEPS9_S9_NSD_9__find_if7functorIS9_EEEE10hipError_tPvRmT1_T2_T3_mT4_P12ihipStream_tbEUlT_E1_NS1_11comp_targetILNS1_3genE9ELNS1_11target_archE1100ELNS1_3gpuE3ELNS1_3repE0EEENS1_30default_config_static_selectorELNS0_4arch9wavefront6targetE0EEEvS14_, .Lfunc_end277-_ZN7rocprim17ROCPRIM_400000_NS6detail17trampoline_kernelINS0_14default_configENS1_22reduce_config_selectorIN6thrust23THRUST_200600_302600_NS5tupleIblNS6_9null_typeES8_S8_S8_S8_S8_S8_S8_EEEEZNS1_11reduce_implILb1ES3_NS6_12zip_iteratorINS7_INS6_11hip_rocprim26transform_input_iterator_tIbNSD_35transform_pair_of_input_iterators_tIbNS6_6detail15normal_iteratorINS6_10device_ptrIKiEEEESL_NS6_8equal_toIiEEEENSG_9not_fun_tINSD_8identityEEEEENSD_19counting_iterator_tIlEES8_S8_S8_S8_S8_S8_S8_S8_EEEEPS9_S9_NSD_9__find_if7functorIS9_EEEE10hipError_tPvRmT1_T2_T3_mT4_P12ihipStream_tbEUlT_E1_NS1_11comp_targetILNS1_3genE9ELNS1_11target_archE1100ELNS1_3gpuE3ELNS1_3repE0EEENS1_30default_config_static_selectorELNS0_4arch9wavefront6targetE0EEEvS14_
                                        ; -- End function
	.set _ZN7rocprim17ROCPRIM_400000_NS6detail17trampoline_kernelINS0_14default_configENS1_22reduce_config_selectorIN6thrust23THRUST_200600_302600_NS5tupleIblNS6_9null_typeES8_S8_S8_S8_S8_S8_S8_EEEEZNS1_11reduce_implILb1ES3_NS6_12zip_iteratorINS7_INS6_11hip_rocprim26transform_input_iterator_tIbNSD_35transform_pair_of_input_iterators_tIbNS6_6detail15normal_iteratorINS6_10device_ptrIKiEEEESL_NS6_8equal_toIiEEEENSG_9not_fun_tINSD_8identityEEEEENSD_19counting_iterator_tIlEES8_S8_S8_S8_S8_S8_S8_S8_EEEEPS9_S9_NSD_9__find_if7functorIS9_EEEE10hipError_tPvRmT1_T2_T3_mT4_P12ihipStream_tbEUlT_E1_NS1_11comp_targetILNS1_3genE9ELNS1_11target_archE1100ELNS1_3gpuE3ELNS1_3repE0EEENS1_30default_config_static_selectorELNS0_4arch9wavefront6targetE0EEEvS14_.num_vgpr, 0
	.set _ZN7rocprim17ROCPRIM_400000_NS6detail17trampoline_kernelINS0_14default_configENS1_22reduce_config_selectorIN6thrust23THRUST_200600_302600_NS5tupleIblNS6_9null_typeES8_S8_S8_S8_S8_S8_S8_EEEEZNS1_11reduce_implILb1ES3_NS6_12zip_iteratorINS7_INS6_11hip_rocprim26transform_input_iterator_tIbNSD_35transform_pair_of_input_iterators_tIbNS6_6detail15normal_iteratorINS6_10device_ptrIKiEEEESL_NS6_8equal_toIiEEEENSG_9not_fun_tINSD_8identityEEEEENSD_19counting_iterator_tIlEES8_S8_S8_S8_S8_S8_S8_S8_EEEEPS9_S9_NSD_9__find_if7functorIS9_EEEE10hipError_tPvRmT1_T2_T3_mT4_P12ihipStream_tbEUlT_E1_NS1_11comp_targetILNS1_3genE9ELNS1_11target_archE1100ELNS1_3gpuE3ELNS1_3repE0EEENS1_30default_config_static_selectorELNS0_4arch9wavefront6targetE0EEEvS14_.num_agpr, 0
	.set _ZN7rocprim17ROCPRIM_400000_NS6detail17trampoline_kernelINS0_14default_configENS1_22reduce_config_selectorIN6thrust23THRUST_200600_302600_NS5tupleIblNS6_9null_typeES8_S8_S8_S8_S8_S8_S8_EEEEZNS1_11reduce_implILb1ES3_NS6_12zip_iteratorINS7_INS6_11hip_rocprim26transform_input_iterator_tIbNSD_35transform_pair_of_input_iterators_tIbNS6_6detail15normal_iteratorINS6_10device_ptrIKiEEEESL_NS6_8equal_toIiEEEENSG_9not_fun_tINSD_8identityEEEEENSD_19counting_iterator_tIlEES8_S8_S8_S8_S8_S8_S8_S8_EEEEPS9_S9_NSD_9__find_if7functorIS9_EEEE10hipError_tPvRmT1_T2_T3_mT4_P12ihipStream_tbEUlT_E1_NS1_11comp_targetILNS1_3genE9ELNS1_11target_archE1100ELNS1_3gpuE3ELNS1_3repE0EEENS1_30default_config_static_selectorELNS0_4arch9wavefront6targetE0EEEvS14_.numbered_sgpr, 0
	.set _ZN7rocprim17ROCPRIM_400000_NS6detail17trampoline_kernelINS0_14default_configENS1_22reduce_config_selectorIN6thrust23THRUST_200600_302600_NS5tupleIblNS6_9null_typeES8_S8_S8_S8_S8_S8_S8_EEEEZNS1_11reduce_implILb1ES3_NS6_12zip_iteratorINS7_INS6_11hip_rocprim26transform_input_iterator_tIbNSD_35transform_pair_of_input_iterators_tIbNS6_6detail15normal_iteratorINS6_10device_ptrIKiEEEESL_NS6_8equal_toIiEEEENSG_9not_fun_tINSD_8identityEEEEENSD_19counting_iterator_tIlEES8_S8_S8_S8_S8_S8_S8_S8_EEEEPS9_S9_NSD_9__find_if7functorIS9_EEEE10hipError_tPvRmT1_T2_T3_mT4_P12ihipStream_tbEUlT_E1_NS1_11comp_targetILNS1_3genE9ELNS1_11target_archE1100ELNS1_3gpuE3ELNS1_3repE0EEENS1_30default_config_static_selectorELNS0_4arch9wavefront6targetE0EEEvS14_.num_named_barrier, 0
	.set _ZN7rocprim17ROCPRIM_400000_NS6detail17trampoline_kernelINS0_14default_configENS1_22reduce_config_selectorIN6thrust23THRUST_200600_302600_NS5tupleIblNS6_9null_typeES8_S8_S8_S8_S8_S8_S8_EEEEZNS1_11reduce_implILb1ES3_NS6_12zip_iteratorINS7_INS6_11hip_rocprim26transform_input_iterator_tIbNSD_35transform_pair_of_input_iterators_tIbNS6_6detail15normal_iteratorINS6_10device_ptrIKiEEEESL_NS6_8equal_toIiEEEENSG_9not_fun_tINSD_8identityEEEEENSD_19counting_iterator_tIlEES8_S8_S8_S8_S8_S8_S8_S8_EEEEPS9_S9_NSD_9__find_if7functorIS9_EEEE10hipError_tPvRmT1_T2_T3_mT4_P12ihipStream_tbEUlT_E1_NS1_11comp_targetILNS1_3genE9ELNS1_11target_archE1100ELNS1_3gpuE3ELNS1_3repE0EEENS1_30default_config_static_selectorELNS0_4arch9wavefront6targetE0EEEvS14_.private_seg_size, 0
	.set _ZN7rocprim17ROCPRIM_400000_NS6detail17trampoline_kernelINS0_14default_configENS1_22reduce_config_selectorIN6thrust23THRUST_200600_302600_NS5tupleIblNS6_9null_typeES8_S8_S8_S8_S8_S8_S8_EEEEZNS1_11reduce_implILb1ES3_NS6_12zip_iteratorINS7_INS6_11hip_rocprim26transform_input_iterator_tIbNSD_35transform_pair_of_input_iterators_tIbNS6_6detail15normal_iteratorINS6_10device_ptrIKiEEEESL_NS6_8equal_toIiEEEENSG_9not_fun_tINSD_8identityEEEEENSD_19counting_iterator_tIlEES8_S8_S8_S8_S8_S8_S8_S8_EEEEPS9_S9_NSD_9__find_if7functorIS9_EEEE10hipError_tPvRmT1_T2_T3_mT4_P12ihipStream_tbEUlT_E1_NS1_11comp_targetILNS1_3genE9ELNS1_11target_archE1100ELNS1_3gpuE3ELNS1_3repE0EEENS1_30default_config_static_selectorELNS0_4arch9wavefront6targetE0EEEvS14_.uses_vcc, 0
	.set _ZN7rocprim17ROCPRIM_400000_NS6detail17trampoline_kernelINS0_14default_configENS1_22reduce_config_selectorIN6thrust23THRUST_200600_302600_NS5tupleIblNS6_9null_typeES8_S8_S8_S8_S8_S8_S8_EEEEZNS1_11reduce_implILb1ES3_NS6_12zip_iteratorINS7_INS6_11hip_rocprim26transform_input_iterator_tIbNSD_35transform_pair_of_input_iterators_tIbNS6_6detail15normal_iteratorINS6_10device_ptrIKiEEEESL_NS6_8equal_toIiEEEENSG_9not_fun_tINSD_8identityEEEEENSD_19counting_iterator_tIlEES8_S8_S8_S8_S8_S8_S8_S8_EEEEPS9_S9_NSD_9__find_if7functorIS9_EEEE10hipError_tPvRmT1_T2_T3_mT4_P12ihipStream_tbEUlT_E1_NS1_11comp_targetILNS1_3genE9ELNS1_11target_archE1100ELNS1_3gpuE3ELNS1_3repE0EEENS1_30default_config_static_selectorELNS0_4arch9wavefront6targetE0EEEvS14_.uses_flat_scratch, 0
	.set _ZN7rocprim17ROCPRIM_400000_NS6detail17trampoline_kernelINS0_14default_configENS1_22reduce_config_selectorIN6thrust23THRUST_200600_302600_NS5tupleIblNS6_9null_typeES8_S8_S8_S8_S8_S8_S8_EEEEZNS1_11reduce_implILb1ES3_NS6_12zip_iteratorINS7_INS6_11hip_rocprim26transform_input_iterator_tIbNSD_35transform_pair_of_input_iterators_tIbNS6_6detail15normal_iteratorINS6_10device_ptrIKiEEEESL_NS6_8equal_toIiEEEENSG_9not_fun_tINSD_8identityEEEEENSD_19counting_iterator_tIlEES8_S8_S8_S8_S8_S8_S8_S8_EEEEPS9_S9_NSD_9__find_if7functorIS9_EEEE10hipError_tPvRmT1_T2_T3_mT4_P12ihipStream_tbEUlT_E1_NS1_11comp_targetILNS1_3genE9ELNS1_11target_archE1100ELNS1_3gpuE3ELNS1_3repE0EEENS1_30default_config_static_selectorELNS0_4arch9wavefront6targetE0EEEvS14_.has_dyn_sized_stack, 0
	.set _ZN7rocprim17ROCPRIM_400000_NS6detail17trampoline_kernelINS0_14default_configENS1_22reduce_config_selectorIN6thrust23THRUST_200600_302600_NS5tupleIblNS6_9null_typeES8_S8_S8_S8_S8_S8_S8_EEEEZNS1_11reduce_implILb1ES3_NS6_12zip_iteratorINS7_INS6_11hip_rocprim26transform_input_iterator_tIbNSD_35transform_pair_of_input_iterators_tIbNS6_6detail15normal_iteratorINS6_10device_ptrIKiEEEESL_NS6_8equal_toIiEEEENSG_9not_fun_tINSD_8identityEEEEENSD_19counting_iterator_tIlEES8_S8_S8_S8_S8_S8_S8_S8_EEEEPS9_S9_NSD_9__find_if7functorIS9_EEEE10hipError_tPvRmT1_T2_T3_mT4_P12ihipStream_tbEUlT_E1_NS1_11comp_targetILNS1_3genE9ELNS1_11target_archE1100ELNS1_3gpuE3ELNS1_3repE0EEENS1_30default_config_static_selectorELNS0_4arch9wavefront6targetE0EEEvS14_.has_recursion, 0
	.set _ZN7rocprim17ROCPRIM_400000_NS6detail17trampoline_kernelINS0_14default_configENS1_22reduce_config_selectorIN6thrust23THRUST_200600_302600_NS5tupleIblNS6_9null_typeES8_S8_S8_S8_S8_S8_S8_EEEEZNS1_11reduce_implILb1ES3_NS6_12zip_iteratorINS7_INS6_11hip_rocprim26transform_input_iterator_tIbNSD_35transform_pair_of_input_iterators_tIbNS6_6detail15normal_iteratorINS6_10device_ptrIKiEEEESL_NS6_8equal_toIiEEEENSG_9not_fun_tINSD_8identityEEEEENSD_19counting_iterator_tIlEES8_S8_S8_S8_S8_S8_S8_S8_EEEEPS9_S9_NSD_9__find_if7functorIS9_EEEE10hipError_tPvRmT1_T2_T3_mT4_P12ihipStream_tbEUlT_E1_NS1_11comp_targetILNS1_3genE9ELNS1_11target_archE1100ELNS1_3gpuE3ELNS1_3repE0EEENS1_30default_config_static_selectorELNS0_4arch9wavefront6targetE0EEEvS14_.has_indirect_call, 0
	.section	.AMDGPU.csdata,"",@progbits
; Kernel info:
; codeLenInByte = 0
; TotalNumSgprs: 0
; NumVgprs: 0
; ScratchSize: 0
; MemoryBound: 0
; FloatMode: 240
; IeeeMode: 1
; LDSByteSize: 0 bytes/workgroup (compile time only)
; SGPRBlocks: 0
; VGPRBlocks: 0
; NumSGPRsForWavesPerEU: 1
; NumVGPRsForWavesPerEU: 1
; Occupancy: 16
; WaveLimiterHint : 0
; COMPUTE_PGM_RSRC2:SCRATCH_EN: 0
; COMPUTE_PGM_RSRC2:USER_SGPR: 6
; COMPUTE_PGM_RSRC2:TRAP_HANDLER: 0
; COMPUTE_PGM_RSRC2:TGID_X_EN: 1
; COMPUTE_PGM_RSRC2:TGID_Y_EN: 0
; COMPUTE_PGM_RSRC2:TGID_Z_EN: 0
; COMPUTE_PGM_RSRC2:TIDIG_COMP_CNT: 0
	.section	.text._ZN7rocprim17ROCPRIM_400000_NS6detail17trampoline_kernelINS0_14default_configENS1_22reduce_config_selectorIN6thrust23THRUST_200600_302600_NS5tupleIblNS6_9null_typeES8_S8_S8_S8_S8_S8_S8_EEEEZNS1_11reduce_implILb1ES3_NS6_12zip_iteratorINS7_INS6_11hip_rocprim26transform_input_iterator_tIbNSD_35transform_pair_of_input_iterators_tIbNS6_6detail15normal_iteratorINS6_10device_ptrIKiEEEESL_NS6_8equal_toIiEEEENSG_9not_fun_tINSD_8identityEEEEENSD_19counting_iterator_tIlEES8_S8_S8_S8_S8_S8_S8_S8_EEEEPS9_S9_NSD_9__find_if7functorIS9_EEEE10hipError_tPvRmT1_T2_T3_mT4_P12ihipStream_tbEUlT_E1_NS1_11comp_targetILNS1_3genE8ELNS1_11target_archE1030ELNS1_3gpuE2ELNS1_3repE0EEENS1_30default_config_static_selectorELNS0_4arch9wavefront6targetE0EEEvS14_,"axG",@progbits,_ZN7rocprim17ROCPRIM_400000_NS6detail17trampoline_kernelINS0_14default_configENS1_22reduce_config_selectorIN6thrust23THRUST_200600_302600_NS5tupleIblNS6_9null_typeES8_S8_S8_S8_S8_S8_S8_EEEEZNS1_11reduce_implILb1ES3_NS6_12zip_iteratorINS7_INS6_11hip_rocprim26transform_input_iterator_tIbNSD_35transform_pair_of_input_iterators_tIbNS6_6detail15normal_iteratorINS6_10device_ptrIKiEEEESL_NS6_8equal_toIiEEEENSG_9not_fun_tINSD_8identityEEEEENSD_19counting_iterator_tIlEES8_S8_S8_S8_S8_S8_S8_S8_EEEEPS9_S9_NSD_9__find_if7functorIS9_EEEE10hipError_tPvRmT1_T2_T3_mT4_P12ihipStream_tbEUlT_E1_NS1_11comp_targetILNS1_3genE8ELNS1_11target_archE1030ELNS1_3gpuE2ELNS1_3repE0EEENS1_30default_config_static_selectorELNS0_4arch9wavefront6targetE0EEEvS14_,comdat
	.protected	_ZN7rocprim17ROCPRIM_400000_NS6detail17trampoline_kernelINS0_14default_configENS1_22reduce_config_selectorIN6thrust23THRUST_200600_302600_NS5tupleIblNS6_9null_typeES8_S8_S8_S8_S8_S8_S8_EEEEZNS1_11reduce_implILb1ES3_NS6_12zip_iteratorINS7_INS6_11hip_rocprim26transform_input_iterator_tIbNSD_35transform_pair_of_input_iterators_tIbNS6_6detail15normal_iteratorINS6_10device_ptrIKiEEEESL_NS6_8equal_toIiEEEENSG_9not_fun_tINSD_8identityEEEEENSD_19counting_iterator_tIlEES8_S8_S8_S8_S8_S8_S8_S8_EEEEPS9_S9_NSD_9__find_if7functorIS9_EEEE10hipError_tPvRmT1_T2_T3_mT4_P12ihipStream_tbEUlT_E1_NS1_11comp_targetILNS1_3genE8ELNS1_11target_archE1030ELNS1_3gpuE2ELNS1_3repE0EEENS1_30default_config_static_selectorELNS0_4arch9wavefront6targetE0EEEvS14_ ; -- Begin function _ZN7rocprim17ROCPRIM_400000_NS6detail17trampoline_kernelINS0_14default_configENS1_22reduce_config_selectorIN6thrust23THRUST_200600_302600_NS5tupleIblNS6_9null_typeES8_S8_S8_S8_S8_S8_S8_EEEEZNS1_11reduce_implILb1ES3_NS6_12zip_iteratorINS7_INS6_11hip_rocprim26transform_input_iterator_tIbNSD_35transform_pair_of_input_iterators_tIbNS6_6detail15normal_iteratorINS6_10device_ptrIKiEEEESL_NS6_8equal_toIiEEEENSG_9not_fun_tINSD_8identityEEEEENSD_19counting_iterator_tIlEES8_S8_S8_S8_S8_S8_S8_S8_EEEEPS9_S9_NSD_9__find_if7functorIS9_EEEE10hipError_tPvRmT1_T2_T3_mT4_P12ihipStream_tbEUlT_E1_NS1_11comp_targetILNS1_3genE8ELNS1_11target_archE1030ELNS1_3gpuE2ELNS1_3repE0EEENS1_30default_config_static_selectorELNS0_4arch9wavefront6targetE0EEEvS14_
	.globl	_ZN7rocprim17ROCPRIM_400000_NS6detail17trampoline_kernelINS0_14default_configENS1_22reduce_config_selectorIN6thrust23THRUST_200600_302600_NS5tupleIblNS6_9null_typeES8_S8_S8_S8_S8_S8_S8_EEEEZNS1_11reduce_implILb1ES3_NS6_12zip_iteratorINS7_INS6_11hip_rocprim26transform_input_iterator_tIbNSD_35transform_pair_of_input_iterators_tIbNS6_6detail15normal_iteratorINS6_10device_ptrIKiEEEESL_NS6_8equal_toIiEEEENSG_9not_fun_tINSD_8identityEEEEENSD_19counting_iterator_tIlEES8_S8_S8_S8_S8_S8_S8_S8_EEEEPS9_S9_NSD_9__find_if7functorIS9_EEEE10hipError_tPvRmT1_T2_T3_mT4_P12ihipStream_tbEUlT_E1_NS1_11comp_targetILNS1_3genE8ELNS1_11target_archE1030ELNS1_3gpuE2ELNS1_3repE0EEENS1_30default_config_static_selectorELNS0_4arch9wavefront6targetE0EEEvS14_
	.p2align	8
	.type	_ZN7rocprim17ROCPRIM_400000_NS6detail17trampoline_kernelINS0_14default_configENS1_22reduce_config_selectorIN6thrust23THRUST_200600_302600_NS5tupleIblNS6_9null_typeES8_S8_S8_S8_S8_S8_S8_EEEEZNS1_11reduce_implILb1ES3_NS6_12zip_iteratorINS7_INS6_11hip_rocprim26transform_input_iterator_tIbNSD_35transform_pair_of_input_iterators_tIbNS6_6detail15normal_iteratorINS6_10device_ptrIKiEEEESL_NS6_8equal_toIiEEEENSG_9not_fun_tINSD_8identityEEEEENSD_19counting_iterator_tIlEES8_S8_S8_S8_S8_S8_S8_S8_EEEEPS9_S9_NSD_9__find_if7functorIS9_EEEE10hipError_tPvRmT1_T2_T3_mT4_P12ihipStream_tbEUlT_E1_NS1_11comp_targetILNS1_3genE8ELNS1_11target_archE1030ELNS1_3gpuE2ELNS1_3repE0EEENS1_30default_config_static_selectorELNS0_4arch9wavefront6targetE0EEEvS14_,@function
_ZN7rocprim17ROCPRIM_400000_NS6detail17trampoline_kernelINS0_14default_configENS1_22reduce_config_selectorIN6thrust23THRUST_200600_302600_NS5tupleIblNS6_9null_typeES8_S8_S8_S8_S8_S8_S8_EEEEZNS1_11reduce_implILb1ES3_NS6_12zip_iteratorINS7_INS6_11hip_rocprim26transform_input_iterator_tIbNSD_35transform_pair_of_input_iterators_tIbNS6_6detail15normal_iteratorINS6_10device_ptrIKiEEEESL_NS6_8equal_toIiEEEENSG_9not_fun_tINSD_8identityEEEEENSD_19counting_iterator_tIlEES8_S8_S8_S8_S8_S8_S8_S8_EEEEPS9_S9_NSD_9__find_if7functorIS9_EEEE10hipError_tPvRmT1_T2_T3_mT4_P12ihipStream_tbEUlT_E1_NS1_11comp_targetILNS1_3genE8ELNS1_11target_archE1030ELNS1_3gpuE2ELNS1_3repE0EEENS1_30default_config_static_selectorELNS0_4arch9wavefront6targetE0EEEvS14_: ; @_ZN7rocprim17ROCPRIM_400000_NS6detail17trampoline_kernelINS0_14default_configENS1_22reduce_config_selectorIN6thrust23THRUST_200600_302600_NS5tupleIblNS6_9null_typeES8_S8_S8_S8_S8_S8_S8_EEEEZNS1_11reduce_implILb1ES3_NS6_12zip_iteratorINS7_INS6_11hip_rocprim26transform_input_iterator_tIbNSD_35transform_pair_of_input_iterators_tIbNS6_6detail15normal_iteratorINS6_10device_ptrIKiEEEESL_NS6_8equal_toIiEEEENSG_9not_fun_tINSD_8identityEEEEENSD_19counting_iterator_tIlEES8_S8_S8_S8_S8_S8_S8_S8_EEEEPS9_S9_NSD_9__find_if7functorIS9_EEEE10hipError_tPvRmT1_T2_T3_mT4_P12ihipStream_tbEUlT_E1_NS1_11comp_targetILNS1_3genE8ELNS1_11target_archE1030ELNS1_3gpuE2ELNS1_3repE0EEENS1_30default_config_static_selectorELNS0_4arch9wavefront6targetE0EEEvS14_
; %bb.0:
	s_clause 0x4
	s_load_dword s25, s[4:5], 0x4
	s_load_dwordx4 s[16:19], s[4:5], 0x8
	s_load_dwordx4 s[12:15], s[4:5], 0x28
	s_load_dword s24, s[4:5], 0x40
	s_load_dwordx2 s[20:21], s[4:5], 0x48
	s_waitcnt lgkmcnt(0)
	s_cmp_lt_i32 s25, 4
	s_cbranch_scc1 .LBB278_21
; %bb.1:
	s_cmp_gt_i32 s25, 7
	s_cbranch_scc0 .LBB278_22
; %bb.2:
	s_cmp_eq_u32 s25, 8
	s_mov_b32 s26, 0
	s_cbranch_scc0 .LBB278_23
; %bb.3:
	s_mov_b32 s7, 0
	s_lshl_b32 s8, s6, 11
	s_mov_b32 s9, s7
	s_lshr_b64 s[2:3], s[14:15], 11
	s_lshl_b64 s[0:1], s[8:9], 2
	s_add_u32 s10, s16, s0
	s_addc_u32 s11, s17, s1
	s_add_u32 s22, s18, s0
	s_addc_u32 s23, s19, s1
	;; [unrolled: 2-line block ×3, first 2 shown]
	s_cmp_lg_u64 s[2:3], s[6:7]
	s_cbranch_scc0 .LBB278_44
; %bb.4:
	v_lshlrev_b32_e32 v1, 2, v0
	s_clause 0x3
	global_load_dword v13, v1, s[10:11]
	global_load_dword v14, v1, s[22:23]
	global_load_dword v15, v1, s[22:23] offset:1024
	global_load_dword v16, v1, s[10:11] offset:1024
	v_add_co_u32 v9, s0, s10, v1
	v_add_co_ci_u32_e64 v10, null, s11, 0, s0
	v_add_co_u32 v11, s0, s22, v1
	v_add_co_u32 v1, vcc_lo, 0x800, v9
	v_add_co_ci_u32_e64 v12, null, s23, 0, s0
	v_add_co_ci_u32_e64 v2, null, 0, v10, vcc_lo
	v_add_co_u32 v3, vcc_lo, v9, 0x1000
	v_add_co_ci_u32_e64 v4, null, 0, v10, vcc_lo
	v_add_co_u32 v5, vcc_lo, 0x800, v11
	v_add_co_ci_u32_e64 v6, null, 0, v12, vcc_lo
	v_add_co_u32 v7, vcc_lo, v11, 0x1000
	global_load_dword v17, v[1:2], off offset:1024
	global_load_dword v18, v[5:6], off offset:1024
	v_add_co_ci_u32_e64 v8, null, 0, v12, vcc_lo
	v_add_co_u32 v1, vcc_lo, 0x1000, v9
	v_add_co_ci_u32_e64 v2, null, 0, v10, vcc_lo
	v_add_co_u32 v5, vcc_lo, 0x1000, v11
	v_add_co_ci_u32_e64 v6, null, 0, v12, vcc_lo
	s_clause 0x1
	global_load_dword v19, v[3:4], off offset:-2048
	global_load_dword v20, v[3:4], off
	s_clause 0x1
	global_load_dword v21, v[7:8], off offset:-2048
	global_load_dword v7, v[7:8], off
	global_load_dword v8, v[1:2], off offset:1024
	global_load_dword v5, v[5:6], off offset:1024
	v_add_co_u32 v1, vcc_lo, 0x1800, v11
	v_add_co_ci_u32_e64 v2, null, 0, v12, vcc_lo
	v_add_co_u32 v3, vcc_lo, 0x1800, v9
	v_add_co_ci_u32_e64 v4, null, 0, v10, vcc_lo
	global_load_dword v6, v[1:2], off
	s_clause 0x1
	global_load_dword v9, v[3:4], off
	global_load_dword v3, v[3:4], off offset:1024
	global_load_dword v1, v[1:2], off offset:1024
	v_mov_b32_e32 v2, 0x100
	v_mov_b32_e32 v4, 0x300
	;; [unrolled: 1-line block ×3, first 2 shown]
	s_waitcnt vmcnt(14)
	v_cmp_ne_u32_e64 s0, v13, v14
	s_waitcnt vmcnt(12)
	v_cmp_ne_u32_e32 vcc_lo, v16, v15
	v_cndmask_b32_e32 v2, 0x200, v2, vcc_lo
	s_or_b32 s3, s0, vcc_lo
	v_cndmask_b32_e64 v2, v2, 0, s0
	s_waitcnt vmcnt(10)
	v_cmp_ne_u32_e64 s0, v17, v18
	v_cndmask_b32_e64 v4, 0x400, v4, s0
	s_waitcnt vmcnt(7)
	v_cmp_ne_u32_e32 vcc_lo, v19, v21
	s_waitcnt vmcnt(6)
	v_cmp_ne_u32_e64 s1, v20, v7
	s_waitcnt vmcnt(4)
	v_cmp_ne_u32_e64 s2, v8, v5
	s_or_b32 vcc_lo, s3, vcc_lo
	v_cndmask_b32_e32 v2, v4, v2, vcc_lo
	v_cndmask_b32_e64 v5, 0x600, v10, s2
	s_or_b32 s0, vcc_lo, s0
	s_or_b32 s0, s0, s1
	s_waitcnt vmcnt(2)
	v_cmp_ne_u32_e32 vcc_lo, v9, v6
	v_cndmask_b32_e64 v2, v5, v2, s0
	s_or_b32 s0, s0, s2
	s_or_b32 vcc_lo, s0, vcc_lo
	v_add_co_u32 v4, s0, s28, v0
	v_cndmask_b32_e32 v2, 0x700, v2, vcc_lo
	v_add_co_ci_u32_e64 v5, null, s29, 0, s0
	s_waitcnt vmcnt(0)
	v_cmp_ne_u32_e64 s0, v3, v1
	v_add_co_u32 v1, s1, v4, v2
	v_add_co_ci_u32_e64 v2, null, 0, v5, s1
	s_or_b32 s0, vcc_lo, s0
	v_mov_b32_dpp v3, v1 quad_perm:[1,0,3,2] row_mask:0xf bank_mask:0xf
	v_cndmask_b32_e64 v5, 0, 1, s0
	v_mov_b32_dpp v4, v2 quad_perm:[1,0,3,2] row_mask:0xf bank_mask:0xf
	v_mov_b32_dpp v6, v5 quad_perm:[1,0,3,2] row_mask:0xf bank_mask:0xf
	v_cmp_lt_i64_e32 vcc_lo, v[1:2], v[3:4]
	v_and_b32_e32 v6, 1, v6
	s_and_b32 vcc_lo, s0, vcc_lo
	v_cndmask_b32_e32 v3, v3, v1, vcc_lo
	v_cndmask_b32_e32 v4, v4, v2, vcc_lo
	v_cmp_eq_u32_e32 vcc_lo, 1, v6
	v_cndmask_b32_e32 v2, v2, v4, vcc_lo
	v_cndmask_b32_e32 v1, v1, v3, vcc_lo
	v_cndmask_b32_e64 v5, v5, 1, vcc_lo
	v_mov_b32_dpp v4, v2 quad_perm:[2,3,0,1] row_mask:0xf bank_mask:0xf
	v_mov_b32_dpp v3, v1 quad_perm:[2,3,0,1] row_mask:0xf bank_mask:0xf
	v_and_b32_e32 v7, 1, v5
	v_mov_b32_dpp v6, v5 quad_perm:[2,3,0,1] row_mask:0xf bank_mask:0xf
	v_cmp_lt_i64_e32 vcc_lo, v[1:2], v[3:4]
	v_cmp_eq_u32_e64 s0, 1, v7
	v_and_b32_e32 v6, 1, v6
	s_and_b32 vcc_lo, s0, vcc_lo
	v_cmp_eq_u32_e64 s1, 1, v6
	v_cndmask_b32_e32 v3, v3, v1, vcc_lo
	v_cndmask_b32_e32 v4, v4, v2, vcc_lo
	v_cndmask_b32_e64 v5, v5, 1, s1
	v_cndmask_b32_e64 v1, v1, v3, s1
	;; [unrolled: 1-line block ×3, first 2 shown]
	v_and_b32_e32 v7, 1, v5
	v_mov_b32_dpp v3, v1 row_ror:4 row_mask:0xf bank_mask:0xf
	v_mov_b32_dpp v4, v2 row_ror:4 row_mask:0xf bank_mask:0xf
	;; [unrolled: 1-line block ×3, first 2 shown]
	v_cmp_eq_u32_e64 s0, 1, v7
	v_cmp_lt_i64_e32 vcc_lo, v[1:2], v[3:4]
	v_and_b32_e32 v6, 1, v6
	s_and_b32 vcc_lo, s0, vcc_lo
	v_cmp_eq_u32_e64 s1, 1, v6
	v_cndmask_b32_e32 v3, v3, v1, vcc_lo
	v_cndmask_b32_e32 v4, v4, v2, vcc_lo
	v_cndmask_b32_e64 v5, v5, 1, s1
	v_cndmask_b32_e64 v1, v1, v3, s1
	;; [unrolled: 1-line block ×3, first 2 shown]
	v_and_b32_e32 v7, 1, v5
	v_mov_b32_dpp v3, v1 row_ror:8 row_mask:0xf bank_mask:0xf
	v_mov_b32_dpp v4, v2 row_ror:8 row_mask:0xf bank_mask:0xf
	;; [unrolled: 1-line block ×3, first 2 shown]
	v_cmp_eq_u32_e64 s0, 1, v7
	v_cmp_lt_i64_e32 vcc_lo, v[1:2], v[3:4]
	v_and_b32_e32 v6, 1, v6
	s_and_b32 vcc_lo, s0, vcc_lo
	v_cmp_eq_u32_e64 s1, 1, v6
	v_cndmask_b32_e32 v3, v3, v1, vcc_lo
	v_cndmask_b32_e32 v4, v4, v2, vcc_lo
	v_cndmask_b32_e64 v5, v5, 1, s1
	v_cndmask_b32_e64 v1, v1, v3, s1
	;; [unrolled: 1-line block ×3, first 2 shown]
	ds_swizzle_b32 v6, v5 offset:swizzle(BROADCAST,32,15)
	ds_swizzle_b32 v3, v1 offset:swizzle(BROADCAST,32,15)
	;; [unrolled: 1-line block ×3, first 2 shown]
	v_and_b32_e32 v7, 1, v5
	v_cmp_eq_u32_e64 s0, 1, v7
	v_mbcnt_lo_u32_b32 v7, -1, 0
	s_waitcnt lgkmcnt(2)
	v_and_b32_e32 v6, 1, v6
	s_waitcnt lgkmcnt(0)
	v_cmp_lt_i64_e32 vcc_lo, v[1:2], v[3:4]
	v_cmp_eq_u32_e64 s1, 1, v6
	v_mov_b32_e32 v6, 0
	s_and_b32 vcc_lo, s0, vcc_lo
	s_mov_b32 s0, exec_lo
	v_cndmask_b32_e32 v3, v3, v1, vcc_lo
	v_cndmask_b32_e32 v4, v4, v2, vcc_lo
	v_cndmask_b32_e64 v5, v5, 1, s1
	v_cndmask_b32_e64 v1, v1, v3, s1
	v_cndmask_b32_e64 v2, v2, v4, s1
	ds_bpermute_b32 v17, v6, v5 offset:124
	ds_bpermute_b32 v1, v6, v1 offset:124
	;; [unrolled: 1-line block ×3, first 2 shown]
	v_cmpx_eq_u32_e32 0, v7
	s_cbranch_execz .LBB278_6
; %bb.5:
	v_lshrrev_b32_e32 v3, 1, v0
	v_and_b32_e32 v3, 0x70, v3
	s_waitcnt lgkmcnt(2)
	ds_write_b8 v3, v17 offset:384
	s_waitcnt lgkmcnt(1)
	ds_write_b64 v3, v[1:2] offset:392
.LBB278_6:
	s_or_b32 exec_lo, exec_lo, s0
	s_mov_b32 s0, exec_lo
	s_waitcnt lgkmcnt(0)
	s_barrier
	buffer_gl0_inv
	v_cmpx_gt_u32_e32 32, v0
	s_cbranch_execz .LBB278_20
; %bb.7:
	v_and_b32_e32 v8, 7, v7
	v_lshlrev_b32_e32 v1, 4, v8
	v_cmp_ne_u32_e32 vcc_lo, 7, v8
	ds_read_u8 v10, v1 offset:384
	ds_read_b64 v[3:4], v1 offset:392
	v_add_co_ci_u32_e64 v2, null, 0, v7, vcc_lo
	v_lshlrev_b32_e32 v2, 2, v2
	s_waitcnt lgkmcnt(1)
	v_and_b32_e32 v1, 0xff, v10
	s_waitcnt lgkmcnt(0)
	ds_bpermute_b32 v5, v2, v3
	ds_bpermute_b32 v6, v2, v4
	;; [unrolled: 1-line block ×3, first 2 shown]
	s_waitcnt lgkmcnt(0)
	v_and_b32_e32 v1, v10, v11
	v_and_b32_e32 v1, 1, v1
	v_cmp_eq_u32_e32 vcc_lo, 1, v1
                                        ; implicit-def: $vgpr1_vgpr2
	s_and_saveexec_b32 s1, vcc_lo
	s_xor_b32 s1, exec_lo, s1
; %bb.8:
	v_cmp_lt_i64_e32 vcc_lo, v[5:6], v[3:4]
                                        ; implicit-def: $vgpr10
                                        ; implicit-def: $vgpr11
	v_cndmask_b32_e32 v2, v4, v6, vcc_lo
	v_cndmask_b32_e32 v1, v3, v5, vcc_lo
                                        ; implicit-def: $vgpr5_vgpr6
                                        ; implicit-def: $vgpr3_vgpr4
; %bb.9:
	s_or_saveexec_b32 s1, s1
	v_mov_b32_e32 v9, 1
	s_xor_b32 exec_lo, exec_lo, s1
; %bb.10:
	v_and_b32_e32 v1, 1, v10
	v_and_b32_e32 v9, 0xff, v11
	v_cmp_eq_u32_e32 vcc_lo, 1, v1
	v_cndmask_b32_e32 v2, v6, v4, vcc_lo
	v_cndmask_b32_e32 v1, v5, v3, vcc_lo
	v_cndmask_b32_e64 v9, v9, 1, vcc_lo
; %bb.11:
	s_or_b32 exec_lo, exec_lo, s1
	v_cmp_gt_u32_e32 vcc_lo, 6, v8
	v_cndmask_b32_e64 v3, 0, 2, vcc_lo
	v_add_lshl_u32 v3, v3, v7, 2
	ds_bpermute_b32 v8, v3, v9
	ds_bpermute_b32 v5, v3, v1
	;; [unrolled: 1-line block ×3, first 2 shown]
	s_waitcnt lgkmcnt(2)
	v_and_b32_e32 v3, v9, v8
	v_and_b32_e32 v3, 1, v3
	v_cmp_eq_u32_e32 vcc_lo, 1, v3
                                        ; implicit-def: $vgpr3_vgpr4
	s_and_saveexec_b32 s1, vcc_lo
	s_xor_b32 s1, exec_lo, s1
	s_cbranch_execz .LBB278_13
; %bb.12:
	s_waitcnt lgkmcnt(0)
	v_cmp_lt_i64_e32 vcc_lo, v[5:6], v[1:2]
                                        ; implicit-def: $vgpr9
                                        ; implicit-def: $vgpr8
	v_cndmask_b32_e32 v4, v2, v6, vcc_lo
	v_cndmask_b32_e32 v3, v1, v5, vcc_lo
                                        ; implicit-def: $vgpr5_vgpr6
                                        ; implicit-def: $vgpr1_vgpr2
.LBB278_13:
	s_or_saveexec_b32 s1, s1
	v_lshlrev_b32_e32 v10, 2, v7
	v_mov_b32_e32 v7, 1
	s_xor_b32 exec_lo, exec_lo, s1
	s_cbranch_execz .LBB278_15
; %bb.14:
	v_and_b32_e32 v3, 1, v9
	v_and_b32_e32 v7, 0xff, v8
	v_cmp_eq_u32_e32 vcc_lo, 1, v3
	s_waitcnt lgkmcnt(0)
	v_cndmask_b32_e32 v4, v6, v2, vcc_lo
	v_cndmask_b32_e32 v3, v5, v1, vcc_lo
	v_cndmask_b32_e64 v7, v7, 1, vcc_lo
.LBB278_15:
	s_or_b32 exec_lo, exec_lo, s1
	v_or_b32_e32 v1, 16, v10
	ds_bpermute_b32 v8, v1, v7
	s_waitcnt lgkmcnt(2)
	ds_bpermute_b32 v5, v1, v3
	s_waitcnt lgkmcnt(2)
	;; [unrolled: 2-line block ×3, first 2 shown]
	v_and_b32_e32 v1, v7, v8
	v_and_b32_e32 v1, 1, v1
	v_cmp_eq_u32_e32 vcc_lo, 1, v1
                                        ; implicit-def: $vgpr1_vgpr2
	s_and_saveexec_b32 s1, vcc_lo
	s_xor_b32 s1, exec_lo, s1
	s_cbranch_execz .LBB278_17
; %bb.16:
	s_waitcnt lgkmcnt(0)
	v_cmp_lt_i64_e32 vcc_lo, v[5:6], v[3:4]
                                        ; implicit-def: $vgpr7
                                        ; implicit-def: $vgpr8
	v_cndmask_b32_e32 v2, v4, v6, vcc_lo
	v_cndmask_b32_e32 v1, v3, v5, vcc_lo
                                        ; implicit-def: $vgpr5_vgpr6
                                        ; implicit-def: $vgpr3_vgpr4
.LBB278_17:
	s_or_saveexec_b32 s1, s1
	v_mov_b32_e32 v17, 1
	s_xor_b32 exec_lo, exec_lo, s1
	s_cbranch_execz .LBB278_19
; %bb.18:
	v_and_b32_e32 v1, 1, v7
	v_cmp_eq_u32_e32 vcc_lo, 1, v1
	s_waitcnt lgkmcnt(0)
	v_cndmask_b32_e32 v2, v6, v4, vcc_lo
	v_cndmask_b32_e32 v1, v5, v3, vcc_lo
	v_cndmask_b32_e64 v17, v8, 1, vcc_lo
.LBB278_19:
	s_or_b32 exec_lo, exec_lo, s1
.LBB278_20:
	s_or_b32 exec_lo, exec_lo, s0
	s_branch .LBB278_167
.LBB278_21:
	s_mov_b32 s22, 0
                                        ; implicit-def: $vgpr3_vgpr4
                                        ; implicit-def: $vgpr5
                                        ; implicit-def: $vgpr1_vgpr2
	s_cbranch_execnz .LBB278_247
	s_branch .LBB278_356
.LBB278_22:
	s_mov_b32 s26, -1
.LBB278_23:
	s_mov_b32 s22, 0
                                        ; implicit-def: $vgpr3_vgpr4
                                        ; implicit-def: $vgpr5
                                        ; implicit-def: $vgpr1_vgpr2
	s_and_b32 vcc_lo, exec_lo, s26
	s_cbranch_vccz .LBB278_172
.LBB278_24:
	s_cmp_eq_u32 s25, 4
	s_cbranch_scc0 .LBB278_43
; %bb.25:
	s_mov_b32 s7, 0
	s_lshl_b32 s10, s6, 10
	s_mov_b32 s11, s7
	s_lshr_b64 s[26:27], s[14:15], 10
	s_lshl_b64 s[0:1], s[10:11], 2
	s_add_u32 s2, s16, s0
	s_addc_u32 s3, s17, s1
	s_add_u32 s8, s18, s0
	s_addc_u32 s9, s19, s1
	;; [unrolled: 2-line block ×3, first 2 shown]
	s_cmp_lg_u64 s[26:27], s[6:7]
	s_cbranch_scc0 .LBB278_67
; %bb.26:
	s_waitcnt lgkmcnt(1)
	v_lshlrev_b32_e32 v5, 2, v0
	v_add_co_u32 v1, s0, s2, v5
	v_add_co_ci_u32_e64 v2, null, s3, 0, s0
	v_add_co_u32 v3, s0, s8, v5
	s_waitcnt lgkmcnt(0)
	v_add_co_ci_u32_e64 v4, null, s9, 0, s0
	v_add_co_u32 v1, vcc_lo, 0x800, v1
	v_add_co_ci_u32_e64 v2, null, 0, v2, vcc_lo
	v_add_co_u32 v3, vcc_lo, 0x800, v3
	v_add_co_ci_u32_e64 v4, null, 0, v4, vcc_lo
	s_clause 0x3
	global_load_dword v6, v5, s[8:9] offset:1024
	global_load_dword v7, v5, s[2:3] offset:1024
	global_load_dword v8, v5, s[8:9]
	global_load_dword v5, v5, s[2:3]
	global_load_dword v9, v[3:4], off
	s_clause 0x1
	global_load_dword v10, v[1:2], off
	global_load_dword v1, v[1:2], off offset:1024
	global_load_dword v2, v[3:4], off offset:1024
	v_mov_b32_e32 v3, 0x100
	s_waitcnt vmcnt(6)
	v_cmp_ne_u32_e32 vcc_lo, v7, v6
	s_waitcnt vmcnt(4)
	v_cmp_ne_u32_e64 s0, v5, v8
	s_waitcnt vmcnt(2)
	v_cmp_ne_u32_e64 s1, v10, v9
	v_cndmask_b32_e32 v3, 0x200, v3, vcc_lo
	v_cndmask_b32_e64 v3, v3, 0, s0
	s_or_b32 s0, s0, vcc_lo
	s_or_b32 vcc_lo, s0, s1
	v_add_co_u32 v4, s0, s11, v0
	v_cndmask_b32_e32 v3, 0x300, v3, vcc_lo
	v_add_co_ci_u32_e64 v5, null, s23, 0, s0
	s_waitcnt vmcnt(0)
	v_cmp_ne_u32_e64 s0, v1, v2
	v_add_co_u32 v1, s1, v4, v3
	v_add_co_ci_u32_e64 v2, null, 0, v5, s1
	s_or_b32 s0, vcc_lo, s0
	v_mov_b32_dpp v3, v1 quad_perm:[1,0,3,2] row_mask:0xf bank_mask:0xf
	v_cndmask_b32_e64 v5, 0, 1, s0
	v_mov_b32_dpp v4, v2 quad_perm:[1,0,3,2] row_mask:0xf bank_mask:0xf
	v_mov_b32_dpp v6, v5 quad_perm:[1,0,3,2] row_mask:0xf bank_mask:0xf
	v_cmp_lt_i64_e32 vcc_lo, v[1:2], v[3:4]
	v_and_b32_e32 v6, 1, v6
	s_and_b32 vcc_lo, s0, vcc_lo
	v_cndmask_b32_e32 v3, v3, v1, vcc_lo
	v_cndmask_b32_e32 v4, v4, v2, vcc_lo
	v_cmp_eq_u32_e32 vcc_lo, 1, v6
	v_cndmask_b32_e32 v2, v2, v4, vcc_lo
	v_cndmask_b32_e32 v1, v1, v3, vcc_lo
	v_cndmask_b32_e64 v5, v5, 1, vcc_lo
	v_mov_b32_dpp v4, v2 quad_perm:[2,3,0,1] row_mask:0xf bank_mask:0xf
	v_mov_b32_dpp v3, v1 quad_perm:[2,3,0,1] row_mask:0xf bank_mask:0xf
	v_and_b32_e32 v7, 1, v5
	v_mov_b32_dpp v6, v5 quad_perm:[2,3,0,1] row_mask:0xf bank_mask:0xf
	v_cmp_lt_i64_e32 vcc_lo, v[1:2], v[3:4]
	v_cmp_eq_u32_e64 s0, 1, v7
	v_and_b32_e32 v6, 1, v6
	s_and_b32 vcc_lo, s0, vcc_lo
	v_cmp_eq_u32_e64 s1, 1, v6
	v_cndmask_b32_e32 v3, v3, v1, vcc_lo
	v_cndmask_b32_e32 v4, v4, v2, vcc_lo
	v_cndmask_b32_e64 v5, v5, 1, s1
	v_cndmask_b32_e64 v1, v1, v3, s1
	;; [unrolled: 1-line block ×3, first 2 shown]
	v_and_b32_e32 v7, 1, v5
	v_mov_b32_dpp v3, v1 row_ror:4 row_mask:0xf bank_mask:0xf
	v_mov_b32_dpp v4, v2 row_ror:4 row_mask:0xf bank_mask:0xf
	;; [unrolled: 1-line block ×3, first 2 shown]
	v_cmp_eq_u32_e64 s0, 1, v7
	v_cmp_lt_i64_e32 vcc_lo, v[1:2], v[3:4]
	v_and_b32_e32 v6, 1, v6
	s_and_b32 vcc_lo, s0, vcc_lo
	v_cmp_eq_u32_e64 s1, 1, v6
	v_cndmask_b32_e32 v3, v3, v1, vcc_lo
	v_cndmask_b32_e32 v4, v4, v2, vcc_lo
	v_cndmask_b32_e64 v5, v5, 1, s1
	v_cndmask_b32_e64 v1, v1, v3, s1
	;; [unrolled: 1-line block ×3, first 2 shown]
	v_and_b32_e32 v7, 1, v5
	v_mov_b32_dpp v3, v1 row_ror:8 row_mask:0xf bank_mask:0xf
	v_mov_b32_dpp v4, v2 row_ror:8 row_mask:0xf bank_mask:0xf
	;; [unrolled: 1-line block ×3, first 2 shown]
	v_cmp_eq_u32_e64 s0, 1, v7
	v_cmp_lt_i64_e32 vcc_lo, v[1:2], v[3:4]
	v_and_b32_e32 v6, 1, v6
	s_and_b32 vcc_lo, s0, vcc_lo
	v_cmp_eq_u32_e64 s1, 1, v6
	v_cndmask_b32_e32 v3, v3, v1, vcc_lo
	v_cndmask_b32_e32 v4, v4, v2, vcc_lo
	v_cndmask_b32_e64 v5, v5, 1, s1
	v_cndmask_b32_e64 v1, v1, v3, s1
	;; [unrolled: 1-line block ×3, first 2 shown]
	ds_swizzle_b32 v6, v5 offset:swizzle(BROADCAST,32,15)
	ds_swizzle_b32 v3, v1 offset:swizzle(BROADCAST,32,15)
	;; [unrolled: 1-line block ×3, first 2 shown]
	v_and_b32_e32 v7, 1, v5
	v_cmp_eq_u32_e64 s0, 1, v7
	v_mbcnt_lo_u32_b32 v7, -1, 0
	s_waitcnt lgkmcnt(2)
	v_and_b32_e32 v6, 1, v6
	s_waitcnt lgkmcnt(0)
	v_cmp_lt_i64_e32 vcc_lo, v[1:2], v[3:4]
	v_cmp_eq_u32_e64 s1, 1, v6
	v_mov_b32_e32 v6, 0
	s_and_b32 vcc_lo, s0, vcc_lo
	s_mov_b32 s0, exec_lo
	v_cndmask_b32_e32 v3, v3, v1, vcc_lo
	v_cndmask_b32_e32 v4, v4, v2, vcc_lo
	v_cndmask_b32_e64 v5, v5, 1, s1
	v_cndmask_b32_e64 v1, v1, v3, s1
	;; [unrolled: 1-line block ×3, first 2 shown]
	ds_bpermute_b32 v9, v6, v5 offset:124
	ds_bpermute_b32 v1, v6, v1 offset:124
	;; [unrolled: 1-line block ×3, first 2 shown]
	v_cmpx_eq_u32_e32 0, v7
	s_cbranch_execz .LBB278_28
; %bb.27:
	v_lshrrev_b32_e32 v3, 1, v0
	v_and_b32_e32 v3, 0x70, v3
	s_waitcnt lgkmcnt(2)
	ds_write_b8 v3, v9 offset:256
	s_waitcnt lgkmcnt(1)
	ds_write_b64 v3, v[1:2] offset:264
.LBB278_28:
	s_or_b32 exec_lo, exec_lo, s0
	s_mov_b32 s0, exec_lo
	s_waitcnt lgkmcnt(0)
	s_barrier
	buffer_gl0_inv
	v_cmpx_gt_u32_e32 32, v0
	s_cbranch_execz .LBB278_42
; %bb.29:
	v_and_b32_e32 v8, 7, v7
	v_lshlrev_b32_e32 v1, 4, v8
	v_cmp_ne_u32_e32 vcc_lo, 7, v8
	ds_read_u8 v10, v1 offset:256
	ds_read_b64 v[3:4], v1 offset:264
	v_add_co_ci_u32_e64 v2, null, 0, v7, vcc_lo
	v_lshlrev_b32_e32 v2, 2, v2
	s_waitcnt lgkmcnt(1)
	v_and_b32_e32 v1, 0xff, v10
	s_waitcnt lgkmcnt(0)
	ds_bpermute_b32 v5, v2, v3
	ds_bpermute_b32 v6, v2, v4
	;; [unrolled: 1-line block ×3, first 2 shown]
	s_waitcnt lgkmcnt(0)
	v_and_b32_e32 v1, v10, v11
	v_and_b32_e32 v1, 1, v1
	v_cmp_eq_u32_e32 vcc_lo, 1, v1
                                        ; implicit-def: $vgpr1_vgpr2
	s_and_saveexec_b32 s1, vcc_lo
	s_xor_b32 s1, exec_lo, s1
; %bb.30:
	v_cmp_lt_i64_e32 vcc_lo, v[5:6], v[3:4]
                                        ; implicit-def: $vgpr10
                                        ; implicit-def: $vgpr11
	v_cndmask_b32_e32 v2, v4, v6, vcc_lo
	v_cndmask_b32_e32 v1, v3, v5, vcc_lo
                                        ; implicit-def: $vgpr5_vgpr6
                                        ; implicit-def: $vgpr3_vgpr4
; %bb.31:
	s_or_saveexec_b32 s1, s1
	v_mov_b32_e32 v9, 1
	s_xor_b32 exec_lo, exec_lo, s1
; %bb.32:
	v_and_b32_e32 v1, 1, v10
	v_and_b32_e32 v9, 0xff, v11
	v_cmp_eq_u32_e32 vcc_lo, 1, v1
	v_cndmask_b32_e32 v2, v6, v4, vcc_lo
	v_cndmask_b32_e32 v1, v5, v3, vcc_lo
	v_cndmask_b32_e64 v9, v9, 1, vcc_lo
; %bb.33:
	s_or_b32 exec_lo, exec_lo, s1
	v_cmp_gt_u32_e32 vcc_lo, 6, v8
	v_cndmask_b32_e64 v3, 0, 2, vcc_lo
	v_add_lshl_u32 v3, v3, v7, 2
	ds_bpermute_b32 v8, v3, v9
	ds_bpermute_b32 v5, v3, v1
	;; [unrolled: 1-line block ×3, first 2 shown]
	s_waitcnt lgkmcnt(2)
	v_and_b32_e32 v3, v9, v8
	v_and_b32_e32 v3, 1, v3
	v_cmp_eq_u32_e32 vcc_lo, 1, v3
                                        ; implicit-def: $vgpr3_vgpr4
	s_and_saveexec_b32 s1, vcc_lo
	s_xor_b32 s1, exec_lo, s1
	s_cbranch_execz .LBB278_35
; %bb.34:
	s_waitcnt lgkmcnt(0)
	v_cmp_lt_i64_e32 vcc_lo, v[5:6], v[1:2]
                                        ; implicit-def: $vgpr9
                                        ; implicit-def: $vgpr8
	v_cndmask_b32_e32 v4, v2, v6, vcc_lo
	v_cndmask_b32_e32 v3, v1, v5, vcc_lo
                                        ; implicit-def: $vgpr5_vgpr6
                                        ; implicit-def: $vgpr1_vgpr2
.LBB278_35:
	s_or_saveexec_b32 s1, s1
	v_lshlrev_b32_e32 v10, 2, v7
	v_mov_b32_e32 v7, 1
	s_xor_b32 exec_lo, exec_lo, s1
	s_cbranch_execz .LBB278_37
; %bb.36:
	v_and_b32_e32 v3, 1, v9
	v_and_b32_e32 v7, 0xff, v8
	v_cmp_eq_u32_e32 vcc_lo, 1, v3
	s_waitcnt lgkmcnt(0)
	v_cndmask_b32_e32 v4, v6, v2, vcc_lo
	v_cndmask_b32_e32 v3, v5, v1, vcc_lo
	v_cndmask_b32_e64 v7, v7, 1, vcc_lo
.LBB278_37:
	s_or_b32 exec_lo, exec_lo, s1
	v_or_b32_e32 v1, 16, v10
	ds_bpermute_b32 v8, v1, v7
	s_waitcnt lgkmcnt(2)
	ds_bpermute_b32 v5, v1, v3
	s_waitcnt lgkmcnt(2)
	;; [unrolled: 2-line block ×3, first 2 shown]
	v_and_b32_e32 v1, v7, v8
	v_and_b32_e32 v1, 1, v1
	v_cmp_eq_u32_e32 vcc_lo, 1, v1
                                        ; implicit-def: $vgpr1_vgpr2
	s_and_saveexec_b32 s1, vcc_lo
	s_xor_b32 s1, exec_lo, s1
	s_cbranch_execz .LBB278_39
; %bb.38:
	s_waitcnt lgkmcnt(0)
	v_cmp_lt_i64_e32 vcc_lo, v[5:6], v[3:4]
                                        ; implicit-def: $vgpr7
                                        ; implicit-def: $vgpr8
	v_cndmask_b32_e32 v2, v4, v6, vcc_lo
	v_cndmask_b32_e32 v1, v3, v5, vcc_lo
                                        ; implicit-def: $vgpr5_vgpr6
                                        ; implicit-def: $vgpr3_vgpr4
.LBB278_39:
	s_or_saveexec_b32 s1, s1
	v_mov_b32_e32 v9, 1
	s_xor_b32 exec_lo, exec_lo, s1
	s_cbranch_execz .LBB278_41
; %bb.40:
	v_and_b32_e32 v1, 1, v7
	v_cmp_eq_u32_e32 vcc_lo, 1, v1
	s_waitcnt lgkmcnt(0)
	v_cndmask_b32_e32 v2, v6, v4, vcc_lo
	v_cndmask_b32_e32 v1, v5, v3, vcc_lo
	v_cndmask_b32_e64 v9, v8, 1, vcc_lo
.LBB278_41:
	s_or_b32 exec_lo, exec_lo, s1
.LBB278_42:
	s_or_b32 exec_lo, exec_lo, s0
	s_branch .LBB278_242
.LBB278_43:
                                        ; implicit-def: $vgpr3_vgpr4
                                        ; implicit-def: $vgpr5
                                        ; implicit-def: $vgpr1_vgpr2
	s_branch .LBB278_356
.LBB278_44:
                                        ; implicit-def: $vgpr1_vgpr2
                                        ; implicit-def: $vgpr17
	s_cbranch_execz .LBB278_167
; %bb.45:
	v_mov_b32_e32 v15, 0
	v_mov_b32_e32 v1, 0
	;; [unrolled: 1-line block ×6, first 2 shown]
	s_sub_i32 s27, s14, s8
	s_mov_b32 s0, exec_lo
	v_cmpx_gt_u32_e64 s27, v0
	s_cbranch_execz .LBB278_47
; %bb.46:
	v_lshlrev_b32_e32 v1, 2, v0
	s_clause 0x1
	global_load_dword v3, v1, s[10:11]
	global_load_dword v4, v1, s[22:23]
	v_add_co_u32 v1, s1, s28, v0
	v_add_co_ci_u32_e64 v2, null, s29, 0, s1
	s_waitcnt vmcnt(0)
	v_cmp_ne_u32_e32 vcc_lo, v3, v4
	v_cndmask_b32_e64 v17, 0, 1, vcc_lo
.LBB278_47:
	s_or_b32 exec_lo, exec_lo, s0
	v_or_b32_e32 v3, 0x100, v0
	v_cmp_gt_u32_e64 s9, s27, v3
	s_and_saveexec_b32 s0, s9
	s_cbranch_execz .LBB278_49
; %bb.48:
	v_lshlrev_b32_e32 v4, 2, v0
	v_add_co_u32 v15, s1, s28, v3
	v_add_co_ci_u32_e64 v16, null, s29, 0, s1
	s_waitcnt lgkmcnt(1)
	s_clause 0x1
	global_load_dword v5, v4, s[10:11] offset:1024
	global_load_dword v4, v4, s[22:23] offset:1024
	s_waitcnt vmcnt(0)
	v_cmp_ne_u32_e32 vcc_lo, v5, v4
	v_cndmask_b32_e64 v24, 0, 1, vcc_lo
.LBB278_49:
	s_or_b32 exec_lo, exec_lo, s0
	v_or_b32_e32 v3, 0x200, v0
	v_mov_b32_e32 v11, 0
	v_mov_b32_e32 v13, 0
	;; [unrolled: 1-line block ×5, first 2 shown]
	v_cmp_gt_u32_e64 s8, s27, v3
	v_mov_b32_e32 v23, 0
	s_and_saveexec_b32 s0, s8
	s_cbranch_execz .LBB278_51
; %bb.50:
	v_lshlrev_b32_e32 v4, 2, v3
	v_add_co_u32 v13, s1, s28, v3
	v_add_co_ci_u32_e64 v14, null, s29, 0, s1
	s_waitcnt lgkmcnt(1)
	s_clause 0x1
	global_load_dword v5, v4, s[10:11]
	global_load_dword v4, v4, s[22:23]
	s_waitcnt vmcnt(0)
	v_cmp_ne_u32_e32 vcc_lo, v5, v4
	v_cndmask_b32_e64 v23, 0, 1, vcc_lo
.LBB278_51:
	s_or_b32 exec_lo, exec_lo, s0
	v_or_b32_e32 v3, 0x300, v0
	v_cmp_gt_u32_e64 s3, s27, v3
	s_and_saveexec_b32 s0, s3
	s_cbranch_execz .LBB278_53
; %bb.52:
	v_lshlrev_b32_e32 v4, 2, v3
	v_add_co_u32 v11, s1, s28, v3
	v_add_co_ci_u32_e64 v12, null, s29, 0, s1
	s_waitcnt lgkmcnt(1)
	s_clause 0x1
	global_load_dword v5, v4, s[10:11]
	global_load_dword v4, v4, s[22:23]
	s_waitcnt vmcnt(0)
	v_cmp_ne_u32_e32 vcc_lo, v5, v4
	v_cndmask_b32_e64 v22, 0, 1, vcc_lo
.LBB278_53:
	s_or_b32 exec_lo, exec_lo, s0
	v_or_b32_e32 v3, 0x400, v0
	v_mov_b32_e32 v7, 0
	v_mov_b32_e32 v9, 0
	;; [unrolled: 1-line block ×5, first 2 shown]
	v_cmp_gt_u32_e64 s2, s27, v3
	v_mov_b32_e32 v21, 0
	s_and_saveexec_b32 s0, s2
	s_cbranch_execz .LBB278_55
; %bb.54:
	v_lshlrev_b32_e32 v4, 2, v3
	v_add_co_u32 v9, s1, s28, v3
	v_add_co_ci_u32_e64 v10, null, s29, 0, s1
	s_waitcnt lgkmcnt(1)
	s_clause 0x1
	global_load_dword v5, v4, s[10:11]
	global_load_dword v4, v4, s[22:23]
	s_waitcnt vmcnt(0)
	v_cmp_ne_u32_e32 vcc_lo, v5, v4
	v_cndmask_b32_e64 v21, 0, 1, vcc_lo
.LBB278_55:
	s_or_b32 exec_lo, exec_lo, s0
	v_or_b32_e32 v3, 0x500, v0
	v_cmp_gt_u32_e64 s1, s27, v3
	s_and_saveexec_b32 s0, s1
	s_cbranch_execz .LBB278_57
; %bb.56:
	v_lshlrev_b32_e32 v4, 2, v3
	v_add_co_u32 v7, s30, s28, v3
	v_add_co_ci_u32_e64 v8, null, s29, 0, s30
	s_waitcnt lgkmcnt(1)
	s_clause 0x1
	global_load_dword v5, v4, s[10:11]
	global_load_dword v4, v4, s[22:23]
	s_waitcnt vmcnt(0)
	v_cmp_ne_u32_e32 vcc_lo, v5, v4
	v_cndmask_b32_e64 v20, 0, 1, vcc_lo
.LBB278_57:
	s_or_b32 exec_lo, exec_lo, s0
	v_or_b32_e32 v25, 0x600, v0
	v_mov_b32_e32 v3, 0
	s_waitcnt lgkmcnt(0)
	v_mov_b32_e32 v5, 0
	v_mov_b32_e32 v4, 0
	;; [unrolled: 1-line block ×4, first 2 shown]
	v_cmp_gt_u32_e64 s0, s27, v25
	v_mov_b32_e32 v19, 0
	s_and_saveexec_b32 s30, s0
	s_cbranch_execz .LBB278_59
; %bb.58:
	v_lshlrev_b32_e32 v5, 2, v25
	s_clause 0x1
	global_load_dword v19, v5, s[10:11]
	global_load_dword v26, v5, s[22:23]
	v_add_co_u32 v5, s31, s28, v25
	v_add_co_ci_u32_e64 v6, null, s29, 0, s31
	s_waitcnt vmcnt(0)
	v_cmp_ne_u32_e32 vcc_lo, v19, v26
	v_cndmask_b32_e64 v19, 0, 1, vcc_lo
.LBB278_59:
	s_or_b32 exec_lo, exec_lo, s30
	v_or_b32_e32 v25, 0x700, v0
	v_cmp_gt_u32_e32 vcc_lo, s27, v25
	s_and_saveexec_b32 s30, vcc_lo
	s_cbranch_execnz .LBB278_78
; %bb.60:
	s_or_b32 exec_lo, exec_lo, s30
	s_and_saveexec_b32 s11, s9
	s_cbranch_execnz .LBB278_79
.LBB278_61:
	s_or_b32 exec_lo, exec_lo, s11
	s_and_saveexec_b32 s10, s8
	s_cbranch_execnz .LBB278_84
.LBB278_62:
	s_or_b32 exec_lo, exec_lo, s10
	s_and_saveexec_b32 s9, s3
	s_cbranch_execnz .LBB278_89
.LBB278_63:
	s_or_b32 exec_lo, exec_lo, s9
	s_and_saveexec_b32 s8, s2
	s_cbranch_execnz .LBB278_94
.LBB278_64:
	s_or_b32 exec_lo, exec_lo, s8
	s_and_saveexec_b32 s3, s1
	s_cbranch_execnz .LBB278_99
.LBB278_65:
	s_or_b32 exec_lo, exec_lo, s3
	s_and_saveexec_b32 s2, s0
	s_cbranch_execnz .LBB278_104
.LBB278_66:
	s_or_b32 exec_lo, exec_lo, s2
	s_and_saveexec_b32 s1, vcc_lo
	s_cbranch_execnz .LBB278_109
	s_branch .LBB278_114
.LBB278_67:
                                        ; implicit-def: $vgpr1_vgpr2
                                        ; implicit-def: $vgpr9
	s_cbranch_execz .LBB278_242
; %bb.68:
	v_mov_b32_e32 v7, 0
	v_mov_b32_e32 v1, 0
	v_mov_b32_e32 v12, 0
	v_mov_b32_e32 v8, 0
	v_mov_b32_e32 v2, 0
	v_mov_b32_e32 v9, 0
	s_sub_i32 s10, s14, s10
	s_mov_b32 s0, exec_lo
	v_cmpx_gt_u32_e64 s10, v0
	s_cbranch_execz .LBB278_70
; %bb.69:
	v_lshlrev_b32_e32 v1, 2, v0
	s_waitcnt lgkmcnt(1)
	global_load_dword v3, v1, s[2:3]
	s_waitcnt lgkmcnt(0)
	global_load_dword v4, v1, s[8:9]
	v_add_co_u32 v1, s1, s11, v0
	v_add_co_ci_u32_e64 v2, null, s23, 0, s1
	s_waitcnt vmcnt(0)
	v_cmp_ne_u32_e32 vcc_lo, v3, v4
	v_cndmask_b32_e64 v9, 0, 1, vcc_lo
.LBB278_70:
	s_or_b32 exec_lo, exec_lo, s0
	s_waitcnt lgkmcnt(1)
	v_or_b32_e32 v3, 0x100, v0
	v_cmp_gt_u32_e64 s1, s10, v3
	s_and_saveexec_b32 s0, s1
	s_cbranch_execz .LBB278_72
; %bb.71:
	s_waitcnt lgkmcnt(0)
	v_lshlrev_b32_e32 v4, 2, v0
	v_add_co_u32 v7, s26, s11, v3
	v_add_co_ci_u32_e64 v8, null, s23, 0, s26
	s_clause 0x1
	global_load_dword v5, v4, s[2:3] offset:1024
	global_load_dword v4, v4, s[8:9] offset:1024
	s_waitcnt vmcnt(0)
	v_cmp_ne_u32_e32 vcc_lo, v5, v4
	v_cndmask_b32_e64 v12, 0, 1, vcc_lo
.LBB278_72:
	s_or_b32 exec_lo, exec_lo, s0
	v_or_b32_e32 v13, 0x200, v0
	s_waitcnt lgkmcnt(0)
	v_mov_b32_e32 v3, 0
	v_mov_b32_e32 v5, 0
	;; [unrolled: 1-line block ×5, first 2 shown]
	v_cmp_gt_u32_e64 s0, s10, v13
	v_mov_b32_e32 v11, 0
	s_and_saveexec_b32 s26, s0
	s_cbranch_execz .LBB278_74
; %bb.73:
	v_lshlrev_b32_e32 v5, 2, v13
	s_clause 0x1
	global_load_dword v11, v5, s[2:3]
	global_load_dword v14, v5, s[8:9]
	v_add_co_u32 v5, s27, s11, v13
	v_add_co_ci_u32_e64 v6, null, s23, 0, s27
	s_waitcnt vmcnt(0)
	v_cmp_ne_u32_e32 vcc_lo, v11, v14
	v_cndmask_b32_e64 v11, 0, 1, vcc_lo
.LBB278_74:
	s_or_b32 exec_lo, exec_lo, s26
	v_or_b32_e32 v13, 0x300, v0
	v_cmp_gt_u32_e32 vcc_lo, s10, v13
	s_and_saveexec_b32 s26, vcc_lo
	s_cbranch_execnz .LBB278_173
; %bb.75:
	s_or_b32 exec_lo, exec_lo, s26
	s_and_saveexec_b32 s3, s1
	s_cbranch_execnz .LBB278_174
.LBB278_76:
	s_or_b32 exec_lo, exec_lo, s3
	s_and_saveexec_b32 s2, s0
	s_cbranch_execnz .LBB278_179
.LBB278_77:
	s_or_b32 exec_lo, exec_lo, s2
	s_and_saveexec_b32 s1, vcc_lo
	s_cbranch_execnz .LBB278_184
	s_branch .LBB278_189
.LBB278_78:
	v_lshlrev_b32_e32 v3, 2, v25
	s_clause 0x1
	global_load_dword v18, v3, s[10:11]
	global_load_dword v26, v3, s[22:23]
	v_add_co_u32 v3, s10, s28, v25
	v_add_co_ci_u32_e64 v4, null, s29, 0, s10
	s_waitcnt vmcnt(0)
	v_cmp_ne_u32_e64 s10, v18, v26
	v_cndmask_b32_e64 v18, 0, 1, s10
	s_or_b32 exec_lo, exec_lo, s30
	s_and_saveexec_b32 s11, s9
	s_cbranch_execz .LBB278_61
.LBB278_79:
	v_and_b32_e32 v17, 1, v17
	v_and_b32_e32 v25, 1, v24
	v_cmp_eq_u32_e64 s9, 1, v17
	v_cmp_eq_u32_e64 s10, 1, v25
                                        ; implicit-def: $vgpr17
	s_and_b32 s10, s9, s10
	s_xor_b32 s10, s10, -1
	s_and_saveexec_b32 s22, s10
	s_xor_b32 s10, exec_lo, s22
; %bb.80:
	v_and_b32_e32 v17, 0xffff, v24
	v_cndmask_b32_e64 v2, v16, v2, s9
	v_cndmask_b32_e64 v1, v15, v1, s9
                                        ; implicit-def: $vgpr15_vgpr16
	v_cndmask_b32_e64 v17, v17, 1, s9
; %bb.81:
	s_andn2_saveexec_b32 s10, s10
; %bb.82:
	v_cmp_lt_i64_e64 s9, v[15:16], v[1:2]
	v_mov_b32_e32 v17, 1
	v_cndmask_b32_e64 v2, v2, v16, s9
	v_cndmask_b32_e64 v1, v1, v15, s9
; %bb.83:
	s_or_b32 exec_lo, exec_lo, s10
	s_or_b32 exec_lo, exec_lo, s11
	s_and_saveexec_b32 s10, s8
	s_cbranch_execz .LBB278_62
.LBB278_84:
	v_and_b32_e32 v15, 1, v17
	v_and_b32_e32 v16, 1, v23
                                        ; implicit-def: $vgpr17
	v_cmp_eq_u32_e64 s8, 1, v15
	v_cmp_eq_u32_e64 s9, 1, v16
	s_and_b32 s9, s8, s9
	s_xor_b32 s9, s9, -1
	s_and_saveexec_b32 s11, s9
	s_xor_b32 s9, exec_lo, s11
; %bb.85:
	v_and_b32_e32 v15, 0xffff, v23
	v_cndmask_b32_e64 v2, v14, v2, s8
	v_cndmask_b32_e64 v1, v13, v1, s8
                                        ; implicit-def: $vgpr13_vgpr14
	v_cndmask_b32_e64 v17, v15, 1, s8
; %bb.86:
	s_andn2_saveexec_b32 s9, s9
; %bb.87:
	v_cmp_lt_i64_e64 s8, v[13:14], v[1:2]
	v_mov_b32_e32 v17, 1
	v_cndmask_b32_e64 v2, v2, v14, s8
	v_cndmask_b32_e64 v1, v1, v13, s8
; %bb.88:
	s_or_b32 exec_lo, exec_lo, s9
	s_or_b32 exec_lo, exec_lo, s10
	s_and_saveexec_b32 s9, s3
	s_cbranch_execz .LBB278_63
.LBB278_89:
	v_and_b32_e32 v13, 1, v17
	v_and_b32_e32 v14, 1, v22
                                        ; implicit-def: $vgpr17
	v_cmp_eq_u32_e64 s3, 1, v13
	v_cmp_eq_u32_e64 s8, 1, v14
	s_and_b32 s8, s3, s8
	s_xor_b32 s8, s8, -1
	s_and_saveexec_b32 s10, s8
	s_xor_b32 s8, exec_lo, s10
; %bb.90:
	v_and_b32_e32 v13, 0xffff, v22
	v_cndmask_b32_e64 v2, v12, v2, s3
	v_cndmask_b32_e64 v1, v11, v1, s3
                                        ; implicit-def: $vgpr11_vgpr12
	v_cndmask_b32_e64 v17, v13, 1, s3
; %bb.91:
	s_andn2_saveexec_b32 s8, s8
; %bb.92:
	v_cmp_lt_i64_e64 s3, v[11:12], v[1:2]
	v_mov_b32_e32 v17, 1
	v_cndmask_b32_e64 v2, v2, v12, s3
	v_cndmask_b32_e64 v1, v1, v11, s3
; %bb.93:
	s_or_b32 exec_lo, exec_lo, s8
	s_or_b32 exec_lo, exec_lo, s9
	s_and_saveexec_b32 s8, s2
	s_cbranch_execz .LBB278_64
.LBB278_94:
	v_and_b32_e32 v11, 1, v17
	v_and_b32_e32 v12, 1, v21
                                        ; implicit-def: $vgpr17
	v_cmp_eq_u32_e64 s2, 1, v11
	v_cmp_eq_u32_e64 s3, 1, v12
	s_and_b32 s3, s2, s3
	s_xor_b32 s3, s3, -1
	s_and_saveexec_b32 s9, s3
	s_xor_b32 s3, exec_lo, s9
; %bb.95:
	v_and_b32_e32 v11, 0xffff, v21
	v_cndmask_b32_e64 v2, v10, v2, s2
	v_cndmask_b32_e64 v1, v9, v1, s2
                                        ; implicit-def: $vgpr9_vgpr10
	v_cndmask_b32_e64 v17, v11, 1, s2
; %bb.96:
	s_andn2_saveexec_b32 s3, s3
; %bb.97:
	v_cmp_lt_i64_e64 s2, v[9:10], v[1:2]
	v_mov_b32_e32 v17, 1
	v_cndmask_b32_e64 v2, v2, v10, s2
	v_cndmask_b32_e64 v1, v1, v9, s2
; %bb.98:
	s_or_b32 exec_lo, exec_lo, s3
	s_or_b32 exec_lo, exec_lo, s8
	s_and_saveexec_b32 s3, s1
	s_cbranch_execz .LBB278_65
.LBB278_99:
	v_and_b32_e32 v9, 1, v17
	v_and_b32_e32 v10, 1, v20
                                        ; implicit-def: $vgpr17
	v_cmp_eq_u32_e64 s1, 1, v9
	v_cmp_eq_u32_e64 s2, 1, v10
	s_and_b32 s2, s1, s2
	s_xor_b32 s2, s2, -1
	s_and_saveexec_b32 s8, s2
	s_xor_b32 s2, exec_lo, s8
; %bb.100:
	v_and_b32_e32 v9, 0xffff, v20
	v_cndmask_b32_e64 v2, v8, v2, s1
	v_cndmask_b32_e64 v1, v7, v1, s1
                                        ; implicit-def: $vgpr7_vgpr8
	v_cndmask_b32_e64 v17, v9, 1, s1
; %bb.101:
	s_andn2_saveexec_b32 s2, s2
; %bb.102:
	v_cmp_lt_i64_e64 s1, v[7:8], v[1:2]
	v_mov_b32_e32 v17, 1
	v_cndmask_b32_e64 v2, v2, v8, s1
	v_cndmask_b32_e64 v1, v1, v7, s1
; %bb.103:
	s_or_b32 exec_lo, exec_lo, s2
	s_or_b32 exec_lo, exec_lo, s3
	s_and_saveexec_b32 s2, s0
	s_cbranch_execz .LBB278_66
.LBB278_104:
	v_and_b32_e32 v7, 1, v17
	v_and_b32_e32 v8, 1, v19
                                        ; implicit-def: $vgpr17
	v_cmp_eq_u32_e64 s0, 1, v7
	v_cmp_eq_u32_e64 s1, 1, v8
	s_and_b32 s1, s0, s1
	s_xor_b32 s1, s1, -1
	s_and_saveexec_b32 s3, s1
	s_xor_b32 s1, exec_lo, s3
; %bb.105:
	v_and_b32_e32 v7, 0xffff, v19
	v_cndmask_b32_e64 v2, v6, v2, s0
	v_cndmask_b32_e64 v1, v5, v1, s0
                                        ; implicit-def: $vgpr5_vgpr6
	v_cndmask_b32_e64 v17, v7, 1, s0
; %bb.106:
	s_andn2_saveexec_b32 s1, s1
; %bb.107:
	v_cmp_lt_i64_e64 s0, v[5:6], v[1:2]
	v_mov_b32_e32 v17, 1
	v_cndmask_b32_e64 v2, v2, v6, s0
	v_cndmask_b32_e64 v1, v1, v5, s0
; %bb.108:
	s_or_b32 exec_lo, exec_lo, s1
	s_or_b32 exec_lo, exec_lo, s2
	s_and_saveexec_b32 s1, vcc_lo
	s_cbranch_execz .LBB278_114
.LBB278_109:
	v_and_b32_e32 v5, 1, v17
	v_and_b32_e32 v6, 1, v18
                                        ; implicit-def: $vgpr17
	v_cmp_eq_u32_e32 vcc_lo, 1, v5
	v_cmp_eq_u32_e64 s0, 1, v6
	s_and_b32 s0, vcc_lo, s0
	s_xor_b32 s0, s0, -1
	s_and_saveexec_b32 s2, s0
	s_xor_b32 s0, exec_lo, s2
; %bb.110:
	v_and_b32_e32 v5, 0xffff, v18
	v_cndmask_b32_e32 v2, v4, v2, vcc_lo
	v_cndmask_b32_e32 v1, v3, v1, vcc_lo
                                        ; implicit-def: $vgpr3_vgpr4
	v_cndmask_b32_e64 v17, v5, 1, vcc_lo
; %bb.111:
	s_andn2_saveexec_b32 s0, s0
; %bb.112:
	v_cmp_lt_i64_e32 vcc_lo, v[3:4], v[1:2]
	v_mov_b32_e32 v17, 1
	v_cndmask_b32_e32 v2, v2, v4, vcc_lo
	v_cndmask_b32_e32 v1, v1, v3, vcc_lo
; %bb.113:
	s_or_b32 exec_lo, exec_lo, s0
.LBB278_114:
	s_or_b32 exec_lo, exec_lo, s1
	v_mbcnt_lo_u32_b32 v5, -1, 0
	v_and_b32_e32 v6, 0xe0, v0
	s_min_u32 s0, s27, 0x100
	s_mov_b32 s1, exec_lo
	v_cmp_ne_u32_e32 vcc_lo, 31, v5
	v_sub_nc_u32_e64 v6, s0, v6 clamp
	v_add_nc_u32_e32 v8, 1, v5
	v_add_co_ci_u32_e64 v3, null, 0, v5, vcc_lo
	v_lshlrev_b32_e32 v4, 2, v3
	ds_bpermute_b32 v7, v4, v17
	ds_bpermute_b32 v3, v4, v1
	;; [unrolled: 1-line block ×3, first 2 shown]
	v_cmpx_lt_u32_e64 v8, v6
	s_xor_b32 s1, exec_lo, s1
	s_cbranch_execz .LBB278_120
; %bb.115:
	s_waitcnt lgkmcnt(2)
	v_and_b32_e32 v8, v7, v17
	s_mov_b32 s2, exec_lo
	v_cmpx_ne_u32_e32 0, v8
	s_xor_b32 s2, exec_lo, s2
	s_cbranch_execz .LBB278_117
; %bb.116:
	s_waitcnt lgkmcnt(0)
	v_cmp_lt_i64_e32 vcc_lo, v[3:4], v[1:2]
                                        ; implicit-def: $vgpr17
                                        ; implicit-def: $vgpr7
	v_cndmask_b32_e32 v2, v2, v4, vcc_lo
	v_cndmask_b32_e32 v1, v1, v3, vcc_lo
                                        ; implicit-def: $vgpr3_vgpr4
.LBB278_117:
	s_or_saveexec_b32 s2, s2
	v_mov_b32_e32 v8, 1
	s_xor_b32 exec_lo, exec_lo, s2
	s_cbranch_execz .LBB278_119
; %bb.118:
	v_and_b32_e32 v8, 1, v17
	v_and_b32_e32 v7, 0xff, v7
	v_cmp_eq_u32_e32 vcc_lo, 1, v8
	s_waitcnt lgkmcnt(0)
	v_cndmask_b32_e32 v2, v4, v2, vcc_lo
	v_cndmask_b32_e32 v1, v3, v1, vcc_lo
	v_cndmask_b32_e64 v8, v7, 1, vcc_lo
.LBB278_119:
	s_or_b32 exec_lo, exec_lo, s2
	v_mov_b32_e32 v17, v8
.LBB278_120:
	s_or_b32 exec_lo, exec_lo, s1
	v_cmp_gt_u32_e32 vcc_lo, 30, v5
	v_add_nc_u32_e32 v8, 2, v5
	s_mov_b32 s1, exec_lo
	s_waitcnt lgkmcnt(1)
	v_cndmask_b32_e64 v3, 0, 2, vcc_lo
	s_waitcnt lgkmcnt(0)
	v_add_lshl_u32 v4, v3, v5, 2
	ds_bpermute_b32 v7, v4, v17
	ds_bpermute_b32 v3, v4, v1
	ds_bpermute_b32 v4, v4, v2
	v_cmpx_lt_u32_e64 v8, v6
	s_cbranch_execz .LBB278_126
; %bb.121:
	s_waitcnt lgkmcnt(2)
	v_and_b32_e32 v8, v17, v7
	s_mov_b32 s2, exec_lo
	v_and_b32_e32 v8, 1, v8
	v_cmpx_eq_u32_e32 1, v8
	s_xor_b32 s2, exec_lo, s2
	s_cbranch_execz .LBB278_123
; %bb.122:
	s_waitcnt lgkmcnt(0)
	v_cmp_lt_i64_e32 vcc_lo, v[3:4], v[1:2]
                                        ; implicit-def: $vgpr17
                                        ; implicit-def: $vgpr7
	v_cndmask_b32_e32 v2, v2, v4, vcc_lo
	v_cndmask_b32_e32 v1, v1, v3, vcc_lo
                                        ; implicit-def: $vgpr3_vgpr4
.LBB278_123:
	s_or_saveexec_b32 s2, s2
	v_mov_b32_e32 v8, 1
	s_xor_b32 exec_lo, exec_lo, s2
	s_cbranch_execz .LBB278_125
; %bb.124:
	v_and_b32_e32 v8, 1, v17
	v_and_b32_e32 v7, 0xff, v7
	v_cmp_eq_u32_e32 vcc_lo, 1, v8
	s_waitcnt lgkmcnt(0)
	v_cndmask_b32_e32 v2, v4, v2, vcc_lo
	v_cndmask_b32_e32 v1, v3, v1, vcc_lo
	v_cndmask_b32_e64 v8, v7, 1, vcc_lo
.LBB278_125:
	s_or_b32 exec_lo, exec_lo, s2
	v_mov_b32_e32 v17, v8
.LBB278_126:
	s_or_b32 exec_lo, exec_lo, s1
	v_cmp_gt_u32_e32 vcc_lo, 28, v5
	v_add_nc_u32_e32 v8, 4, v5
	s_mov_b32 s1, exec_lo
	s_waitcnt lgkmcnt(1)
	v_cndmask_b32_e64 v3, 0, 4, vcc_lo
	s_waitcnt lgkmcnt(0)
	v_add_lshl_u32 v4, v3, v5, 2
	ds_bpermute_b32 v7, v4, v17
	ds_bpermute_b32 v3, v4, v1
	ds_bpermute_b32 v4, v4, v2
	v_cmpx_lt_u32_e64 v8, v6
	s_cbranch_execz .LBB278_132
; %bb.127:
	s_waitcnt lgkmcnt(2)
	v_and_b32_e32 v8, v17, v7
	s_mov_b32 s2, exec_lo
	v_and_b32_e32 v8, 1, v8
	v_cmpx_eq_u32_e32 1, v8
	s_xor_b32 s2, exec_lo, s2
	s_cbranch_execz .LBB278_129
; %bb.128:
	s_waitcnt lgkmcnt(0)
	v_cmp_lt_i64_e32 vcc_lo, v[3:4], v[1:2]
                                        ; implicit-def: $vgpr17
                                        ; implicit-def: $vgpr7
	v_cndmask_b32_e32 v2, v2, v4, vcc_lo
	v_cndmask_b32_e32 v1, v1, v3, vcc_lo
                                        ; implicit-def: $vgpr3_vgpr4
.LBB278_129:
	s_or_saveexec_b32 s2, s2
	v_mov_b32_e32 v8, 1
	s_xor_b32 exec_lo, exec_lo, s2
	s_cbranch_execz .LBB278_131
; %bb.130:
	v_and_b32_e32 v8, 1, v17
	v_and_b32_e32 v7, 0xff, v7
	v_cmp_eq_u32_e32 vcc_lo, 1, v8
	s_waitcnt lgkmcnt(0)
	v_cndmask_b32_e32 v2, v4, v2, vcc_lo
	v_cndmask_b32_e32 v1, v3, v1, vcc_lo
	v_cndmask_b32_e64 v8, v7, 1, vcc_lo
.LBB278_131:
	s_or_b32 exec_lo, exec_lo, s2
	v_mov_b32_e32 v17, v8
.LBB278_132:
	;; [unrolled: 46-line block ×3, first 2 shown]
	s_or_b32 exec_lo, exec_lo, s1
	s_waitcnt lgkmcnt(2)
	v_lshlrev_b32_e32 v7, 2, v5
	v_add_nc_u32_e32 v9, 16, v5
	s_waitcnt lgkmcnt(0)
	v_or_b32_e32 v4, 64, v7
	v_cmp_lt_u32_e32 vcc_lo, v9, v6
	v_mov_b32_e32 v6, v17
	ds_bpermute_b32 v8, v4, v17
	ds_bpermute_b32 v3, v4, v1
	;; [unrolled: 1-line block ×3, first 2 shown]
	s_and_saveexec_b32 s1, vcc_lo
	s_cbranch_execz .LBB278_144
; %bb.139:
	s_waitcnt lgkmcnt(2)
	v_and_b32_e32 v6, v17, v8
	s_mov_b32 s2, exec_lo
	v_and_b32_e32 v6, 1, v6
	v_cmpx_eq_u32_e32 1, v6
	s_xor_b32 s2, exec_lo, s2
	s_cbranch_execz .LBB278_141
; %bb.140:
	s_waitcnt lgkmcnt(0)
	v_cmp_lt_i64_e32 vcc_lo, v[3:4], v[1:2]
                                        ; implicit-def: $vgpr17
                                        ; implicit-def: $vgpr8
	v_cndmask_b32_e32 v2, v2, v4, vcc_lo
	v_cndmask_b32_e32 v1, v1, v3, vcc_lo
                                        ; implicit-def: $vgpr3_vgpr4
.LBB278_141:
	s_or_saveexec_b32 s2, s2
	v_mov_b32_e32 v6, 1
	s_xor_b32 exec_lo, exec_lo, s2
	s_cbranch_execz .LBB278_143
; %bb.142:
	v_and_b32_e32 v6, 1, v17
	v_cmp_eq_u32_e32 vcc_lo, 1, v6
	v_cndmask_b32_e64 v6, v8, 1, vcc_lo
	s_waitcnt lgkmcnt(0)
	v_cndmask_b32_e32 v2, v4, v2, vcc_lo
	v_cndmask_b32_e32 v1, v3, v1, vcc_lo
.LBB278_143:
	s_or_b32 exec_lo, exec_lo, s2
	v_and_b32_e32 v17, 0xff, v6
.LBB278_144:
	s_or_b32 exec_lo, exec_lo, s1
	s_mov_b32 s1, exec_lo
	v_cmpx_eq_u32_e32 0, v5
	s_cbranch_execz .LBB278_146
; %bb.145:
	s_waitcnt lgkmcnt(1)
	v_lshrrev_b32_e32 v3, 1, v0
	v_and_b32_e32 v3, 0x70, v3
	ds_write_b8 v3, v6 offset:512
	ds_write_b64 v3, v[1:2] offset:520
.LBB278_146:
	s_or_b32 exec_lo, exec_lo, s1
	s_mov_b32 s1, exec_lo
	s_waitcnt lgkmcnt(0)
	s_barrier
	buffer_gl0_inv
	v_cmpx_gt_u32_e32 8, v0
	s_cbranch_execz .LBB278_166
; %bb.147:
	v_lshlrev_b32_e32 v1, 4, v5
	v_and_b32_e32 v6, 7, v5
	s_add_i32 s0, s0, 31
	s_mov_b32 s2, exec_lo
	s_lshr_b32 s0, s0, 5
	ds_read_u8 v8, v1 offset:512
	ds_read_b64 v[1:2], v1 offset:520
	v_cmp_ne_u32_e32 vcc_lo, 7, v6
	v_add_nc_u32_e32 v10, 1, v6
	v_add_co_ci_u32_e64 v3, null, 0, v5, vcc_lo
	v_lshlrev_b32_e32 v4, 2, v3
	s_waitcnt lgkmcnt(1)
	v_and_b32_e32 v17, 0xff, v8
	s_waitcnt lgkmcnt(0)
	ds_bpermute_b32 v3, v4, v1
	ds_bpermute_b32 v9, v4, v17
	;; [unrolled: 1-line block ×3, first 2 shown]
	v_cmpx_gt_u32_e64 s0, v10
	s_cbranch_execz .LBB278_153
; %bb.148:
	s_waitcnt lgkmcnt(1)
	v_and_b32_e32 v10, v17, v9
	s_mov_b32 s3, exec_lo
	v_and_b32_e32 v10, 1, v10
	v_cmpx_eq_u32_e32 1, v10
	s_xor_b32 s3, exec_lo, s3
	s_cbranch_execz .LBB278_150
; %bb.149:
	s_waitcnt lgkmcnt(0)
	v_cmp_lt_i64_e32 vcc_lo, v[3:4], v[1:2]
                                        ; implicit-def: $vgpr8
                                        ; implicit-def: $vgpr9
	v_cndmask_b32_e32 v2, v2, v4, vcc_lo
	v_cndmask_b32_e32 v1, v1, v3, vcc_lo
                                        ; implicit-def: $vgpr3_vgpr4
.LBB278_150:
	s_or_saveexec_b32 s3, s3
	v_mov_b32_e32 v17, 1
	s_xor_b32 exec_lo, exec_lo, s3
	s_cbranch_execz .LBB278_152
; %bb.151:
	v_and_b32_e32 v8, 1, v8
	v_cmp_eq_u32_e32 vcc_lo, 1, v8
	v_and_b32_e32 v8, 0xff, v9
	s_waitcnt lgkmcnt(0)
	v_cndmask_b32_e32 v2, v4, v2, vcc_lo
	v_cndmask_b32_e32 v1, v3, v1, vcc_lo
	v_cndmask_b32_e64 v17, v8, 1, vcc_lo
.LBB278_152:
	s_or_b32 exec_lo, exec_lo, s3
.LBB278_153:
	s_or_b32 exec_lo, exec_lo, s2
	v_cmp_gt_u32_e32 vcc_lo, 6, v6
	v_add_nc_u32_e32 v8, 2, v6
	s_mov_b32 s2, exec_lo
	s_waitcnt lgkmcnt(2)
	v_cndmask_b32_e64 v3, 0, 2, vcc_lo
	s_waitcnt lgkmcnt(0)
	v_add_lshl_u32 v4, v3, v5, 2
	ds_bpermute_b32 v5, v4, v17
	ds_bpermute_b32 v3, v4, v1
	;; [unrolled: 1-line block ×3, first 2 shown]
	v_cmpx_gt_u32_e64 s0, v8
	s_cbranch_execz .LBB278_159
; %bb.154:
	s_waitcnt lgkmcnt(2)
	v_and_b32_e32 v8, v17, v5
	s_mov_b32 s3, exec_lo
	v_and_b32_e32 v8, 1, v8
	v_cmpx_eq_u32_e32 1, v8
	s_xor_b32 s3, exec_lo, s3
	s_cbranch_execz .LBB278_156
; %bb.155:
	s_waitcnt lgkmcnt(0)
	v_cmp_lt_i64_e32 vcc_lo, v[3:4], v[1:2]
                                        ; implicit-def: $vgpr17
                                        ; implicit-def: $vgpr5
	v_cndmask_b32_e32 v2, v2, v4, vcc_lo
	v_cndmask_b32_e32 v1, v1, v3, vcc_lo
                                        ; implicit-def: $vgpr3_vgpr4
.LBB278_156:
	s_or_saveexec_b32 s3, s3
	v_mov_b32_e32 v8, 1
	s_xor_b32 exec_lo, exec_lo, s3
	s_cbranch_execz .LBB278_158
; %bb.157:
	v_and_b32_e32 v8, 1, v17
	v_and_b32_e32 v5, 0xff, v5
	v_cmp_eq_u32_e32 vcc_lo, 1, v8
	s_waitcnt lgkmcnt(0)
	v_cndmask_b32_e32 v2, v4, v2, vcc_lo
	v_cndmask_b32_e32 v1, v3, v1, vcc_lo
	v_cndmask_b32_e64 v8, v5, 1, vcc_lo
.LBB278_158:
	s_or_b32 exec_lo, exec_lo, s3
	v_mov_b32_e32 v17, v8
.LBB278_159:
	s_or_b32 exec_lo, exec_lo, s2
	s_waitcnt lgkmcnt(0)
	v_or_b32_e32 v4, 16, v7
	v_add_nc_u32_e32 v6, 4, v6
	ds_bpermute_b32 v5, v4, v17
	ds_bpermute_b32 v3, v4, v1
	ds_bpermute_b32 v4, v4, v2
	v_cmp_gt_u32_e32 vcc_lo, s0, v6
	s_and_saveexec_b32 s0, vcc_lo
	s_cbranch_execz .LBB278_165
; %bb.160:
	s_waitcnt lgkmcnt(2)
	v_and_b32_e32 v6, v17, v5
	s_mov_b32 s2, exec_lo
	v_and_b32_e32 v6, 1, v6
	v_cmpx_eq_u32_e32 1, v6
	s_xor_b32 s2, exec_lo, s2
	s_cbranch_execz .LBB278_162
; %bb.161:
	s_waitcnt lgkmcnt(0)
	v_cmp_lt_i64_e32 vcc_lo, v[3:4], v[1:2]
                                        ; implicit-def: $vgpr17
                                        ; implicit-def: $vgpr5
	v_cndmask_b32_e32 v2, v2, v4, vcc_lo
	v_cndmask_b32_e32 v1, v1, v3, vcc_lo
                                        ; implicit-def: $vgpr3_vgpr4
.LBB278_162:
	s_or_saveexec_b32 s2, s2
	v_mov_b32_e32 v6, 1
	s_xor_b32 exec_lo, exec_lo, s2
	s_cbranch_execz .LBB278_164
; %bb.163:
	v_and_b32_e32 v6, 1, v17
	v_cmp_eq_u32_e32 vcc_lo, 1, v6
	s_waitcnt lgkmcnt(0)
	v_cndmask_b32_e32 v2, v4, v2, vcc_lo
	v_cndmask_b32_e32 v1, v3, v1, vcc_lo
	v_cndmask_b32_e64 v6, v5, 1, vcc_lo
.LBB278_164:
	s_or_b32 exec_lo, exec_lo, s2
	v_mov_b32_e32 v17, v6
.LBB278_165:
	s_or_b32 exec_lo, exec_lo, s0
.LBB278_166:
	s_or_b32 exec_lo, exec_lo, s1
.LBB278_167:
	s_mov_b32 s22, 0
                                        ; implicit-def: $vgpr3_vgpr4
                                        ; implicit-def: $vgpr5
	s_mov_b32 s0, exec_lo
	v_cmpx_eq_u32_e32 0, v0
	s_xor_b32 s2, exec_lo, s0
	s_cbranch_execz .LBB278_171
; %bb.168:
	s_waitcnt lgkmcnt(0)
	v_mov_b32_e32 v3, s20
	v_mov_b32_e32 v4, s21
	;; [unrolled: 1-line block ×3, first 2 shown]
	s_cmp_eq_u64 s[14:15], 0
	s_cbranch_scc1 .LBB278_170
; %bb.169:
	v_and_b32_e32 v3, 1, v17
	v_cmp_gt_i64_e32 vcc_lo, s[20:21], v[1:2]
	s_bitcmp1_b32 s24, 0
	s_cselect_b32 s1, -1, 0
	v_cmp_eq_u32_e64 s0, 1, v3
	v_cndmask_b32_e64 v5, v17, 1, s1
	s_and_b32 vcc_lo, s0, vcc_lo
	v_cndmask_b32_e32 v3, s20, v1, vcc_lo
	v_cndmask_b32_e32 v4, s21, v2, vcc_lo
	v_cndmask_b32_e64 v3, v1, v3, s1
	v_cndmask_b32_e64 v4, v2, v4, s1
.LBB278_170:
	s_mov_b32 s22, exec_lo
.LBB278_171:
	s_or_b32 exec_lo, exec_lo, s2
	v_mov_b32_e32 v1, s6
	v_mov_b32_e32 v2, s7
	s_and_b32 vcc_lo, exec_lo, s26
	s_cbranch_vccnz .LBB278_24
.LBB278_172:
	s_branch .LBB278_356
.LBB278_173:
	v_lshlrev_b32_e32 v3, 2, v13
	s_clause 0x1
	global_load_dword v10, v3, s[2:3]
	global_load_dword v14, v3, s[8:9]
	v_add_co_u32 v3, s2, s11, v13
	v_add_co_ci_u32_e64 v4, null, s23, 0, s2
	s_waitcnt vmcnt(0)
	v_cmp_ne_u32_e64 s2, v10, v14
	v_cndmask_b32_e64 v10, 0, 1, s2
	s_or_b32 exec_lo, exec_lo, s26
	s_and_saveexec_b32 s3, s1
	s_cbranch_execz .LBB278_76
.LBB278_174:
	v_and_b32_e32 v9, 1, v9
	v_and_b32_e32 v13, 1, v12
	v_cmp_eq_u32_e64 s1, 1, v9
	v_cmp_eq_u32_e64 s2, 1, v13
                                        ; implicit-def: $vgpr9
	s_and_b32 s2, s1, s2
	s_xor_b32 s2, s2, -1
	s_and_saveexec_b32 s8, s2
	s_xor_b32 s2, exec_lo, s8
; %bb.175:
	v_and_b32_e32 v9, 0xffff, v12
	v_cndmask_b32_e64 v2, v8, v2, s1
	v_cndmask_b32_e64 v1, v7, v1, s1
                                        ; implicit-def: $vgpr7_vgpr8
	v_cndmask_b32_e64 v9, v9, 1, s1
; %bb.176:
	s_andn2_saveexec_b32 s2, s2
; %bb.177:
	v_cmp_lt_i64_e64 s1, v[7:8], v[1:2]
	v_mov_b32_e32 v9, 1
	v_cndmask_b32_e64 v2, v2, v8, s1
	v_cndmask_b32_e64 v1, v1, v7, s1
; %bb.178:
	s_or_b32 exec_lo, exec_lo, s2
	s_or_b32 exec_lo, exec_lo, s3
	s_and_saveexec_b32 s2, s0
	s_cbranch_execz .LBB278_77
.LBB278_179:
	v_and_b32_e32 v7, 1, v9
	v_and_b32_e32 v8, 1, v11
                                        ; implicit-def: $vgpr9
	v_cmp_eq_u32_e64 s0, 1, v7
	v_cmp_eq_u32_e64 s1, 1, v8
	s_and_b32 s1, s0, s1
	s_xor_b32 s1, s1, -1
	s_and_saveexec_b32 s3, s1
	s_xor_b32 s1, exec_lo, s3
; %bb.180:
	v_and_b32_e32 v7, 0xffff, v11
	v_cndmask_b32_e64 v2, v6, v2, s0
	v_cndmask_b32_e64 v1, v5, v1, s0
                                        ; implicit-def: $vgpr5_vgpr6
	v_cndmask_b32_e64 v9, v7, 1, s0
; %bb.181:
	s_andn2_saveexec_b32 s1, s1
; %bb.182:
	v_cmp_lt_i64_e64 s0, v[5:6], v[1:2]
	v_mov_b32_e32 v9, 1
	v_cndmask_b32_e64 v2, v2, v6, s0
	v_cndmask_b32_e64 v1, v1, v5, s0
; %bb.183:
	s_or_b32 exec_lo, exec_lo, s1
	s_or_b32 exec_lo, exec_lo, s2
	s_and_saveexec_b32 s1, vcc_lo
	s_cbranch_execz .LBB278_189
.LBB278_184:
	v_and_b32_e32 v5, 1, v9
	v_and_b32_e32 v6, 1, v10
                                        ; implicit-def: $vgpr9
	v_cmp_eq_u32_e32 vcc_lo, 1, v5
	v_cmp_eq_u32_e64 s0, 1, v6
	s_and_b32 s0, vcc_lo, s0
	s_xor_b32 s0, s0, -1
	s_and_saveexec_b32 s2, s0
	s_xor_b32 s0, exec_lo, s2
; %bb.185:
	v_and_b32_e32 v5, 0xffff, v10
	v_cndmask_b32_e32 v2, v4, v2, vcc_lo
	v_cndmask_b32_e32 v1, v3, v1, vcc_lo
                                        ; implicit-def: $vgpr3_vgpr4
	v_cndmask_b32_e64 v9, v5, 1, vcc_lo
; %bb.186:
	s_andn2_saveexec_b32 s0, s0
; %bb.187:
	v_cmp_lt_i64_e32 vcc_lo, v[3:4], v[1:2]
	v_mov_b32_e32 v9, 1
	v_cndmask_b32_e32 v2, v2, v4, vcc_lo
	v_cndmask_b32_e32 v1, v1, v3, vcc_lo
; %bb.188:
	s_or_b32 exec_lo, exec_lo, s0
.LBB278_189:
	s_or_b32 exec_lo, exec_lo, s1
	v_mbcnt_lo_u32_b32 v5, -1, 0
	v_and_b32_e32 v6, 0xe0, v0
	s_min_u32 s0, s10, 0x100
	s_mov_b32 s1, exec_lo
	v_cmp_ne_u32_e32 vcc_lo, 31, v5
	v_sub_nc_u32_e64 v6, s0, v6 clamp
	v_add_nc_u32_e32 v8, 1, v5
	v_add_co_ci_u32_e64 v3, null, 0, v5, vcc_lo
	v_lshlrev_b32_e32 v4, 2, v3
	ds_bpermute_b32 v7, v4, v9
	ds_bpermute_b32 v3, v4, v1
	;; [unrolled: 1-line block ×3, first 2 shown]
	v_cmpx_lt_u32_e64 v8, v6
	s_xor_b32 s1, exec_lo, s1
	s_cbranch_execz .LBB278_195
; %bb.190:
	s_waitcnt lgkmcnt(2)
	v_and_b32_e32 v8, v7, v9
	s_mov_b32 s2, exec_lo
	v_cmpx_ne_u32_e32 0, v8
	s_xor_b32 s2, exec_lo, s2
	s_cbranch_execz .LBB278_192
; %bb.191:
	s_waitcnt lgkmcnt(0)
	v_cmp_lt_i64_e32 vcc_lo, v[3:4], v[1:2]
                                        ; implicit-def: $vgpr9
                                        ; implicit-def: $vgpr7
	v_cndmask_b32_e32 v2, v2, v4, vcc_lo
	v_cndmask_b32_e32 v1, v1, v3, vcc_lo
                                        ; implicit-def: $vgpr3_vgpr4
.LBB278_192:
	s_or_saveexec_b32 s2, s2
	v_mov_b32_e32 v8, 1
	s_xor_b32 exec_lo, exec_lo, s2
	s_cbranch_execz .LBB278_194
; %bb.193:
	v_and_b32_e32 v8, 1, v9
	v_and_b32_e32 v7, 0xff, v7
	v_cmp_eq_u32_e32 vcc_lo, 1, v8
	s_waitcnt lgkmcnt(0)
	v_cndmask_b32_e32 v2, v4, v2, vcc_lo
	v_cndmask_b32_e32 v1, v3, v1, vcc_lo
	v_cndmask_b32_e64 v8, v7, 1, vcc_lo
.LBB278_194:
	s_or_b32 exec_lo, exec_lo, s2
	v_mov_b32_e32 v9, v8
.LBB278_195:
	s_or_b32 exec_lo, exec_lo, s1
	v_cmp_gt_u32_e32 vcc_lo, 30, v5
	v_add_nc_u32_e32 v8, 2, v5
	s_mov_b32 s1, exec_lo
	s_waitcnt lgkmcnt(1)
	v_cndmask_b32_e64 v3, 0, 2, vcc_lo
	s_waitcnt lgkmcnt(0)
	v_add_lshl_u32 v4, v3, v5, 2
	ds_bpermute_b32 v7, v4, v9
	ds_bpermute_b32 v3, v4, v1
	ds_bpermute_b32 v4, v4, v2
	v_cmpx_lt_u32_e64 v8, v6
	s_cbranch_execz .LBB278_201
; %bb.196:
	s_waitcnt lgkmcnt(2)
	v_and_b32_e32 v8, v9, v7
	s_mov_b32 s2, exec_lo
	v_and_b32_e32 v8, 1, v8
	v_cmpx_eq_u32_e32 1, v8
	s_xor_b32 s2, exec_lo, s2
	s_cbranch_execz .LBB278_198
; %bb.197:
	s_waitcnt lgkmcnt(0)
	v_cmp_lt_i64_e32 vcc_lo, v[3:4], v[1:2]
                                        ; implicit-def: $vgpr9
                                        ; implicit-def: $vgpr7
	v_cndmask_b32_e32 v2, v2, v4, vcc_lo
	v_cndmask_b32_e32 v1, v1, v3, vcc_lo
                                        ; implicit-def: $vgpr3_vgpr4
.LBB278_198:
	s_or_saveexec_b32 s2, s2
	v_mov_b32_e32 v8, 1
	s_xor_b32 exec_lo, exec_lo, s2
	s_cbranch_execz .LBB278_200
; %bb.199:
	v_and_b32_e32 v8, 1, v9
	v_and_b32_e32 v7, 0xff, v7
	v_cmp_eq_u32_e32 vcc_lo, 1, v8
	s_waitcnt lgkmcnt(0)
	v_cndmask_b32_e32 v2, v4, v2, vcc_lo
	v_cndmask_b32_e32 v1, v3, v1, vcc_lo
	v_cndmask_b32_e64 v8, v7, 1, vcc_lo
.LBB278_200:
	s_or_b32 exec_lo, exec_lo, s2
	v_mov_b32_e32 v9, v8
.LBB278_201:
	s_or_b32 exec_lo, exec_lo, s1
	v_cmp_gt_u32_e32 vcc_lo, 28, v5
	v_add_nc_u32_e32 v8, 4, v5
	s_mov_b32 s1, exec_lo
	s_waitcnt lgkmcnt(1)
	v_cndmask_b32_e64 v3, 0, 4, vcc_lo
	s_waitcnt lgkmcnt(0)
	v_add_lshl_u32 v4, v3, v5, 2
	ds_bpermute_b32 v7, v4, v9
	ds_bpermute_b32 v3, v4, v1
	ds_bpermute_b32 v4, v4, v2
	v_cmpx_lt_u32_e64 v8, v6
	s_cbranch_execz .LBB278_207
; %bb.202:
	s_waitcnt lgkmcnt(2)
	v_and_b32_e32 v8, v9, v7
	s_mov_b32 s2, exec_lo
	v_and_b32_e32 v8, 1, v8
	v_cmpx_eq_u32_e32 1, v8
	s_xor_b32 s2, exec_lo, s2
	s_cbranch_execz .LBB278_204
; %bb.203:
	s_waitcnt lgkmcnt(0)
	v_cmp_lt_i64_e32 vcc_lo, v[3:4], v[1:2]
                                        ; implicit-def: $vgpr9
                                        ; implicit-def: $vgpr7
	v_cndmask_b32_e32 v2, v2, v4, vcc_lo
	v_cndmask_b32_e32 v1, v1, v3, vcc_lo
                                        ; implicit-def: $vgpr3_vgpr4
.LBB278_204:
	s_or_saveexec_b32 s2, s2
	v_mov_b32_e32 v8, 1
	s_xor_b32 exec_lo, exec_lo, s2
	s_cbranch_execz .LBB278_206
; %bb.205:
	v_and_b32_e32 v8, 1, v9
	v_and_b32_e32 v7, 0xff, v7
	v_cmp_eq_u32_e32 vcc_lo, 1, v8
	s_waitcnt lgkmcnt(0)
	v_cndmask_b32_e32 v2, v4, v2, vcc_lo
	v_cndmask_b32_e32 v1, v3, v1, vcc_lo
	v_cndmask_b32_e64 v8, v7, 1, vcc_lo
.LBB278_206:
	s_or_b32 exec_lo, exec_lo, s2
	v_mov_b32_e32 v9, v8
.LBB278_207:
	;; [unrolled: 46-line block ×3, first 2 shown]
	s_or_b32 exec_lo, exec_lo, s1
	s_waitcnt lgkmcnt(2)
	v_lshlrev_b32_e32 v7, 2, v5
	v_add_nc_u32_e32 v10, 16, v5
	s_waitcnt lgkmcnt(0)
	v_or_b32_e32 v4, 64, v7
	v_cmp_lt_u32_e32 vcc_lo, v10, v6
	v_mov_b32_e32 v6, v9
	ds_bpermute_b32 v8, v4, v9
	ds_bpermute_b32 v3, v4, v1
	;; [unrolled: 1-line block ×3, first 2 shown]
	s_and_saveexec_b32 s1, vcc_lo
	s_cbranch_execz .LBB278_219
; %bb.214:
	s_waitcnt lgkmcnt(2)
	v_and_b32_e32 v6, v9, v8
	s_mov_b32 s2, exec_lo
	v_and_b32_e32 v6, 1, v6
	v_cmpx_eq_u32_e32 1, v6
	s_xor_b32 s2, exec_lo, s2
	s_cbranch_execz .LBB278_216
; %bb.215:
	s_waitcnt lgkmcnt(0)
	v_cmp_lt_i64_e32 vcc_lo, v[3:4], v[1:2]
                                        ; implicit-def: $vgpr9
                                        ; implicit-def: $vgpr8
	v_cndmask_b32_e32 v2, v2, v4, vcc_lo
	v_cndmask_b32_e32 v1, v1, v3, vcc_lo
                                        ; implicit-def: $vgpr3_vgpr4
.LBB278_216:
	s_or_saveexec_b32 s2, s2
	v_mov_b32_e32 v6, 1
	s_xor_b32 exec_lo, exec_lo, s2
	s_cbranch_execz .LBB278_218
; %bb.217:
	v_and_b32_e32 v6, 1, v9
	v_cmp_eq_u32_e32 vcc_lo, 1, v6
	v_cndmask_b32_e64 v6, v8, 1, vcc_lo
	s_waitcnt lgkmcnt(0)
	v_cndmask_b32_e32 v2, v4, v2, vcc_lo
	v_cndmask_b32_e32 v1, v3, v1, vcc_lo
.LBB278_218:
	s_or_b32 exec_lo, exec_lo, s2
	v_and_b32_e32 v9, 0xff, v6
.LBB278_219:
	s_or_b32 exec_lo, exec_lo, s1
	s_mov_b32 s1, exec_lo
	v_cmpx_eq_u32_e32 0, v5
	s_cbranch_execz .LBB278_221
; %bb.220:
	s_waitcnt lgkmcnt(1)
	v_lshrrev_b32_e32 v3, 1, v0
	v_and_b32_e32 v3, 0x70, v3
	ds_write_b8 v3, v6 offset:512
	ds_write_b64 v3, v[1:2] offset:520
.LBB278_221:
	s_or_b32 exec_lo, exec_lo, s1
	s_mov_b32 s1, exec_lo
	s_waitcnt lgkmcnt(0)
	s_barrier
	buffer_gl0_inv
	v_cmpx_gt_u32_e32 8, v0
	s_cbranch_execz .LBB278_241
; %bb.222:
	v_lshlrev_b32_e32 v1, 4, v5
	v_and_b32_e32 v6, 7, v5
	s_add_i32 s0, s0, 31
	s_mov_b32 s2, exec_lo
	s_lshr_b32 s0, s0, 5
	ds_read_u8 v8, v1 offset:512
	ds_read_b64 v[1:2], v1 offset:520
	v_cmp_ne_u32_e32 vcc_lo, 7, v6
	v_add_nc_u32_e32 v11, 1, v6
	v_add_co_ci_u32_e64 v3, null, 0, v5, vcc_lo
	v_lshlrev_b32_e32 v4, 2, v3
	s_waitcnt lgkmcnt(1)
	v_and_b32_e32 v9, 0xff, v8
	s_waitcnt lgkmcnt(0)
	ds_bpermute_b32 v3, v4, v1
	ds_bpermute_b32 v10, v4, v9
	ds_bpermute_b32 v4, v4, v2
	v_cmpx_gt_u32_e64 s0, v11
	s_cbranch_execz .LBB278_228
; %bb.223:
	s_waitcnt lgkmcnt(1)
	v_and_b32_e32 v9, v9, v10
	s_mov_b32 s3, exec_lo
	v_and_b32_e32 v9, 1, v9
	v_cmpx_eq_u32_e32 1, v9
	s_xor_b32 s3, exec_lo, s3
	s_cbranch_execz .LBB278_225
; %bb.224:
	s_waitcnt lgkmcnt(0)
	v_cmp_lt_i64_e32 vcc_lo, v[3:4], v[1:2]
                                        ; implicit-def: $vgpr8
                                        ; implicit-def: $vgpr10
	v_cndmask_b32_e32 v2, v2, v4, vcc_lo
	v_cndmask_b32_e32 v1, v1, v3, vcc_lo
                                        ; implicit-def: $vgpr3_vgpr4
.LBB278_225:
	s_or_saveexec_b32 s3, s3
	v_mov_b32_e32 v9, 1
	s_xor_b32 exec_lo, exec_lo, s3
	s_cbranch_execz .LBB278_227
; %bb.226:
	v_and_b32_e32 v8, 1, v8
	v_cmp_eq_u32_e32 vcc_lo, 1, v8
	v_and_b32_e32 v8, 0xff, v10
	s_waitcnt lgkmcnt(0)
	v_cndmask_b32_e32 v2, v4, v2, vcc_lo
	v_cndmask_b32_e32 v1, v3, v1, vcc_lo
	v_cndmask_b32_e64 v9, v8, 1, vcc_lo
.LBB278_227:
	s_or_b32 exec_lo, exec_lo, s3
.LBB278_228:
	s_or_b32 exec_lo, exec_lo, s2
	v_cmp_gt_u32_e32 vcc_lo, 6, v6
	v_add_nc_u32_e32 v8, 2, v6
	s_mov_b32 s2, exec_lo
	s_waitcnt lgkmcnt(2)
	v_cndmask_b32_e64 v3, 0, 2, vcc_lo
	s_waitcnt lgkmcnt(0)
	v_add_lshl_u32 v4, v3, v5, 2
	ds_bpermute_b32 v5, v4, v9
	ds_bpermute_b32 v3, v4, v1
	;; [unrolled: 1-line block ×3, first 2 shown]
	v_cmpx_gt_u32_e64 s0, v8
	s_cbranch_execz .LBB278_234
; %bb.229:
	s_waitcnt lgkmcnt(2)
	v_and_b32_e32 v8, v9, v5
	s_mov_b32 s3, exec_lo
	v_and_b32_e32 v8, 1, v8
	v_cmpx_eq_u32_e32 1, v8
	s_xor_b32 s3, exec_lo, s3
	s_cbranch_execz .LBB278_231
; %bb.230:
	s_waitcnt lgkmcnt(0)
	v_cmp_lt_i64_e32 vcc_lo, v[3:4], v[1:2]
                                        ; implicit-def: $vgpr9
                                        ; implicit-def: $vgpr5
	v_cndmask_b32_e32 v2, v2, v4, vcc_lo
	v_cndmask_b32_e32 v1, v1, v3, vcc_lo
                                        ; implicit-def: $vgpr3_vgpr4
.LBB278_231:
	s_or_saveexec_b32 s3, s3
	v_mov_b32_e32 v8, 1
	s_xor_b32 exec_lo, exec_lo, s3
	s_cbranch_execz .LBB278_233
; %bb.232:
	v_and_b32_e32 v8, 1, v9
	v_and_b32_e32 v5, 0xff, v5
	v_cmp_eq_u32_e32 vcc_lo, 1, v8
	s_waitcnt lgkmcnt(0)
	v_cndmask_b32_e32 v2, v4, v2, vcc_lo
	v_cndmask_b32_e32 v1, v3, v1, vcc_lo
	v_cndmask_b32_e64 v8, v5, 1, vcc_lo
.LBB278_233:
	s_or_b32 exec_lo, exec_lo, s3
	v_mov_b32_e32 v9, v8
.LBB278_234:
	s_or_b32 exec_lo, exec_lo, s2
	s_waitcnt lgkmcnt(0)
	v_or_b32_e32 v4, 16, v7
	v_add_nc_u32_e32 v6, 4, v6
	ds_bpermute_b32 v5, v4, v9
	ds_bpermute_b32 v3, v4, v1
	;; [unrolled: 1-line block ×3, first 2 shown]
	v_cmp_gt_u32_e32 vcc_lo, s0, v6
	s_and_saveexec_b32 s0, vcc_lo
	s_cbranch_execz .LBB278_240
; %bb.235:
	s_waitcnt lgkmcnt(2)
	v_and_b32_e32 v6, v9, v5
	s_mov_b32 s2, exec_lo
	v_and_b32_e32 v6, 1, v6
	v_cmpx_eq_u32_e32 1, v6
	s_xor_b32 s2, exec_lo, s2
	s_cbranch_execz .LBB278_237
; %bb.236:
	s_waitcnt lgkmcnt(0)
	v_cmp_lt_i64_e32 vcc_lo, v[3:4], v[1:2]
                                        ; implicit-def: $vgpr9
                                        ; implicit-def: $vgpr5
	v_cndmask_b32_e32 v2, v2, v4, vcc_lo
	v_cndmask_b32_e32 v1, v1, v3, vcc_lo
                                        ; implicit-def: $vgpr3_vgpr4
.LBB278_237:
	s_or_saveexec_b32 s2, s2
	v_mov_b32_e32 v6, 1
	s_xor_b32 exec_lo, exec_lo, s2
	s_cbranch_execz .LBB278_239
; %bb.238:
	v_and_b32_e32 v6, 1, v9
	v_cmp_eq_u32_e32 vcc_lo, 1, v6
	s_waitcnt lgkmcnt(0)
	v_cndmask_b32_e32 v2, v4, v2, vcc_lo
	v_cndmask_b32_e32 v1, v3, v1, vcc_lo
	v_cndmask_b32_e64 v6, v5, 1, vcc_lo
.LBB278_239:
	s_or_b32 exec_lo, exec_lo, s2
	v_mov_b32_e32 v9, v6
.LBB278_240:
	s_or_b32 exec_lo, exec_lo, s0
.LBB278_241:
	s_or_b32 exec_lo, exec_lo, s1
.LBB278_242:
                                        ; implicit-def: $vgpr3_vgpr4
                                        ; implicit-def: $vgpr5
	s_mov_b32 s0, exec_lo
	v_cmpx_eq_u32_e32 0, v0
	s_xor_b32 s2, exec_lo, s0
	s_cbranch_execz .LBB278_246
; %bb.243:
	s_waitcnt lgkmcnt(0)
	v_mov_b32_e32 v3, s20
	v_mov_b32_e32 v4, s21
	;; [unrolled: 1-line block ×3, first 2 shown]
	s_cmp_eq_u64 s[14:15], 0
	s_cbranch_scc1 .LBB278_245
; %bb.244:
	v_and_b32_e32 v3, 1, v9
	v_cmp_gt_i64_e32 vcc_lo, s[20:21], v[1:2]
	s_bitcmp1_b32 s24, 0
	s_cselect_b32 s1, -1, 0
	v_cmp_eq_u32_e64 s0, 1, v3
	v_cndmask_b32_e64 v5, v9, 1, s1
	s_and_b32 vcc_lo, s0, vcc_lo
	v_cndmask_b32_e32 v3, s20, v1, vcc_lo
	v_cndmask_b32_e32 v4, s21, v2, vcc_lo
	v_cndmask_b32_e64 v3, v1, v3, s1
	v_cndmask_b32_e64 v4, v2, v4, s1
.LBB278_245:
	s_or_b32 s22, s22, exec_lo
.LBB278_246:
	s_or_b32 exec_lo, exec_lo, s2
	v_mov_b32_e32 v1, s6
	v_mov_b32_e32 v2, s7
	s_branch .LBB278_356
.LBB278_247:
	s_cmp_gt_i32 s25, 1
	s_cbranch_scc0 .LBB278_267
; %bb.248:
	s_cmp_eq_u32 s25, 2
	s_cbranch_scc0 .LBB278_268
; %bb.249:
	s_mov_b32 s7, 0
	s_lshl_b32 s10, s6, 9
	s_mov_b32 s11, s7
	s_lshr_b64 s[26:27], s[14:15], 9
	s_lshl_b64 s[0:1], s[10:11], 2
	s_add_u32 s2, s16, s0
	s_addc_u32 s3, s17, s1
	s_add_u32 s8, s18, s0
	s_addc_u32 s9, s19, s1
	;; [unrolled: 2-line block ×3, first 2 shown]
	s_cmp_lg_u64 s[26:27], s[6:7]
	s_cbranch_scc0 .LBB278_269
; %bb.250:
	v_lshlrev_b32_e32 v1, 2, v0
	s_waitcnt lgkmcnt(1)
	v_add_co_u32 v5, s0, s11, v0
	s_waitcnt lgkmcnt(0)
	v_add_co_ci_u32_e64 v6, null, s23, 0, s0
	s_clause 0x3
	global_load_dword v2, v1, s[2:3]
	global_load_dword v3, v1, s[8:9]
	global_load_dword v4, v1, s[8:9] offset:1024
	global_load_dword v1, v1, s[2:3] offset:1024
	v_add_co_u32 v7, vcc_lo, 0x100, v5
	v_add_co_ci_u32_e64 v8, null, 0, v6, vcc_lo
	s_waitcnt vmcnt(2)
	v_cmp_ne_u32_e32 vcc_lo, v2, v3
	s_waitcnt vmcnt(0)
	v_cmp_ne_u32_e64 s0, v1, v4
	v_cndmask_b32_e32 v2, v8, v6, vcc_lo
	v_cndmask_b32_e32 v1, v7, v5, vcc_lo
	s_or_b32 s0, vcc_lo, s0
	v_mbcnt_lo_u32_b32 v8, -1, 0
	v_cndmask_b32_e64 v5, 0, 1, s0
	v_mov_b32_dpp v4, v2 quad_perm:[1,0,3,2] row_mask:0xf bank_mask:0xf
	v_mov_b32_dpp v3, v1 quad_perm:[1,0,3,2] row_mask:0xf bank_mask:0xf
	;; [unrolled: 1-line block ×3, first 2 shown]
	v_cmp_lt_i64_e32 vcc_lo, v[1:2], v[3:4]
	v_and_b32_e32 v6, 1, v6
	s_and_b32 vcc_lo, s0, vcc_lo
	v_cndmask_b32_e32 v3, v3, v1, vcc_lo
	v_cndmask_b32_e32 v4, v4, v2, vcc_lo
	v_cmp_eq_u32_e32 vcc_lo, 1, v6
	v_cndmask_b32_e32 v2, v2, v4, vcc_lo
	v_cndmask_b32_e32 v1, v1, v3, vcc_lo
	v_cndmask_b32_e64 v5, v5, 1, vcc_lo
	v_mov_b32_dpp v4, v2 quad_perm:[2,3,0,1] row_mask:0xf bank_mask:0xf
	v_mov_b32_dpp v3, v1 quad_perm:[2,3,0,1] row_mask:0xf bank_mask:0xf
	v_and_b32_e32 v7, 1, v5
	v_mov_b32_dpp v6, v5 quad_perm:[2,3,0,1] row_mask:0xf bank_mask:0xf
	v_cmp_lt_i64_e32 vcc_lo, v[1:2], v[3:4]
	v_cmp_eq_u32_e64 s0, 1, v7
	v_and_b32_e32 v6, 1, v6
	s_and_b32 vcc_lo, s0, vcc_lo
	v_cmp_eq_u32_e64 s1, 1, v6
	v_cndmask_b32_e32 v3, v3, v1, vcc_lo
	v_cndmask_b32_e32 v4, v4, v2, vcc_lo
	v_cndmask_b32_e64 v5, v5, 1, s1
	v_cndmask_b32_e64 v1, v1, v3, s1
	;; [unrolled: 1-line block ×3, first 2 shown]
	v_and_b32_e32 v7, 1, v5
	v_mov_b32_dpp v3, v1 row_ror:4 row_mask:0xf bank_mask:0xf
	v_mov_b32_dpp v4, v2 row_ror:4 row_mask:0xf bank_mask:0xf
	;; [unrolled: 1-line block ×3, first 2 shown]
	v_cmp_eq_u32_e64 s0, 1, v7
	v_cmp_lt_i64_e32 vcc_lo, v[1:2], v[3:4]
	v_and_b32_e32 v6, 1, v6
	s_and_b32 vcc_lo, s0, vcc_lo
	v_cmp_eq_u32_e64 s1, 1, v6
	v_cndmask_b32_e32 v3, v3, v1, vcc_lo
	v_cndmask_b32_e32 v4, v4, v2, vcc_lo
	v_cndmask_b32_e64 v5, v5, 1, s1
	v_cndmask_b32_e64 v1, v1, v3, s1
	;; [unrolled: 1-line block ×3, first 2 shown]
	v_and_b32_e32 v7, 1, v5
	v_mov_b32_dpp v3, v1 row_ror:8 row_mask:0xf bank_mask:0xf
	v_mov_b32_dpp v4, v2 row_ror:8 row_mask:0xf bank_mask:0xf
	;; [unrolled: 1-line block ×3, first 2 shown]
	v_cmp_eq_u32_e64 s0, 1, v7
	v_cmp_lt_i64_e32 vcc_lo, v[1:2], v[3:4]
	v_and_b32_e32 v6, 1, v6
	s_and_b32 vcc_lo, s0, vcc_lo
	v_cmp_eq_u32_e64 s1, 1, v6
	v_cndmask_b32_e32 v3, v3, v1, vcc_lo
	v_cndmask_b32_e32 v4, v4, v2, vcc_lo
	v_cndmask_b32_e64 v5, v5, 1, s1
	v_cndmask_b32_e64 v1, v1, v3, s1
	;; [unrolled: 1-line block ×3, first 2 shown]
	ds_swizzle_b32 v6, v5 offset:swizzle(BROADCAST,32,15)
	ds_swizzle_b32 v3, v1 offset:swizzle(BROADCAST,32,15)
	;; [unrolled: 1-line block ×3, first 2 shown]
	v_and_b32_e32 v7, 1, v5
	v_cmp_eq_u32_e64 s0, 1, v7
	s_waitcnt lgkmcnt(2)
	v_and_b32_e32 v6, 1, v6
	s_waitcnt lgkmcnt(0)
	v_cmp_lt_i64_e32 vcc_lo, v[1:2], v[3:4]
	v_cmp_eq_u32_e64 s1, 1, v6
	v_mov_b32_e32 v6, 0
	s_and_b32 vcc_lo, s0, vcc_lo
	s_mov_b32 s0, exec_lo
	v_cndmask_b32_e32 v3, v3, v1, vcc_lo
	v_cndmask_b32_e32 v4, v4, v2, vcc_lo
	v_cndmask_b32_e64 v5, v5, 1, s1
	v_cndmask_b32_e64 v1, v1, v3, s1
	;; [unrolled: 1-line block ×3, first 2 shown]
	ds_bpermute_b32 v7, v6, v5 offset:124
	ds_bpermute_b32 v1, v6, v1 offset:124
	;; [unrolled: 1-line block ×3, first 2 shown]
	v_cmpx_eq_u32_e32 0, v8
	s_cbranch_execz .LBB278_252
; %bb.251:
	v_lshrrev_b32_e32 v3, 1, v0
	v_and_b32_e32 v3, 0x70, v3
	s_waitcnt lgkmcnt(2)
	ds_write_b8 v3, v7 offset:128
	s_waitcnt lgkmcnt(1)
	ds_write_b64 v3, v[1:2] offset:136
.LBB278_252:
	s_or_b32 exec_lo, exec_lo, s0
	s_mov_b32 s0, exec_lo
	s_waitcnt lgkmcnt(0)
	s_barrier
	buffer_gl0_inv
	v_cmpx_gt_u32_e32 32, v0
	s_cbranch_execz .LBB278_266
; %bb.253:
	v_and_b32_e32 v7, 7, v8
	v_lshlrev_b32_e32 v1, 4, v7
	v_cmp_ne_u32_e32 vcc_lo, 7, v7
	ds_read_u8 v10, v1 offset:128
	ds_read_b64 v[3:4], v1 offset:136
	v_add_co_ci_u32_e64 v2, null, 0, v8, vcc_lo
	v_lshlrev_b32_e32 v2, 2, v2
	s_waitcnt lgkmcnt(1)
	v_and_b32_e32 v1, 0xff, v10
	s_waitcnt lgkmcnt(0)
	ds_bpermute_b32 v5, v2, v3
	ds_bpermute_b32 v6, v2, v4
	;; [unrolled: 1-line block ×3, first 2 shown]
	s_waitcnt lgkmcnt(0)
	v_and_b32_e32 v1, v10, v11
	v_and_b32_e32 v1, 1, v1
	v_cmp_eq_u32_e32 vcc_lo, 1, v1
                                        ; implicit-def: $vgpr1_vgpr2
	s_and_saveexec_b32 s1, vcc_lo
	s_xor_b32 s1, exec_lo, s1
; %bb.254:
	v_cmp_lt_i64_e32 vcc_lo, v[5:6], v[3:4]
                                        ; implicit-def: $vgpr10
                                        ; implicit-def: $vgpr11
	v_cndmask_b32_e32 v2, v4, v6, vcc_lo
	v_cndmask_b32_e32 v1, v3, v5, vcc_lo
                                        ; implicit-def: $vgpr5_vgpr6
                                        ; implicit-def: $vgpr3_vgpr4
; %bb.255:
	s_or_saveexec_b32 s1, s1
	v_mov_b32_e32 v9, 1
	s_xor_b32 exec_lo, exec_lo, s1
; %bb.256:
	v_and_b32_e32 v1, 1, v10
	v_and_b32_e32 v9, 0xff, v11
	v_cmp_eq_u32_e32 vcc_lo, 1, v1
	v_cndmask_b32_e32 v2, v6, v4, vcc_lo
	v_cndmask_b32_e32 v1, v5, v3, vcc_lo
	v_cndmask_b32_e64 v9, v9, 1, vcc_lo
; %bb.257:
	s_or_b32 exec_lo, exec_lo, s1
	v_cmp_gt_u32_e32 vcc_lo, 6, v7
	v_cndmask_b32_e64 v3, 0, 2, vcc_lo
	v_add_lshl_u32 v3, v3, v8, 2
	ds_bpermute_b32 v7, v3, v9
	ds_bpermute_b32 v5, v3, v1
	ds_bpermute_b32 v6, v3, v2
	s_waitcnt lgkmcnt(2)
	v_and_b32_e32 v3, v9, v7
	v_and_b32_e32 v3, 1, v3
	v_cmp_eq_u32_e32 vcc_lo, 1, v3
                                        ; implicit-def: $vgpr3_vgpr4
	s_and_saveexec_b32 s1, vcc_lo
	s_xor_b32 s1, exec_lo, s1
	s_cbranch_execz .LBB278_259
; %bb.258:
	s_waitcnt lgkmcnt(0)
	v_cmp_lt_i64_e32 vcc_lo, v[5:6], v[1:2]
                                        ; implicit-def: $vgpr9
                                        ; implicit-def: $vgpr7
	v_cndmask_b32_e32 v4, v2, v6, vcc_lo
	v_cndmask_b32_e32 v3, v1, v5, vcc_lo
                                        ; implicit-def: $vgpr5_vgpr6
                                        ; implicit-def: $vgpr1_vgpr2
.LBB278_259:
	s_or_saveexec_b32 s1, s1
	v_lshlrev_b32_e32 v10, 2, v8
	v_mov_b32_e32 v8, 1
	s_xor_b32 exec_lo, exec_lo, s1
	s_cbranch_execz .LBB278_261
; %bb.260:
	v_and_b32_e32 v3, 1, v9
	v_and_b32_e32 v7, 0xff, v7
	v_cmp_eq_u32_e32 vcc_lo, 1, v3
	s_waitcnt lgkmcnt(0)
	v_cndmask_b32_e32 v4, v6, v2, vcc_lo
	v_cndmask_b32_e32 v3, v5, v1, vcc_lo
	v_cndmask_b32_e64 v8, v7, 1, vcc_lo
.LBB278_261:
	s_or_b32 exec_lo, exec_lo, s1
	v_or_b32_e32 v1, 16, v10
	ds_bpermute_b32 v9, v1, v8
	s_waitcnt lgkmcnt(2)
	ds_bpermute_b32 v5, v1, v3
	s_waitcnt lgkmcnt(2)
	;; [unrolled: 2-line block ×3, first 2 shown]
	v_and_b32_e32 v1, v8, v9
	v_and_b32_e32 v1, 1, v1
	v_cmp_eq_u32_e32 vcc_lo, 1, v1
                                        ; implicit-def: $vgpr1_vgpr2
	s_and_saveexec_b32 s1, vcc_lo
	s_xor_b32 s1, exec_lo, s1
	s_cbranch_execz .LBB278_263
; %bb.262:
	s_waitcnt lgkmcnt(0)
	v_cmp_lt_i64_e32 vcc_lo, v[5:6], v[3:4]
                                        ; implicit-def: $vgpr8
                                        ; implicit-def: $vgpr9
	v_cndmask_b32_e32 v2, v4, v6, vcc_lo
	v_cndmask_b32_e32 v1, v3, v5, vcc_lo
                                        ; implicit-def: $vgpr5_vgpr6
                                        ; implicit-def: $vgpr3_vgpr4
.LBB278_263:
	s_or_saveexec_b32 s1, s1
	v_mov_b32_e32 v7, 1
	s_xor_b32 exec_lo, exec_lo, s1
	s_cbranch_execz .LBB278_265
; %bb.264:
	v_and_b32_e32 v1, 1, v8
	v_cmp_eq_u32_e32 vcc_lo, 1, v1
	s_waitcnt lgkmcnt(0)
	v_cndmask_b32_e32 v2, v6, v4, vcc_lo
	v_cndmask_b32_e32 v1, v5, v3, vcc_lo
	v_cndmask_b32_e64 v7, v9, 1, vcc_lo
.LBB278_265:
	s_or_b32 exec_lo, exec_lo, s1
.LBB278_266:
	s_or_b32 exec_lo, exec_lo, s0
	s_branch .LBB278_327
.LBB278_267:
                                        ; implicit-def: $vgpr3_vgpr4
                                        ; implicit-def: $vgpr5
                                        ; implicit-def: $vgpr1_vgpr2
	s_cbranch_execnz .LBB278_332
	s_branch .LBB278_356
.LBB278_268:
                                        ; implicit-def: $vgpr3_vgpr4
                                        ; implicit-def: $vgpr5
                                        ; implicit-def: $vgpr1_vgpr2
	s_branch .LBB278_356
.LBB278_269:
                                        ; implicit-def: $vgpr1_vgpr2
                                        ; implicit-def: $vgpr7
	s_cbranch_execz .LBB278_327
; %bb.270:
	s_waitcnt lgkmcnt(0)
	v_mov_b32_e32 v3, 0
	v_mov_b32_e32 v1, 0
	;; [unrolled: 1-line block ×6, first 2 shown]
	s_sub_i32 s10, s14, s10
	s_mov_b32 s0, exec_lo
	v_cmpx_gt_u32_e64 s10, v0
	s_cbranch_execz .LBB278_272
; %bb.271:
	v_lshlrev_b32_e32 v1, 2, v0
	s_clause 0x1
	global_load_dword v6, v1, s[2:3]
	global_load_dword v7, v1, s[8:9]
	v_add_co_u32 v1, s1, s11, v0
	v_add_co_ci_u32_e64 v2, null, s23, 0, s1
	s_waitcnt vmcnt(0)
	v_cmp_ne_u32_e32 vcc_lo, v6, v7
	v_cndmask_b32_e64 v6, 0, 1, vcc_lo
.LBB278_272:
	s_or_b32 exec_lo, exec_lo, s0
	v_or_b32_e32 v7, 0x100, v0
	v_cmp_gt_u32_e32 vcc_lo, s10, v7
	s_and_saveexec_b32 s1, vcc_lo
	s_cbranch_execz .LBB278_274
; %bb.273:
	v_lshlrev_b32_e32 v3, 2, v0
	s_clause 0x1
	global_load_dword v5, v3, s[2:3] offset:1024
	global_load_dword v8, v3, s[8:9] offset:1024
	v_add_co_u32 v3, s0, s11, v7
	v_add_co_ci_u32_e64 v4, null, s23, 0, s0
	s_waitcnt vmcnt(0)
	v_cmp_ne_u32_e64 s0, v5, v8
	v_cndmask_b32_e64 v5, 0, 1, s0
.LBB278_274:
	s_or_b32 exec_lo, exec_lo, s1
	v_and_b32_e32 v7, 1, v5
	v_cmp_lt_i64_e64 s0, v[3:4], v[1:2]
	v_and_b32_e32 v8, 0xffff, v5
	v_mbcnt_lo_u32_b32 v5, -1, 0
	v_cmp_eq_u32_e64 s1, 1, v7
	v_and_b32_e32 v7, 0xffff, v6
	v_and_b32_e32 v6, 1, v6
	s_and_b32 s0, s1, s0
	v_cmp_ne_u32_e64 s1, 31, v5
	v_cndmask_b32_e64 v9, v2, v4, s0
	v_cndmask_b32_e64 v10, v1, v3, s0
	v_cmp_eq_u32_e64 s0, 1, v6
	v_cndmask_b32_e64 v6, v8, 1, s0
	v_add_co_ci_u32_e64 v8, null, 0, v5, s1
	v_cndmask_b32_e64 v3, v3, v10, s0
	v_cndmask_b32_e64 v4, v4, v9, s0
	v_cndmask_b32_e32 v7, v7, v6, vcc_lo
	v_lshlrev_b32_e32 v6, 2, v8
	s_min_u32 s0, s10, 0x100
	v_cndmask_b32_e32 v1, v1, v3, vcc_lo
	v_cndmask_b32_e32 v2, v2, v4, vcc_lo
	v_add_nc_u32_e32 v9, 1, v5
	ds_bpermute_b32 v8, v6, v7
	s_mov_b32 s1, exec_lo
	ds_bpermute_b32 v3, v6, v1
	ds_bpermute_b32 v4, v6, v2
	v_and_b32_e32 v6, 0xe0, v0
	v_sub_nc_u32_e64 v6, s0, v6 clamp
	v_cmpx_lt_u32_e64 v9, v6
	s_cbranch_execz .LBB278_280
; %bb.275:
	s_waitcnt lgkmcnt(2)
	v_and_b32_e32 v9, v7, v8
	s_mov_b32 s2, exec_lo
	v_cmpx_ne_u32_e32 0, v9
	s_xor_b32 s2, exec_lo, s2
	s_cbranch_execz .LBB278_277
; %bb.276:
	s_waitcnt lgkmcnt(0)
	v_cmp_lt_i64_e32 vcc_lo, v[3:4], v[1:2]
                                        ; implicit-def: $vgpr7
                                        ; implicit-def: $vgpr8
	v_cndmask_b32_e32 v2, v2, v4, vcc_lo
	v_cndmask_b32_e32 v1, v1, v3, vcc_lo
                                        ; implicit-def: $vgpr3_vgpr4
.LBB278_277:
	s_or_saveexec_b32 s2, s2
	v_mov_b32_e32 v9, 1
	s_xor_b32 exec_lo, exec_lo, s2
	s_cbranch_execz .LBB278_279
; %bb.278:
	v_and_b32_e32 v7, 1, v7
	v_cmp_eq_u32_e32 vcc_lo, 1, v7
	v_and_b32_e32 v7, 0xff, v8
	s_waitcnt lgkmcnt(0)
	v_cndmask_b32_e32 v2, v4, v2, vcc_lo
	v_cndmask_b32_e32 v1, v3, v1, vcc_lo
	v_cndmask_b32_e64 v9, v7, 1, vcc_lo
.LBB278_279:
	s_or_b32 exec_lo, exec_lo, s2
	v_mov_b32_e32 v7, v9
.LBB278_280:
	s_or_b32 exec_lo, exec_lo, s1
	v_cmp_gt_u32_e32 vcc_lo, 30, v5
	v_add_nc_u32_e32 v9, 2, v5
	s_mov_b32 s1, exec_lo
	s_waitcnt lgkmcnt(1)
	v_cndmask_b32_e64 v3, 0, 2, vcc_lo
	s_waitcnt lgkmcnt(0)
	v_add_lshl_u32 v4, v3, v5, 2
	ds_bpermute_b32 v8, v4, v7
	ds_bpermute_b32 v3, v4, v1
	ds_bpermute_b32 v4, v4, v2
	v_cmpx_lt_u32_e64 v9, v6
	s_cbranch_execz .LBB278_286
; %bb.281:
	s_waitcnt lgkmcnt(2)
	v_and_b32_e32 v9, v7, v8
	s_mov_b32 s2, exec_lo
	v_and_b32_e32 v9, 1, v9
	v_cmpx_eq_u32_e32 1, v9
	s_xor_b32 s2, exec_lo, s2
	s_cbranch_execz .LBB278_283
; %bb.282:
	s_waitcnt lgkmcnt(0)
	v_cmp_lt_i64_e32 vcc_lo, v[3:4], v[1:2]
                                        ; implicit-def: $vgpr7
                                        ; implicit-def: $vgpr8
	v_cndmask_b32_e32 v2, v2, v4, vcc_lo
	v_cndmask_b32_e32 v1, v1, v3, vcc_lo
                                        ; implicit-def: $vgpr3_vgpr4
.LBB278_283:
	s_or_saveexec_b32 s2, s2
	v_mov_b32_e32 v9, 1
	s_xor_b32 exec_lo, exec_lo, s2
	s_cbranch_execz .LBB278_285
; %bb.284:
	v_and_b32_e32 v7, 1, v7
	v_cmp_eq_u32_e32 vcc_lo, 1, v7
	v_and_b32_e32 v7, 0xff, v8
	s_waitcnt lgkmcnt(0)
	v_cndmask_b32_e32 v2, v4, v2, vcc_lo
	v_cndmask_b32_e32 v1, v3, v1, vcc_lo
	v_cndmask_b32_e64 v9, v7, 1, vcc_lo
.LBB278_285:
	s_or_b32 exec_lo, exec_lo, s2
	v_mov_b32_e32 v7, v9
.LBB278_286:
	s_or_b32 exec_lo, exec_lo, s1
	v_cmp_gt_u32_e32 vcc_lo, 28, v5
	v_add_nc_u32_e32 v9, 4, v5
	s_mov_b32 s1, exec_lo
	s_waitcnt lgkmcnt(1)
	v_cndmask_b32_e64 v3, 0, 4, vcc_lo
	s_waitcnt lgkmcnt(0)
	v_add_lshl_u32 v4, v3, v5, 2
	ds_bpermute_b32 v8, v4, v7
	ds_bpermute_b32 v3, v4, v1
	ds_bpermute_b32 v4, v4, v2
	v_cmpx_lt_u32_e64 v9, v6
	s_cbranch_execz .LBB278_292
; %bb.287:
	s_waitcnt lgkmcnt(2)
	v_and_b32_e32 v9, v7, v8
	s_mov_b32 s2, exec_lo
	v_and_b32_e32 v9, 1, v9
	v_cmpx_eq_u32_e32 1, v9
	s_xor_b32 s2, exec_lo, s2
	s_cbranch_execz .LBB278_289
; %bb.288:
	s_waitcnt lgkmcnt(0)
	v_cmp_lt_i64_e32 vcc_lo, v[3:4], v[1:2]
                                        ; implicit-def: $vgpr7
                                        ; implicit-def: $vgpr8
	v_cndmask_b32_e32 v2, v2, v4, vcc_lo
	v_cndmask_b32_e32 v1, v1, v3, vcc_lo
                                        ; implicit-def: $vgpr3_vgpr4
.LBB278_289:
	s_or_saveexec_b32 s2, s2
	v_mov_b32_e32 v9, 1
	s_xor_b32 exec_lo, exec_lo, s2
	s_cbranch_execz .LBB278_291
; %bb.290:
	v_and_b32_e32 v7, 1, v7
	v_cmp_eq_u32_e32 vcc_lo, 1, v7
	v_and_b32_e32 v7, 0xff, v8
	s_waitcnt lgkmcnt(0)
	v_cndmask_b32_e32 v2, v4, v2, vcc_lo
	v_cndmask_b32_e32 v1, v3, v1, vcc_lo
	v_cndmask_b32_e64 v9, v7, 1, vcc_lo
.LBB278_291:
	s_or_b32 exec_lo, exec_lo, s2
	v_mov_b32_e32 v7, v9
.LBB278_292:
	;; [unrolled: 46-line block ×3, first 2 shown]
	s_or_b32 exec_lo, exec_lo, s1
	s_waitcnt lgkmcnt(2)
	v_lshlrev_b32_e32 v8, 2, v5
	v_add_nc_u32_e32 v10, 16, v5
	s_waitcnt lgkmcnt(0)
	v_or_b32_e32 v4, 64, v8
	v_cmp_lt_u32_e32 vcc_lo, v10, v6
	v_mov_b32_e32 v6, v7
	ds_bpermute_b32 v9, v4, v7
	ds_bpermute_b32 v3, v4, v1
	;; [unrolled: 1-line block ×3, first 2 shown]
	s_and_saveexec_b32 s1, vcc_lo
	s_cbranch_execz .LBB278_304
; %bb.299:
	s_waitcnt lgkmcnt(2)
	v_and_b32_e32 v6, v7, v9
	s_mov_b32 s2, exec_lo
	v_and_b32_e32 v6, 1, v6
	v_cmpx_eq_u32_e32 1, v6
	s_xor_b32 s2, exec_lo, s2
	s_cbranch_execz .LBB278_301
; %bb.300:
	s_waitcnt lgkmcnt(0)
	v_cmp_lt_i64_e32 vcc_lo, v[3:4], v[1:2]
                                        ; implicit-def: $vgpr7
                                        ; implicit-def: $vgpr9
	v_cndmask_b32_e32 v2, v2, v4, vcc_lo
	v_cndmask_b32_e32 v1, v1, v3, vcc_lo
                                        ; implicit-def: $vgpr3_vgpr4
.LBB278_301:
	s_or_saveexec_b32 s2, s2
	v_mov_b32_e32 v6, 1
	s_xor_b32 exec_lo, exec_lo, s2
	s_cbranch_execz .LBB278_303
; %bb.302:
	v_and_b32_e32 v6, 1, v7
	v_cmp_eq_u32_e32 vcc_lo, 1, v6
	v_cndmask_b32_e64 v6, v9, 1, vcc_lo
	s_waitcnt lgkmcnt(0)
	v_cndmask_b32_e32 v2, v4, v2, vcc_lo
	v_cndmask_b32_e32 v1, v3, v1, vcc_lo
.LBB278_303:
	s_or_b32 exec_lo, exec_lo, s2
	v_and_b32_e32 v7, 0xff, v6
.LBB278_304:
	s_or_b32 exec_lo, exec_lo, s1
	s_mov_b32 s1, exec_lo
	v_cmpx_eq_u32_e32 0, v5
	s_cbranch_execz .LBB278_306
; %bb.305:
	s_waitcnt lgkmcnt(1)
	v_lshrrev_b32_e32 v3, 1, v0
	v_and_b32_e32 v3, 0x70, v3
	ds_write_b8 v3, v6 offset:512
	ds_write_b64 v3, v[1:2] offset:520
.LBB278_306:
	s_or_b32 exec_lo, exec_lo, s1
	s_mov_b32 s1, exec_lo
	s_waitcnt lgkmcnt(0)
	s_barrier
	buffer_gl0_inv
	v_cmpx_gt_u32_e32 8, v0
	s_cbranch_execz .LBB278_326
; %bb.307:
	v_lshlrev_b32_e32 v1, 4, v5
	v_and_b32_e32 v6, 7, v5
	s_add_i32 s0, s0, 31
	s_mov_b32 s2, exec_lo
	s_lshr_b32 s0, s0, 5
	ds_read_u8 v9, v1 offset:512
	ds_read_b64 v[1:2], v1 offset:520
	v_cmp_ne_u32_e32 vcc_lo, 7, v6
	v_add_nc_u32_e32 v11, 1, v6
	v_add_co_ci_u32_e64 v3, null, 0, v5, vcc_lo
	v_lshlrev_b32_e32 v4, 2, v3
	s_waitcnt lgkmcnt(1)
	v_and_b32_e32 v7, 0xff, v9
	s_waitcnt lgkmcnt(0)
	ds_bpermute_b32 v3, v4, v1
	ds_bpermute_b32 v10, v4, v7
	;; [unrolled: 1-line block ×3, first 2 shown]
	v_cmpx_gt_u32_e64 s0, v11
	s_cbranch_execz .LBB278_313
; %bb.308:
	s_waitcnt lgkmcnt(1)
	v_and_b32_e32 v7, v7, v10
	s_mov_b32 s3, exec_lo
	v_and_b32_e32 v7, 1, v7
	v_cmpx_eq_u32_e32 1, v7
	s_xor_b32 s3, exec_lo, s3
	s_cbranch_execz .LBB278_310
; %bb.309:
	s_waitcnt lgkmcnt(0)
	v_cmp_lt_i64_e32 vcc_lo, v[3:4], v[1:2]
                                        ; implicit-def: $vgpr9
                                        ; implicit-def: $vgpr10
	v_cndmask_b32_e32 v2, v2, v4, vcc_lo
	v_cndmask_b32_e32 v1, v1, v3, vcc_lo
                                        ; implicit-def: $vgpr3_vgpr4
.LBB278_310:
	s_or_saveexec_b32 s3, s3
	v_mov_b32_e32 v7, 1
	s_xor_b32 exec_lo, exec_lo, s3
	s_cbranch_execz .LBB278_312
; %bb.311:
	v_and_b32_e32 v7, 1, v9
	v_cmp_eq_u32_e32 vcc_lo, 1, v7
	v_and_b32_e32 v7, 0xff, v10
	s_waitcnt lgkmcnt(0)
	v_cndmask_b32_e32 v2, v4, v2, vcc_lo
	v_cndmask_b32_e32 v1, v3, v1, vcc_lo
	v_cndmask_b32_e64 v7, v7, 1, vcc_lo
.LBB278_312:
	s_or_b32 exec_lo, exec_lo, s3
.LBB278_313:
	s_or_b32 exec_lo, exec_lo, s2
	v_cmp_gt_u32_e32 vcc_lo, 6, v6
	v_add_nc_u32_e32 v9, 2, v6
	s_mov_b32 s2, exec_lo
	s_waitcnt lgkmcnt(2)
	v_cndmask_b32_e64 v3, 0, 2, vcc_lo
	s_waitcnt lgkmcnt(0)
	v_add_lshl_u32 v4, v3, v5, 2
	ds_bpermute_b32 v5, v4, v7
	ds_bpermute_b32 v3, v4, v1
	ds_bpermute_b32 v4, v4, v2
	v_cmpx_gt_u32_e64 s0, v9
	s_cbranch_execz .LBB278_319
; %bb.314:
	s_waitcnt lgkmcnt(2)
	v_and_b32_e32 v9, v7, v5
	s_mov_b32 s3, exec_lo
	v_and_b32_e32 v9, 1, v9
	v_cmpx_eq_u32_e32 1, v9
	s_xor_b32 s3, exec_lo, s3
	s_cbranch_execz .LBB278_316
; %bb.315:
	s_waitcnt lgkmcnt(0)
	v_cmp_lt_i64_e32 vcc_lo, v[3:4], v[1:2]
                                        ; implicit-def: $vgpr7
                                        ; implicit-def: $vgpr5
	v_cndmask_b32_e32 v2, v2, v4, vcc_lo
	v_cndmask_b32_e32 v1, v1, v3, vcc_lo
                                        ; implicit-def: $vgpr3_vgpr4
.LBB278_316:
	s_or_saveexec_b32 s3, s3
	v_mov_b32_e32 v9, 1
	s_xor_b32 exec_lo, exec_lo, s3
	s_cbranch_execz .LBB278_318
; %bb.317:
	v_and_b32_e32 v7, 1, v7
	v_and_b32_e32 v5, 0xff, v5
	v_cmp_eq_u32_e32 vcc_lo, 1, v7
	s_waitcnt lgkmcnt(0)
	v_cndmask_b32_e32 v2, v4, v2, vcc_lo
	v_cndmask_b32_e32 v1, v3, v1, vcc_lo
	v_cndmask_b32_e64 v9, v5, 1, vcc_lo
.LBB278_318:
	s_or_b32 exec_lo, exec_lo, s3
	v_mov_b32_e32 v7, v9
.LBB278_319:
	s_or_b32 exec_lo, exec_lo, s2
	s_waitcnt lgkmcnt(0)
	v_or_b32_e32 v4, 16, v8
	v_add_nc_u32_e32 v6, 4, v6
	ds_bpermute_b32 v5, v4, v7
	ds_bpermute_b32 v3, v4, v1
	;; [unrolled: 1-line block ×3, first 2 shown]
	v_cmp_gt_u32_e32 vcc_lo, s0, v6
	s_and_saveexec_b32 s0, vcc_lo
	s_cbranch_execz .LBB278_325
; %bb.320:
	s_waitcnt lgkmcnt(2)
	v_and_b32_e32 v6, v7, v5
	s_mov_b32 s2, exec_lo
	v_and_b32_e32 v6, 1, v6
	v_cmpx_eq_u32_e32 1, v6
	s_xor_b32 s2, exec_lo, s2
	s_cbranch_execz .LBB278_322
; %bb.321:
	s_waitcnt lgkmcnt(0)
	v_cmp_lt_i64_e32 vcc_lo, v[3:4], v[1:2]
                                        ; implicit-def: $vgpr7
                                        ; implicit-def: $vgpr5
	v_cndmask_b32_e32 v2, v2, v4, vcc_lo
	v_cndmask_b32_e32 v1, v1, v3, vcc_lo
                                        ; implicit-def: $vgpr3_vgpr4
.LBB278_322:
	s_or_saveexec_b32 s2, s2
	v_mov_b32_e32 v6, 1
	s_xor_b32 exec_lo, exec_lo, s2
	s_cbranch_execz .LBB278_324
; %bb.323:
	v_and_b32_e32 v6, 1, v7
	v_cmp_eq_u32_e32 vcc_lo, 1, v6
	s_waitcnt lgkmcnt(0)
	v_cndmask_b32_e32 v2, v4, v2, vcc_lo
	v_cndmask_b32_e32 v1, v3, v1, vcc_lo
	v_cndmask_b32_e64 v6, v5, 1, vcc_lo
.LBB278_324:
	s_or_b32 exec_lo, exec_lo, s2
	v_mov_b32_e32 v7, v6
.LBB278_325:
	s_or_b32 exec_lo, exec_lo, s0
.LBB278_326:
	s_or_b32 exec_lo, exec_lo, s1
.LBB278_327:
                                        ; implicit-def: $vgpr3_vgpr4
                                        ; implicit-def: $vgpr5
	s_mov_b32 s0, exec_lo
	v_cmpx_eq_u32_e32 0, v0
	s_xor_b32 s2, exec_lo, s0
	s_cbranch_execz .LBB278_331
; %bb.328:
	s_waitcnt lgkmcnt(0)
	v_mov_b32_e32 v3, s20
	v_mov_b32_e32 v4, s21
	;; [unrolled: 1-line block ×3, first 2 shown]
	s_cmp_eq_u64 s[14:15], 0
	s_cbranch_scc1 .LBB278_330
; %bb.329:
	v_and_b32_e32 v3, 1, v7
	v_cmp_gt_i64_e32 vcc_lo, s[20:21], v[1:2]
	s_bitcmp1_b32 s24, 0
	s_cselect_b32 s1, -1, 0
	v_cmp_eq_u32_e64 s0, 1, v3
	v_cndmask_b32_e64 v5, v7, 1, s1
	s_and_b32 vcc_lo, s0, vcc_lo
	v_cndmask_b32_e32 v3, s20, v1, vcc_lo
	v_cndmask_b32_e32 v4, s21, v2, vcc_lo
	v_cndmask_b32_e64 v3, v1, v3, s1
	v_cndmask_b32_e64 v4, v2, v4, s1
.LBB278_330:
	s_or_b32 s22, s22, exec_lo
.LBB278_331:
	s_or_b32 exec_lo, exec_lo, s2
	v_mov_b32_e32 v1, s6
	v_mov_b32_e32 v2, s7
	s_branch .LBB278_356
.LBB278_332:
	s_cmp_eq_u32 s25, 1
	s_cbranch_scc0 .LBB278_355
; %bb.333:
	s_mov_b32 s3, 0
	s_lshr_b64 s[0:1], s[14:15], 8
	s_mov_b32 s7, s3
	s_lshl_b32 s2, s6, 8
	s_cmp_lg_u64 s[0:1], s[6:7]
	s_cbranch_scc0 .LBB278_359
; %bb.334:
	s_lshl_b64 s[0:1], s[2:3], 2
	v_lshlrev_b32_e32 v1, 2, v0
	s_add_u32 s8, s16, s0
	s_addc_u32 s9, s17, s1
	s_add_u32 s0, s18, s0
	s_addc_u32 s1, s19, s1
	s_waitcnt lgkmcnt(0)
	s_clause 0x1
	global_load_dword v4, v1, s[8:9]
	global_load_dword v5, v1, s[0:1]
	s_add_u32 s0, s12, s2
	s_addc_u32 s1, s13, 0
	v_add_co_u32 v1, s0, s0, v0
	v_add_co_ci_u32_e64 v2, null, s1, 0, s0
                                        ; implicit-def: $vgpr7
	v_mov_b32_dpp v3, v1 quad_perm:[1,0,3,2] row_mask:0xf bank_mask:0xf
	s_waitcnt vmcnt(0)
	v_cmp_ne_u32_e32 vcc_lo, v4, v5
	v_mov_b32_dpp v4, v2 quad_perm:[1,0,3,2] row_mask:0xf bank_mask:0xf
	v_cndmask_b32_e64 v5, 0, 1, vcc_lo
	v_cmp_lt_i64_e64 s0, v[1:2], v[3:4]
	v_mov_b32_dpp v5, v5 quad_perm:[1,0,3,2] row_mask:0xf bank_mask:0xf
	s_and_b32 s0, vcc_lo, s0
	v_cndmask_b32_e64 v3, v3, v1, s0
	v_and_b32_e32 v5, 1, v5
	v_cndmask_b32_e64 v4, v4, v2, s0
	v_cmp_eq_u32_e64 s0, 1, v5
	s_or_b32 s1, s0, vcc_lo
	v_cndmask_b32_e64 v4, v2, v4, s0
	v_cndmask_b32_e64 v2, 0, 1, s1
	;; [unrolled: 1-line block ×3, first 2 shown]
	v_mov_b32_dpp v6, v4 quad_perm:[2,3,0,1] row_mask:0xf bank_mask:0xf
	v_mov_b32_dpp v2, v2 quad_perm:[2,3,0,1] row_mask:0xf bank_mask:0xf
	;; [unrolled: 1-line block ×3, first 2 shown]
	v_and_b32_e32 v2, 1, v2
	v_cmp_eq_u32_e32 vcc_lo, 1, v2
                                        ; implicit-def: $vgpr1_vgpr2
	s_and_b32 s0, vcc_lo, s1
	s_xor_b32 s0, s0, -1
	s_and_saveexec_b32 s8, s0
	s_xor_b32 s0, exec_lo, s8
; %bb.335:
	s_or_b32 s1, vcc_lo, s1
	v_cndmask_b32_e32 v2, v4, v6, vcc_lo
	v_cndmask_b32_e32 v1, v3, v5, vcc_lo
	v_cndmask_b32_e64 v7, 0, 1, s1
                                        ; implicit-def: $vgpr3_vgpr4
                                        ; implicit-def: $vgpr5_vgpr6
; %bb.336:
	s_andn2_saveexec_b32 s0, s0
; %bb.337:
	v_cmp_lt_i64_e32 vcc_lo, v[3:4], v[5:6]
	v_mov_b32_e32 v7, 1
	v_cndmask_b32_e32 v2, v6, v4, vcc_lo
	v_cndmask_b32_e32 v1, v5, v3, vcc_lo
; %bb.338:
	s_or_b32 exec_lo, exec_lo, s0
	v_mov_b32_dpp v3, v1 row_ror:4 row_mask:0xf bank_mask:0xf
	v_mov_b32_dpp v4, v2 row_ror:4 row_mask:0xf bank_mask:0xf
	v_and_b32_e32 v6, 1, v7
	v_mov_b32_dpp v5, v7 row_ror:4 row_mask:0xf bank_mask:0xf
	v_mbcnt_lo_u32_b32 v8, -1, 0
	v_cmp_lt_i64_e32 vcc_lo, v[1:2], v[3:4]
	v_cmp_eq_u32_e64 s0, 1, v6
	v_and_b32_e32 v5, 1, v5
	s_and_b32 vcc_lo, s0, vcc_lo
	v_cmp_eq_u32_e64 s1, 1, v5
	v_cndmask_b32_e32 v3, v3, v1, vcc_lo
	v_cndmask_b32_e32 v4, v4, v2, vcc_lo
	v_cndmask_b32_e64 v5, v7, 1, s1
	v_cndmask_b32_e64 v1, v1, v3, s1
	;; [unrolled: 1-line block ×3, first 2 shown]
	v_and_b32_e32 v7, 1, v5
	v_mov_b32_dpp v3, v1 row_ror:8 row_mask:0xf bank_mask:0xf
	v_mov_b32_dpp v4, v2 row_ror:8 row_mask:0xf bank_mask:0xf
	;; [unrolled: 1-line block ×3, first 2 shown]
	v_cmp_eq_u32_e64 s0, 1, v7
	v_cmp_lt_i64_e32 vcc_lo, v[1:2], v[3:4]
	v_and_b32_e32 v6, 1, v6
	v_cmp_eq_u32_e64 s1, 1, v6
	s_and_b32 vcc_lo, s0, vcc_lo
	v_cndmask_b32_e32 v3, v3, v1, vcc_lo
	v_cndmask_b32_e32 v4, v4, v2, vcc_lo
	v_cndmask_b32_e64 v5, v5, 1, s1
	v_cndmask_b32_e64 v1, v1, v3, s1
	;; [unrolled: 1-line block ×3, first 2 shown]
	ds_swizzle_b32 v6, v5 offset:swizzle(BROADCAST,32,15)
	v_and_b32_e32 v7, 1, v5
	ds_swizzle_b32 v3, v1 offset:swizzle(BROADCAST,32,15)
	ds_swizzle_b32 v4, v2 offset:swizzle(BROADCAST,32,15)
	v_cmp_eq_u32_e64 s0, 1, v7
	s_waitcnt lgkmcnt(2)
	v_and_b32_e32 v6, 1, v6
	s_waitcnt lgkmcnt(0)
	v_cmp_lt_i64_e32 vcc_lo, v[1:2], v[3:4]
	v_cmp_eq_u32_e64 s1, 1, v6
	v_mov_b32_e32 v6, 0
	s_and_b32 vcc_lo, s0, vcc_lo
	v_cndmask_b32_e64 v5, v5, 1, s1
	v_cndmask_b32_e32 v3, v3, v1, vcc_lo
	v_cndmask_b32_e32 v4, v4, v2, vcc_lo
	s_mov_b32 s0, exec_lo
	ds_bpermute_b32 v7, v6, v5 offset:124
	v_cndmask_b32_e64 v1, v1, v3, s1
	v_cndmask_b32_e64 v2, v2, v4, s1
	ds_bpermute_b32 v1, v6, v1 offset:124
	ds_bpermute_b32 v2, v6, v2 offset:124
	v_cmpx_eq_u32_e32 0, v8
	s_cbranch_execz .LBB278_340
; %bb.339:
	v_lshrrev_b32_e32 v3, 1, v0
	v_and_b32_e32 v3, 0x70, v3
	s_waitcnt lgkmcnt(2)
	ds_write_b8 v3, v7
	s_waitcnt lgkmcnt(1)
	ds_write_b64 v3, v[1:2] offset:8
.LBB278_340:
	s_or_b32 exec_lo, exec_lo, s0
	s_mov_b32 s0, exec_lo
	s_waitcnt lgkmcnt(0)
	s_barrier
	buffer_gl0_inv
	v_cmpx_gt_u32_e32 32, v0
	s_cbranch_execz .LBB278_354
; %bb.341:
	v_and_b32_e32 v7, 7, v8
	v_lshlrev_b32_e32 v1, 4, v7
	v_cmp_ne_u32_e32 vcc_lo, 7, v7
	ds_read_u8 v10, v1
	ds_read_b64 v[3:4], v1 offset:8
	v_add_co_ci_u32_e64 v2, null, 0, v8, vcc_lo
	v_lshlrev_b32_e32 v2, 2, v2
	s_waitcnt lgkmcnt(1)
	v_and_b32_e32 v1, 0xff, v10
	s_waitcnt lgkmcnt(0)
	ds_bpermute_b32 v5, v2, v3
	ds_bpermute_b32 v6, v2, v4
	;; [unrolled: 1-line block ×3, first 2 shown]
	s_waitcnt lgkmcnt(0)
	v_and_b32_e32 v1, v10, v11
	v_and_b32_e32 v1, 1, v1
	v_cmp_eq_u32_e32 vcc_lo, 1, v1
                                        ; implicit-def: $vgpr1_vgpr2
	s_and_saveexec_b32 s1, vcc_lo
	s_xor_b32 s1, exec_lo, s1
; %bb.342:
	v_cmp_lt_i64_e32 vcc_lo, v[5:6], v[3:4]
                                        ; implicit-def: $vgpr10
                                        ; implicit-def: $vgpr11
	v_cndmask_b32_e32 v2, v4, v6, vcc_lo
	v_cndmask_b32_e32 v1, v3, v5, vcc_lo
                                        ; implicit-def: $vgpr5_vgpr6
                                        ; implicit-def: $vgpr3_vgpr4
; %bb.343:
	s_or_saveexec_b32 s1, s1
	v_mov_b32_e32 v9, 1
	s_xor_b32 exec_lo, exec_lo, s1
; %bb.344:
	v_and_b32_e32 v1, 1, v10
	v_and_b32_e32 v9, 0xff, v11
	v_cmp_eq_u32_e32 vcc_lo, 1, v1
	v_cndmask_b32_e32 v2, v6, v4, vcc_lo
	v_cndmask_b32_e32 v1, v5, v3, vcc_lo
	v_cndmask_b32_e64 v9, v9, 1, vcc_lo
; %bb.345:
	s_or_b32 exec_lo, exec_lo, s1
	v_cmp_gt_u32_e32 vcc_lo, 6, v7
	v_cndmask_b32_e64 v3, 0, 2, vcc_lo
	v_add_lshl_u32 v3, v3, v8, 2
	ds_bpermute_b32 v7, v3, v9
	ds_bpermute_b32 v5, v3, v1
	;; [unrolled: 1-line block ×3, first 2 shown]
	s_waitcnt lgkmcnt(2)
	v_and_b32_e32 v3, v9, v7
	v_and_b32_e32 v3, 1, v3
	v_cmp_eq_u32_e32 vcc_lo, 1, v3
                                        ; implicit-def: $vgpr3_vgpr4
	s_and_saveexec_b32 s1, vcc_lo
	s_xor_b32 s1, exec_lo, s1
	s_cbranch_execz .LBB278_347
; %bb.346:
	s_waitcnt lgkmcnt(0)
	v_cmp_lt_i64_e32 vcc_lo, v[5:6], v[1:2]
                                        ; implicit-def: $vgpr9
                                        ; implicit-def: $vgpr7
	v_cndmask_b32_e32 v4, v2, v6, vcc_lo
	v_cndmask_b32_e32 v3, v1, v5, vcc_lo
                                        ; implicit-def: $vgpr5_vgpr6
                                        ; implicit-def: $vgpr1_vgpr2
.LBB278_347:
	s_or_saveexec_b32 s1, s1
	v_lshlrev_b32_e32 v10, 2, v8
	v_mov_b32_e32 v8, 1
	s_xor_b32 exec_lo, exec_lo, s1
	s_cbranch_execz .LBB278_349
; %bb.348:
	v_and_b32_e32 v3, 1, v9
	v_and_b32_e32 v7, 0xff, v7
	v_cmp_eq_u32_e32 vcc_lo, 1, v3
	s_waitcnt lgkmcnt(0)
	v_cndmask_b32_e32 v4, v6, v2, vcc_lo
	v_cndmask_b32_e32 v3, v5, v1, vcc_lo
	v_cndmask_b32_e64 v8, v7, 1, vcc_lo
.LBB278_349:
	s_or_b32 exec_lo, exec_lo, s1
	v_or_b32_e32 v1, 16, v10
	ds_bpermute_b32 v9, v1, v8
	s_waitcnt lgkmcnt(2)
	ds_bpermute_b32 v5, v1, v3
	s_waitcnt lgkmcnt(2)
	;; [unrolled: 2-line block ×3, first 2 shown]
	v_and_b32_e32 v1, v8, v9
	v_and_b32_e32 v1, 1, v1
	v_cmp_eq_u32_e32 vcc_lo, 1, v1
                                        ; implicit-def: $vgpr1_vgpr2
	s_and_saveexec_b32 s1, vcc_lo
	s_xor_b32 s1, exec_lo, s1
	s_cbranch_execz .LBB278_351
; %bb.350:
	s_waitcnt lgkmcnt(0)
	v_cmp_lt_i64_e32 vcc_lo, v[5:6], v[3:4]
                                        ; implicit-def: $vgpr8
                                        ; implicit-def: $vgpr9
	v_cndmask_b32_e32 v2, v4, v6, vcc_lo
	v_cndmask_b32_e32 v1, v3, v5, vcc_lo
                                        ; implicit-def: $vgpr5_vgpr6
                                        ; implicit-def: $vgpr3_vgpr4
.LBB278_351:
	s_or_saveexec_b32 s1, s1
	v_mov_b32_e32 v7, 1
	s_xor_b32 exec_lo, exec_lo, s1
	s_cbranch_execz .LBB278_353
; %bb.352:
	v_and_b32_e32 v1, 1, v8
	v_cmp_eq_u32_e32 vcc_lo, 1, v1
	s_waitcnt lgkmcnt(0)
	v_cndmask_b32_e32 v2, v6, v4, vcc_lo
	v_cndmask_b32_e32 v1, v5, v3, vcc_lo
	v_cndmask_b32_e64 v7, v9, 1, vcc_lo
.LBB278_353:
	s_or_b32 exec_lo, exec_lo, s1
.LBB278_354:
	s_or_b32 exec_lo, exec_lo, s0
	s_branch .LBB278_415
.LBB278_355:
                                        ; implicit-def: $vgpr3_vgpr4
                                        ; implicit-def: $vgpr5
                                        ; implicit-def: $vgpr1_vgpr2
.LBB278_356:
	s_and_saveexec_b32 s0, s22
	s_cbranch_execz .LBB278_358
.LBB278_357:
	s_load_dwordx2 s[0:1], s[4:5], 0x38
	v_lshlrev_b64 v[0:1], 4, v[1:2]
	s_waitcnt lgkmcnt(0)
	v_add_co_u32 v0, vcc_lo, s0, v0
	v_add_co_ci_u32_e64 v1, null, s1, v1, vcc_lo
	global_store_byte v[0:1], v5, off
	global_store_dwordx2 v[0:1], v[3:4], off offset:8
.LBB278_358:
	s_endpgm
.LBB278_359:
                                        ; implicit-def: $vgpr1_vgpr2
                                        ; implicit-def: $vgpr7
	s_cbranch_execz .LBB278_415
; %bb.360:
	v_mov_b32_e32 v1, 0
	v_mov_b32_e32 v2, 0
	;; [unrolled: 1-line block ×3, first 2 shown]
	s_sub_i32 s0, s14, s2
	s_mov_b32 s1, exec_lo
	v_cmpx_gt_u32_e64 s0, v0
	s_cbranch_execz .LBB278_362
; %bb.361:
	s_lshl_b64 s[8:9], s[2:3], 2
	v_lshlrev_b32_e32 v1, 2, v0
	s_add_u32 s10, s18, s8
	s_addc_u32 s11, s19, s9
	s_add_u32 s8, s16, s8
	s_addc_u32 s9, s17, s9
	s_add_u32 s2, s12, s2
	s_waitcnt lgkmcnt(1)
	global_load_dword v3, v1, s[8:9]
	s_waitcnt lgkmcnt(0)
	global_load_dword v4, v1, s[10:11]
	s_addc_u32 s3, s13, 0
	v_add_co_u32 v1, s2, s2, v0
	v_add_co_ci_u32_e64 v2, null, s3, 0, s2
	s_waitcnt vmcnt(0)
	v_cmp_ne_u32_e32 vcc_lo, v3, v4
	v_cndmask_b32_e64 v8, 0, 1, vcc_lo
.LBB278_362:
	s_or_b32 exec_lo, exec_lo, s1
	s_waitcnt lgkmcnt(1)
	v_mbcnt_lo_u32_b32 v5, -1, 0
	v_and_b32_e32 v7, 0xffff, v8
	s_waitcnt lgkmcnt(0)
	v_and_b32_e32 v6, 0xe0, v0
	s_min_u32 s0, s0, 0x100
	s_mov_b32 s1, exec_lo
	v_cmp_ne_u32_e32 vcc_lo, 31, v5
	v_add_nc_u32_e32 v10, 1, v5
	v_sub_nc_u32_e64 v6, s0, v6 clamp
	v_add_co_ci_u32_e64 v3, null, 0, v5, vcc_lo
	v_lshlrev_b32_e32 v4, 2, v3
	ds_bpermute_b32 v9, v4, v7
	ds_bpermute_b32 v3, v4, v1
	;; [unrolled: 1-line block ×3, first 2 shown]
	v_cmpx_lt_u32_e64 v10, v6
	s_cbranch_execz .LBB278_368
; %bb.363:
	s_waitcnt lgkmcnt(2)
	v_and_b32_e32 v7, v9, v7
	s_mov_b32 s2, exec_lo
	v_and_b32_e32 v7, 1, v7
	v_cmpx_eq_u32_e32 1, v7
	s_xor_b32 s2, exec_lo, s2
	s_cbranch_execz .LBB278_365
; %bb.364:
	s_waitcnt lgkmcnt(0)
	v_cmp_lt_i64_e32 vcc_lo, v[3:4], v[1:2]
                                        ; implicit-def: $vgpr8
                                        ; implicit-def: $vgpr9
	v_cndmask_b32_e32 v2, v2, v4, vcc_lo
	v_cndmask_b32_e32 v1, v1, v3, vcc_lo
                                        ; implicit-def: $vgpr3_vgpr4
.LBB278_365:
	s_or_saveexec_b32 s2, s2
	v_mov_b32_e32 v7, 1
	s_xor_b32 exec_lo, exec_lo, s2
	s_cbranch_execz .LBB278_367
; %bb.366:
	v_and_b32_e32 v7, 1, v8
	v_cmp_eq_u32_e32 vcc_lo, 1, v7
	v_and_b32_e32 v7, 0xff, v9
	s_waitcnt lgkmcnt(0)
	v_cndmask_b32_e32 v2, v4, v2, vcc_lo
	v_cndmask_b32_e32 v1, v3, v1, vcc_lo
	v_cndmask_b32_e64 v7, v7, 1, vcc_lo
.LBB278_367:
	s_or_b32 exec_lo, exec_lo, s2
.LBB278_368:
	s_or_b32 exec_lo, exec_lo, s1
	v_cmp_gt_u32_e32 vcc_lo, 30, v5
	s_waitcnt lgkmcnt(2)
	v_add_nc_u32_e32 v9, 2, v5
	s_mov_b32 s1, exec_lo
	s_waitcnt lgkmcnt(1)
	v_cndmask_b32_e64 v3, 0, 2, vcc_lo
	s_waitcnt lgkmcnt(0)
	v_add_lshl_u32 v4, v3, v5, 2
	ds_bpermute_b32 v8, v4, v7
	ds_bpermute_b32 v3, v4, v1
	;; [unrolled: 1-line block ×3, first 2 shown]
	v_cmpx_lt_u32_e64 v9, v6
	s_cbranch_execz .LBB278_374
; %bb.369:
	s_waitcnt lgkmcnt(2)
	v_and_b32_e32 v9, v7, v8
	s_mov_b32 s2, exec_lo
	v_and_b32_e32 v9, 1, v9
	v_cmpx_eq_u32_e32 1, v9
	s_xor_b32 s2, exec_lo, s2
	s_cbranch_execz .LBB278_371
; %bb.370:
	s_waitcnt lgkmcnt(0)
	v_cmp_lt_i64_e32 vcc_lo, v[3:4], v[1:2]
                                        ; implicit-def: $vgpr7
                                        ; implicit-def: $vgpr8
	v_cndmask_b32_e32 v2, v2, v4, vcc_lo
	v_cndmask_b32_e32 v1, v1, v3, vcc_lo
                                        ; implicit-def: $vgpr3_vgpr4
.LBB278_371:
	s_or_saveexec_b32 s2, s2
	v_mov_b32_e32 v9, 1
	s_xor_b32 exec_lo, exec_lo, s2
	s_cbranch_execz .LBB278_373
; %bb.372:
	v_and_b32_e32 v7, 1, v7
	v_cmp_eq_u32_e32 vcc_lo, 1, v7
	v_and_b32_e32 v7, 0xff, v8
	s_waitcnt lgkmcnt(0)
	v_cndmask_b32_e32 v2, v4, v2, vcc_lo
	v_cndmask_b32_e32 v1, v3, v1, vcc_lo
	v_cndmask_b32_e64 v9, v7, 1, vcc_lo
.LBB278_373:
	s_or_b32 exec_lo, exec_lo, s2
	v_mov_b32_e32 v7, v9
.LBB278_374:
	s_or_b32 exec_lo, exec_lo, s1
	v_cmp_gt_u32_e32 vcc_lo, 28, v5
	v_add_nc_u32_e32 v9, 4, v5
	s_mov_b32 s1, exec_lo
	s_waitcnt lgkmcnt(1)
	v_cndmask_b32_e64 v3, 0, 4, vcc_lo
	s_waitcnt lgkmcnt(0)
	v_add_lshl_u32 v4, v3, v5, 2
	ds_bpermute_b32 v8, v4, v7
	ds_bpermute_b32 v3, v4, v1
	;; [unrolled: 1-line block ×3, first 2 shown]
	v_cmpx_lt_u32_e64 v9, v6
	s_cbranch_execz .LBB278_380
; %bb.375:
	s_waitcnt lgkmcnt(2)
	v_and_b32_e32 v9, v7, v8
	s_mov_b32 s2, exec_lo
	v_and_b32_e32 v9, 1, v9
	v_cmpx_eq_u32_e32 1, v9
	s_xor_b32 s2, exec_lo, s2
	s_cbranch_execz .LBB278_377
; %bb.376:
	s_waitcnt lgkmcnt(0)
	v_cmp_lt_i64_e32 vcc_lo, v[3:4], v[1:2]
                                        ; implicit-def: $vgpr7
                                        ; implicit-def: $vgpr8
	v_cndmask_b32_e32 v2, v2, v4, vcc_lo
	v_cndmask_b32_e32 v1, v1, v3, vcc_lo
                                        ; implicit-def: $vgpr3_vgpr4
.LBB278_377:
	s_or_saveexec_b32 s2, s2
	v_mov_b32_e32 v9, 1
	s_xor_b32 exec_lo, exec_lo, s2
	s_cbranch_execz .LBB278_379
; %bb.378:
	v_and_b32_e32 v7, 1, v7
	v_cmp_eq_u32_e32 vcc_lo, 1, v7
	v_and_b32_e32 v7, 0xff, v8
	s_waitcnt lgkmcnt(0)
	v_cndmask_b32_e32 v2, v4, v2, vcc_lo
	v_cndmask_b32_e32 v1, v3, v1, vcc_lo
	v_cndmask_b32_e64 v9, v7, 1, vcc_lo
.LBB278_379:
	s_or_b32 exec_lo, exec_lo, s2
	v_mov_b32_e32 v7, v9
.LBB278_380:
	s_or_b32 exec_lo, exec_lo, s1
	v_cmp_gt_u32_e32 vcc_lo, 24, v5
	v_add_nc_u32_e32 v9, 8, v5
	s_mov_b32 s1, exec_lo
	s_waitcnt lgkmcnt(1)
	v_cndmask_b32_e64 v3, 0, 8, vcc_lo
	s_waitcnt lgkmcnt(0)
	v_add_lshl_u32 v4, v3, v5, 2
	ds_bpermute_b32 v8, v4, v7
	ds_bpermute_b32 v3, v4, v1
	;; [unrolled: 1-line block ×3, first 2 shown]
	v_cmpx_lt_u32_e64 v9, v6
	s_cbranch_execz .LBB278_386
; %bb.381:
	s_waitcnt lgkmcnt(2)
	v_and_b32_e32 v9, v7, v8
	s_mov_b32 s2, exec_lo
	v_and_b32_e32 v9, 1, v9
	v_cmpx_eq_u32_e32 1, v9
	s_xor_b32 s2, exec_lo, s2
	s_cbranch_execz .LBB278_383
; %bb.382:
	s_waitcnt lgkmcnt(0)
	v_cmp_lt_i64_e32 vcc_lo, v[3:4], v[1:2]
                                        ; implicit-def: $vgpr7
                                        ; implicit-def: $vgpr8
	v_cndmask_b32_e32 v2, v2, v4, vcc_lo
	v_cndmask_b32_e32 v1, v1, v3, vcc_lo
                                        ; implicit-def: $vgpr3_vgpr4
.LBB278_383:
	s_or_saveexec_b32 s2, s2
	v_mov_b32_e32 v9, 1
	s_xor_b32 exec_lo, exec_lo, s2
	s_cbranch_execz .LBB278_385
; %bb.384:
	v_and_b32_e32 v7, 1, v7
	v_cmp_eq_u32_e32 vcc_lo, 1, v7
	v_and_b32_e32 v7, 0xff, v8
	s_waitcnt lgkmcnt(0)
	v_cndmask_b32_e32 v2, v4, v2, vcc_lo
	v_cndmask_b32_e32 v1, v3, v1, vcc_lo
	v_cndmask_b32_e64 v9, v7, 1, vcc_lo
.LBB278_385:
	s_or_b32 exec_lo, exec_lo, s2
	v_mov_b32_e32 v7, v9
.LBB278_386:
	s_or_b32 exec_lo, exec_lo, s1
	s_waitcnt lgkmcnt(2)
	v_lshlrev_b32_e32 v8, 2, v5
	v_add_nc_u32_e32 v10, 16, v5
	s_waitcnt lgkmcnt(0)
	v_or_b32_e32 v4, 64, v8
	v_cmp_lt_u32_e32 vcc_lo, v10, v6
	v_mov_b32_e32 v6, v7
	ds_bpermute_b32 v9, v4, v7
	ds_bpermute_b32 v3, v4, v1
	;; [unrolled: 1-line block ×3, first 2 shown]
	s_and_saveexec_b32 s1, vcc_lo
	s_cbranch_execz .LBB278_392
; %bb.387:
	s_waitcnt lgkmcnt(2)
	v_and_b32_e32 v6, v7, v9
	s_mov_b32 s2, exec_lo
	v_and_b32_e32 v6, 1, v6
	v_cmpx_eq_u32_e32 1, v6
	s_xor_b32 s2, exec_lo, s2
	s_cbranch_execz .LBB278_389
; %bb.388:
	s_waitcnt lgkmcnt(0)
	v_cmp_lt_i64_e32 vcc_lo, v[3:4], v[1:2]
                                        ; implicit-def: $vgpr7
                                        ; implicit-def: $vgpr9
	v_cndmask_b32_e32 v2, v2, v4, vcc_lo
	v_cndmask_b32_e32 v1, v1, v3, vcc_lo
                                        ; implicit-def: $vgpr3_vgpr4
.LBB278_389:
	s_or_saveexec_b32 s2, s2
	v_mov_b32_e32 v6, 1
	s_xor_b32 exec_lo, exec_lo, s2
	s_cbranch_execz .LBB278_391
; %bb.390:
	v_and_b32_e32 v6, 1, v7
	v_cmp_eq_u32_e32 vcc_lo, 1, v6
	v_cndmask_b32_e64 v6, v9, 1, vcc_lo
	s_waitcnt lgkmcnt(0)
	v_cndmask_b32_e32 v2, v4, v2, vcc_lo
	v_cndmask_b32_e32 v1, v3, v1, vcc_lo
.LBB278_391:
	s_or_b32 exec_lo, exec_lo, s2
	v_and_b32_e32 v7, 0xff, v6
.LBB278_392:
	s_or_b32 exec_lo, exec_lo, s1
	s_mov_b32 s1, exec_lo
	v_cmpx_eq_u32_e32 0, v5
	s_cbranch_execz .LBB278_394
; %bb.393:
	s_waitcnt lgkmcnt(1)
	v_lshrrev_b32_e32 v3, 1, v0
	v_and_b32_e32 v3, 0x70, v3
	ds_write_b8 v3, v6 offset:512
	ds_write_b64 v3, v[1:2] offset:520
.LBB278_394:
	s_or_b32 exec_lo, exec_lo, s1
	s_mov_b32 s1, exec_lo
	s_waitcnt lgkmcnt(0)
	s_barrier
	buffer_gl0_inv
	v_cmpx_gt_u32_e32 8, v0
	s_cbranch_execz .LBB278_414
; %bb.395:
	v_lshlrev_b32_e32 v1, 4, v5
	v_and_b32_e32 v6, 7, v5
	s_add_i32 s0, s0, 31
	s_mov_b32 s2, exec_lo
	s_lshr_b32 s0, s0, 5
	ds_read_u8 v9, v1 offset:512
	ds_read_b64 v[1:2], v1 offset:520
	v_cmp_ne_u32_e32 vcc_lo, 7, v6
	v_add_nc_u32_e32 v11, 1, v6
	v_add_co_ci_u32_e64 v3, null, 0, v5, vcc_lo
	v_lshlrev_b32_e32 v4, 2, v3
	s_waitcnt lgkmcnt(1)
	v_and_b32_e32 v7, 0xff, v9
	s_waitcnt lgkmcnt(0)
	ds_bpermute_b32 v3, v4, v1
	ds_bpermute_b32 v10, v4, v7
	;; [unrolled: 1-line block ×3, first 2 shown]
	v_cmpx_gt_u32_e64 s0, v11
	s_cbranch_execz .LBB278_401
; %bb.396:
	s_waitcnt lgkmcnt(1)
	v_and_b32_e32 v7, v7, v10
	s_mov_b32 s3, exec_lo
	v_and_b32_e32 v7, 1, v7
	v_cmpx_eq_u32_e32 1, v7
	s_xor_b32 s3, exec_lo, s3
	s_cbranch_execz .LBB278_398
; %bb.397:
	s_waitcnt lgkmcnt(0)
	v_cmp_lt_i64_e32 vcc_lo, v[3:4], v[1:2]
                                        ; implicit-def: $vgpr9
                                        ; implicit-def: $vgpr10
	v_cndmask_b32_e32 v2, v2, v4, vcc_lo
	v_cndmask_b32_e32 v1, v1, v3, vcc_lo
                                        ; implicit-def: $vgpr3_vgpr4
.LBB278_398:
	s_or_saveexec_b32 s3, s3
	v_mov_b32_e32 v7, 1
	s_xor_b32 exec_lo, exec_lo, s3
	s_cbranch_execz .LBB278_400
; %bb.399:
	v_and_b32_e32 v7, 1, v9
	v_cmp_eq_u32_e32 vcc_lo, 1, v7
	v_and_b32_e32 v7, 0xff, v10
	s_waitcnt lgkmcnt(0)
	v_cndmask_b32_e32 v2, v4, v2, vcc_lo
	v_cndmask_b32_e32 v1, v3, v1, vcc_lo
	v_cndmask_b32_e64 v7, v7, 1, vcc_lo
.LBB278_400:
	s_or_b32 exec_lo, exec_lo, s3
.LBB278_401:
	s_or_b32 exec_lo, exec_lo, s2
	v_cmp_gt_u32_e32 vcc_lo, 6, v6
	v_add_nc_u32_e32 v9, 2, v6
	s_mov_b32 s2, exec_lo
	s_waitcnt lgkmcnt(2)
	v_cndmask_b32_e64 v3, 0, 2, vcc_lo
	s_waitcnt lgkmcnt(0)
	v_add_lshl_u32 v4, v3, v5, 2
	ds_bpermute_b32 v5, v4, v7
	ds_bpermute_b32 v3, v4, v1
	;; [unrolled: 1-line block ×3, first 2 shown]
	v_cmpx_gt_u32_e64 s0, v9
	s_cbranch_execz .LBB278_407
; %bb.402:
	s_waitcnt lgkmcnt(2)
	v_and_b32_e32 v9, v7, v5
	s_mov_b32 s3, exec_lo
	v_and_b32_e32 v9, 1, v9
	v_cmpx_eq_u32_e32 1, v9
	s_xor_b32 s3, exec_lo, s3
	s_cbranch_execz .LBB278_404
; %bb.403:
	s_waitcnt lgkmcnt(0)
	v_cmp_lt_i64_e32 vcc_lo, v[3:4], v[1:2]
                                        ; implicit-def: $vgpr7
                                        ; implicit-def: $vgpr5
	v_cndmask_b32_e32 v2, v2, v4, vcc_lo
	v_cndmask_b32_e32 v1, v1, v3, vcc_lo
                                        ; implicit-def: $vgpr3_vgpr4
.LBB278_404:
	s_or_saveexec_b32 s3, s3
	v_mov_b32_e32 v9, 1
	s_xor_b32 exec_lo, exec_lo, s3
	s_cbranch_execz .LBB278_406
; %bb.405:
	v_and_b32_e32 v7, 1, v7
	v_and_b32_e32 v5, 0xff, v5
	v_cmp_eq_u32_e32 vcc_lo, 1, v7
	s_waitcnt lgkmcnt(0)
	v_cndmask_b32_e32 v2, v4, v2, vcc_lo
	v_cndmask_b32_e32 v1, v3, v1, vcc_lo
	v_cndmask_b32_e64 v9, v5, 1, vcc_lo
.LBB278_406:
	s_or_b32 exec_lo, exec_lo, s3
	v_mov_b32_e32 v7, v9
.LBB278_407:
	s_or_b32 exec_lo, exec_lo, s2
	s_waitcnt lgkmcnt(0)
	v_or_b32_e32 v4, 16, v8
	v_add_nc_u32_e32 v6, 4, v6
	ds_bpermute_b32 v5, v4, v7
	ds_bpermute_b32 v3, v4, v1
	ds_bpermute_b32 v4, v4, v2
	v_cmp_gt_u32_e32 vcc_lo, s0, v6
	s_and_saveexec_b32 s0, vcc_lo
	s_cbranch_execz .LBB278_413
; %bb.408:
	s_waitcnt lgkmcnt(2)
	v_and_b32_e32 v6, v7, v5
	s_mov_b32 s2, exec_lo
	v_and_b32_e32 v6, 1, v6
	v_cmpx_eq_u32_e32 1, v6
	s_xor_b32 s2, exec_lo, s2
	s_cbranch_execz .LBB278_410
; %bb.409:
	s_waitcnt lgkmcnt(0)
	v_cmp_lt_i64_e32 vcc_lo, v[3:4], v[1:2]
                                        ; implicit-def: $vgpr7
                                        ; implicit-def: $vgpr5
	v_cndmask_b32_e32 v2, v2, v4, vcc_lo
	v_cndmask_b32_e32 v1, v1, v3, vcc_lo
                                        ; implicit-def: $vgpr3_vgpr4
.LBB278_410:
	s_or_saveexec_b32 s2, s2
	v_mov_b32_e32 v6, 1
	s_xor_b32 exec_lo, exec_lo, s2
	s_cbranch_execz .LBB278_412
; %bb.411:
	v_and_b32_e32 v6, 1, v7
	v_cmp_eq_u32_e32 vcc_lo, 1, v6
	s_waitcnt lgkmcnt(0)
	v_cndmask_b32_e32 v2, v4, v2, vcc_lo
	v_cndmask_b32_e32 v1, v3, v1, vcc_lo
	v_cndmask_b32_e64 v6, v5, 1, vcc_lo
.LBB278_412:
	s_or_b32 exec_lo, exec_lo, s2
	v_mov_b32_e32 v7, v6
.LBB278_413:
	s_or_b32 exec_lo, exec_lo, s0
.LBB278_414:
	s_or_b32 exec_lo, exec_lo, s1
.LBB278_415:
	s_mov_b32 s2, exec_lo
                                        ; implicit-def: $vgpr3_vgpr4
                                        ; implicit-def: $vgpr5
	v_cmpx_eq_u32_e32 0, v0
	s_cbranch_execz .LBB278_419
; %bb.416:
	s_waitcnt lgkmcnt(0)
	v_mov_b32_e32 v3, s20
	v_mov_b32_e32 v4, s21
	;; [unrolled: 1-line block ×3, first 2 shown]
	s_cmp_eq_u64 s[14:15], 0
	s_cbranch_scc1 .LBB278_418
; %bb.417:
	v_and_b32_e32 v0, 1, v7
	v_cmp_gt_i64_e32 vcc_lo, s[20:21], v[1:2]
	s_bitcmp1_b32 s24, 0
	s_cselect_b32 s1, -1, 0
	v_cmp_eq_u32_e64 s0, 1, v0
	v_cndmask_b32_e64 v5, v7, 1, s1
	s_and_b32 vcc_lo, s0, vcc_lo
	v_cndmask_b32_e32 v0, s20, v1, vcc_lo
	v_cndmask_b32_e32 v3, s21, v2, vcc_lo
	v_cndmask_b32_e64 v4, v2, v3, s1
	v_cndmask_b32_e64 v3, v1, v0, s1
.LBB278_418:
	s_or_b32 s22, s22, exec_lo
.LBB278_419:
	s_or_b32 exec_lo, exec_lo, s2
	v_mov_b32_e32 v1, s6
	v_mov_b32_e32 v2, s7
	s_and_saveexec_b32 s0, s22
	s_cbranch_execnz .LBB278_357
	s_branch .LBB278_358
	.section	.rodata,"a",@progbits
	.p2align	6, 0x0
	.amdhsa_kernel _ZN7rocprim17ROCPRIM_400000_NS6detail17trampoline_kernelINS0_14default_configENS1_22reduce_config_selectorIN6thrust23THRUST_200600_302600_NS5tupleIblNS6_9null_typeES8_S8_S8_S8_S8_S8_S8_EEEEZNS1_11reduce_implILb1ES3_NS6_12zip_iteratorINS7_INS6_11hip_rocprim26transform_input_iterator_tIbNSD_35transform_pair_of_input_iterators_tIbNS6_6detail15normal_iteratorINS6_10device_ptrIKiEEEESL_NS6_8equal_toIiEEEENSG_9not_fun_tINSD_8identityEEEEENSD_19counting_iterator_tIlEES8_S8_S8_S8_S8_S8_S8_S8_EEEEPS9_S9_NSD_9__find_if7functorIS9_EEEE10hipError_tPvRmT1_T2_T3_mT4_P12ihipStream_tbEUlT_E1_NS1_11comp_targetILNS1_3genE8ELNS1_11target_archE1030ELNS1_3gpuE2ELNS1_3repE0EEENS1_30default_config_static_selectorELNS0_4arch9wavefront6targetE0EEEvS14_
		.amdhsa_group_segment_fixed_size 640
		.amdhsa_private_segment_fixed_size 0
		.amdhsa_kernarg_size 88
		.amdhsa_user_sgpr_count 6
		.amdhsa_user_sgpr_private_segment_buffer 1
		.amdhsa_user_sgpr_dispatch_ptr 0
		.amdhsa_user_sgpr_queue_ptr 0
		.amdhsa_user_sgpr_kernarg_segment_ptr 1
		.amdhsa_user_sgpr_dispatch_id 0
		.amdhsa_user_sgpr_flat_scratch_init 0
		.amdhsa_user_sgpr_private_segment_size 0
		.amdhsa_wavefront_size32 1
		.amdhsa_uses_dynamic_stack 0
		.amdhsa_system_sgpr_private_segment_wavefront_offset 0
		.amdhsa_system_sgpr_workgroup_id_x 1
		.amdhsa_system_sgpr_workgroup_id_y 0
		.amdhsa_system_sgpr_workgroup_id_z 0
		.amdhsa_system_sgpr_workgroup_info 0
		.amdhsa_system_vgpr_workitem_id 0
		.amdhsa_next_free_vgpr 27
		.amdhsa_next_free_sgpr 32
		.amdhsa_reserve_vcc 1
		.amdhsa_reserve_flat_scratch 0
		.amdhsa_float_round_mode_32 0
		.amdhsa_float_round_mode_16_64 0
		.amdhsa_float_denorm_mode_32 3
		.amdhsa_float_denorm_mode_16_64 3
		.amdhsa_dx10_clamp 1
		.amdhsa_ieee_mode 1
		.amdhsa_fp16_overflow 0
		.amdhsa_workgroup_processor_mode 1
		.amdhsa_memory_ordered 1
		.amdhsa_forward_progress 1
		.amdhsa_shared_vgpr_count 0
		.amdhsa_exception_fp_ieee_invalid_op 0
		.amdhsa_exception_fp_denorm_src 0
		.amdhsa_exception_fp_ieee_div_zero 0
		.amdhsa_exception_fp_ieee_overflow 0
		.amdhsa_exception_fp_ieee_underflow 0
		.amdhsa_exception_fp_ieee_inexact 0
		.amdhsa_exception_int_div_zero 0
	.end_amdhsa_kernel
	.section	.text._ZN7rocprim17ROCPRIM_400000_NS6detail17trampoline_kernelINS0_14default_configENS1_22reduce_config_selectorIN6thrust23THRUST_200600_302600_NS5tupleIblNS6_9null_typeES8_S8_S8_S8_S8_S8_S8_EEEEZNS1_11reduce_implILb1ES3_NS6_12zip_iteratorINS7_INS6_11hip_rocprim26transform_input_iterator_tIbNSD_35transform_pair_of_input_iterators_tIbNS6_6detail15normal_iteratorINS6_10device_ptrIKiEEEESL_NS6_8equal_toIiEEEENSG_9not_fun_tINSD_8identityEEEEENSD_19counting_iterator_tIlEES8_S8_S8_S8_S8_S8_S8_S8_EEEEPS9_S9_NSD_9__find_if7functorIS9_EEEE10hipError_tPvRmT1_T2_T3_mT4_P12ihipStream_tbEUlT_E1_NS1_11comp_targetILNS1_3genE8ELNS1_11target_archE1030ELNS1_3gpuE2ELNS1_3repE0EEENS1_30default_config_static_selectorELNS0_4arch9wavefront6targetE0EEEvS14_,"axG",@progbits,_ZN7rocprim17ROCPRIM_400000_NS6detail17trampoline_kernelINS0_14default_configENS1_22reduce_config_selectorIN6thrust23THRUST_200600_302600_NS5tupleIblNS6_9null_typeES8_S8_S8_S8_S8_S8_S8_EEEEZNS1_11reduce_implILb1ES3_NS6_12zip_iteratorINS7_INS6_11hip_rocprim26transform_input_iterator_tIbNSD_35transform_pair_of_input_iterators_tIbNS6_6detail15normal_iteratorINS6_10device_ptrIKiEEEESL_NS6_8equal_toIiEEEENSG_9not_fun_tINSD_8identityEEEEENSD_19counting_iterator_tIlEES8_S8_S8_S8_S8_S8_S8_S8_EEEEPS9_S9_NSD_9__find_if7functorIS9_EEEE10hipError_tPvRmT1_T2_T3_mT4_P12ihipStream_tbEUlT_E1_NS1_11comp_targetILNS1_3genE8ELNS1_11target_archE1030ELNS1_3gpuE2ELNS1_3repE0EEENS1_30default_config_static_selectorELNS0_4arch9wavefront6targetE0EEEvS14_,comdat
.Lfunc_end278:
	.size	_ZN7rocprim17ROCPRIM_400000_NS6detail17trampoline_kernelINS0_14default_configENS1_22reduce_config_selectorIN6thrust23THRUST_200600_302600_NS5tupleIblNS6_9null_typeES8_S8_S8_S8_S8_S8_S8_EEEEZNS1_11reduce_implILb1ES3_NS6_12zip_iteratorINS7_INS6_11hip_rocprim26transform_input_iterator_tIbNSD_35transform_pair_of_input_iterators_tIbNS6_6detail15normal_iteratorINS6_10device_ptrIKiEEEESL_NS6_8equal_toIiEEEENSG_9not_fun_tINSD_8identityEEEEENSD_19counting_iterator_tIlEES8_S8_S8_S8_S8_S8_S8_S8_EEEEPS9_S9_NSD_9__find_if7functorIS9_EEEE10hipError_tPvRmT1_T2_T3_mT4_P12ihipStream_tbEUlT_E1_NS1_11comp_targetILNS1_3genE8ELNS1_11target_archE1030ELNS1_3gpuE2ELNS1_3repE0EEENS1_30default_config_static_selectorELNS0_4arch9wavefront6targetE0EEEvS14_, .Lfunc_end278-_ZN7rocprim17ROCPRIM_400000_NS6detail17trampoline_kernelINS0_14default_configENS1_22reduce_config_selectorIN6thrust23THRUST_200600_302600_NS5tupleIblNS6_9null_typeES8_S8_S8_S8_S8_S8_S8_EEEEZNS1_11reduce_implILb1ES3_NS6_12zip_iteratorINS7_INS6_11hip_rocprim26transform_input_iterator_tIbNSD_35transform_pair_of_input_iterators_tIbNS6_6detail15normal_iteratorINS6_10device_ptrIKiEEEESL_NS6_8equal_toIiEEEENSG_9not_fun_tINSD_8identityEEEEENSD_19counting_iterator_tIlEES8_S8_S8_S8_S8_S8_S8_S8_EEEEPS9_S9_NSD_9__find_if7functorIS9_EEEE10hipError_tPvRmT1_T2_T3_mT4_P12ihipStream_tbEUlT_E1_NS1_11comp_targetILNS1_3genE8ELNS1_11target_archE1030ELNS1_3gpuE2ELNS1_3repE0EEENS1_30default_config_static_selectorELNS0_4arch9wavefront6targetE0EEEvS14_
                                        ; -- End function
	.set _ZN7rocprim17ROCPRIM_400000_NS6detail17trampoline_kernelINS0_14default_configENS1_22reduce_config_selectorIN6thrust23THRUST_200600_302600_NS5tupleIblNS6_9null_typeES8_S8_S8_S8_S8_S8_S8_EEEEZNS1_11reduce_implILb1ES3_NS6_12zip_iteratorINS7_INS6_11hip_rocprim26transform_input_iterator_tIbNSD_35transform_pair_of_input_iterators_tIbNS6_6detail15normal_iteratorINS6_10device_ptrIKiEEEESL_NS6_8equal_toIiEEEENSG_9not_fun_tINSD_8identityEEEEENSD_19counting_iterator_tIlEES8_S8_S8_S8_S8_S8_S8_S8_EEEEPS9_S9_NSD_9__find_if7functorIS9_EEEE10hipError_tPvRmT1_T2_T3_mT4_P12ihipStream_tbEUlT_E1_NS1_11comp_targetILNS1_3genE8ELNS1_11target_archE1030ELNS1_3gpuE2ELNS1_3repE0EEENS1_30default_config_static_selectorELNS0_4arch9wavefront6targetE0EEEvS14_.num_vgpr, 27
	.set _ZN7rocprim17ROCPRIM_400000_NS6detail17trampoline_kernelINS0_14default_configENS1_22reduce_config_selectorIN6thrust23THRUST_200600_302600_NS5tupleIblNS6_9null_typeES8_S8_S8_S8_S8_S8_S8_EEEEZNS1_11reduce_implILb1ES3_NS6_12zip_iteratorINS7_INS6_11hip_rocprim26transform_input_iterator_tIbNSD_35transform_pair_of_input_iterators_tIbNS6_6detail15normal_iteratorINS6_10device_ptrIKiEEEESL_NS6_8equal_toIiEEEENSG_9not_fun_tINSD_8identityEEEEENSD_19counting_iterator_tIlEES8_S8_S8_S8_S8_S8_S8_S8_EEEEPS9_S9_NSD_9__find_if7functorIS9_EEEE10hipError_tPvRmT1_T2_T3_mT4_P12ihipStream_tbEUlT_E1_NS1_11comp_targetILNS1_3genE8ELNS1_11target_archE1030ELNS1_3gpuE2ELNS1_3repE0EEENS1_30default_config_static_selectorELNS0_4arch9wavefront6targetE0EEEvS14_.num_agpr, 0
	.set _ZN7rocprim17ROCPRIM_400000_NS6detail17trampoline_kernelINS0_14default_configENS1_22reduce_config_selectorIN6thrust23THRUST_200600_302600_NS5tupleIblNS6_9null_typeES8_S8_S8_S8_S8_S8_S8_EEEEZNS1_11reduce_implILb1ES3_NS6_12zip_iteratorINS7_INS6_11hip_rocprim26transform_input_iterator_tIbNSD_35transform_pair_of_input_iterators_tIbNS6_6detail15normal_iteratorINS6_10device_ptrIKiEEEESL_NS6_8equal_toIiEEEENSG_9not_fun_tINSD_8identityEEEEENSD_19counting_iterator_tIlEES8_S8_S8_S8_S8_S8_S8_S8_EEEEPS9_S9_NSD_9__find_if7functorIS9_EEEE10hipError_tPvRmT1_T2_T3_mT4_P12ihipStream_tbEUlT_E1_NS1_11comp_targetILNS1_3genE8ELNS1_11target_archE1030ELNS1_3gpuE2ELNS1_3repE0EEENS1_30default_config_static_selectorELNS0_4arch9wavefront6targetE0EEEvS14_.numbered_sgpr, 32
	.set _ZN7rocprim17ROCPRIM_400000_NS6detail17trampoline_kernelINS0_14default_configENS1_22reduce_config_selectorIN6thrust23THRUST_200600_302600_NS5tupleIblNS6_9null_typeES8_S8_S8_S8_S8_S8_S8_EEEEZNS1_11reduce_implILb1ES3_NS6_12zip_iteratorINS7_INS6_11hip_rocprim26transform_input_iterator_tIbNSD_35transform_pair_of_input_iterators_tIbNS6_6detail15normal_iteratorINS6_10device_ptrIKiEEEESL_NS6_8equal_toIiEEEENSG_9not_fun_tINSD_8identityEEEEENSD_19counting_iterator_tIlEES8_S8_S8_S8_S8_S8_S8_S8_EEEEPS9_S9_NSD_9__find_if7functorIS9_EEEE10hipError_tPvRmT1_T2_T3_mT4_P12ihipStream_tbEUlT_E1_NS1_11comp_targetILNS1_3genE8ELNS1_11target_archE1030ELNS1_3gpuE2ELNS1_3repE0EEENS1_30default_config_static_selectorELNS0_4arch9wavefront6targetE0EEEvS14_.num_named_barrier, 0
	.set _ZN7rocprim17ROCPRIM_400000_NS6detail17trampoline_kernelINS0_14default_configENS1_22reduce_config_selectorIN6thrust23THRUST_200600_302600_NS5tupleIblNS6_9null_typeES8_S8_S8_S8_S8_S8_S8_EEEEZNS1_11reduce_implILb1ES3_NS6_12zip_iteratorINS7_INS6_11hip_rocprim26transform_input_iterator_tIbNSD_35transform_pair_of_input_iterators_tIbNS6_6detail15normal_iteratorINS6_10device_ptrIKiEEEESL_NS6_8equal_toIiEEEENSG_9not_fun_tINSD_8identityEEEEENSD_19counting_iterator_tIlEES8_S8_S8_S8_S8_S8_S8_S8_EEEEPS9_S9_NSD_9__find_if7functorIS9_EEEE10hipError_tPvRmT1_T2_T3_mT4_P12ihipStream_tbEUlT_E1_NS1_11comp_targetILNS1_3genE8ELNS1_11target_archE1030ELNS1_3gpuE2ELNS1_3repE0EEENS1_30default_config_static_selectorELNS0_4arch9wavefront6targetE0EEEvS14_.private_seg_size, 0
	.set _ZN7rocprim17ROCPRIM_400000_NS6detail17trampoline_kernelINS0_14default_configENS1_22reduce_config_selectorIN6thrust23THRUST_200600_302600_NS5tupleIblNS6_9null_typeES8_S8_S8_S8_S8_S8_S8_EEEEZNS1_11reduce_implILb1ES3_NS6_12zip_iteratorINS7_INS6_11hip_rocprim26transform_input_iterator_tIbNSD_35transform_pair_of_input_iterators_tIbNS6_6detail15normal_iteratorINS6_10device_ptrIKiEEEESL_NS6_8equal_toIiEEEENSG_9not_fun_tINSD_8identityEEEEENSD_19counting_iterator_tIlEES8_S8_S8_S8_S8_S8_S8_S8_EEEEPS9_S9_NSD_9__find_if7functorIS9_EEEE10hipError_tPvRmT1_T2_T3_mT4_P12ihipStream_tbEUlT_E1_NS1_11comp_targetILNS1_3genE8ELNS1_11target_archE1030ELNS1_3gpuE2ELNS1_3repE0EEENS1_30default_config_static_selectorELNS0_4arch9wavefront6targetE0EEEvS14_.uses_vcc, 1
	.set _ZN7rocprim17ROCPRIM_400000_NS6detail17trampoline_kernelINS0_14default_configENS1_22reduce_config_selectorIN6thrust23THRUST_200600_302600_NS5tupleIblNS6_9null_typeES8_S8_S8_S8_S8_S8_S8_EEEEZNS1_11reduce_implILb1ES3_NS6_12zip_iteratorINS7_INS6_11hip_rocprim26transform_input_iterator_tIbNSD_35transform_pair_of_input_iterators_tIbNS6_6detail15normal_iteratorINS6_10device_ptrIKiEEEESL_NS6_8equal_toIiEEEENSG_9not_fun_tINSD_8identityEEEEENSD_19counting_iterator_tIlEES8_S8_S8_S8_S8_S8_S8_S8_EEEEPS9_S9_NSD_9__find_if7functorIS9_EEEE10hipError_tPvRmT1_T2_T3_mT4_P12ihipStream_tbEUlT_E1_NS1_11comp_targetILNS1_3genE8ELNS1_11target_archE1030ELNS1_3gpuE2ELNS1_3repE0EEENS1_30default_config_static_selectorELNS0_4arch9wavefront6targetE0EEEvS14_.uses_flat_scratch, 0
	.set _ZN7rocprim17ROCPRIM_400000_NS6detail17trampoline_kernelINS0_14default_configENS1_22reduce_config_selectorIN6thrust23THRUST_200600_302600_NS5tupleIblNS6_9null_typeES8_S8_S8_S8_S8_S8_S8_EEEEZNS1_11reduce_implILb1ES3_NS6_12zip_iteratorINS7_INS6_11hip_rocprim26transform_input_iterator_tIbNSD_35transform_pair_of_input_iterators_tIbNS6_6detail15normal_iteratorINS6_10device_ptrIKiEEEESL_NS6_8equal_toIiEEEENSG_9not_fun_tINSD_8identityEEEEENSD_19counting_iterator_tIlEES8_S8_S8_S8_S8_S8_S8_S8_EEEEPS9_S9_NSD_9__find_if7functorIS9_EEEE10hipError_tPvRmT1_T2_T3_mT4_P12ihipStream_tbEUlT_E1_NS1_11comp_targetILNS1_3genE8ELNS1_11target_archE1030ELNS1_3gpuE2ELNS1_3repE0EEENS1_30default_config_static_selectorELNS0_4arch9wavefront6targetE0EEEvS14_.has_dyn_sized_stack, 0
	.set _ZN7rocprim17ROCPRIM_400000_NS6detail17trampoline_kernelINS0_14default_configENS1_22reduce_config_selectorIN6thrust23THRUST_200600_302600_NS5tupleIblNS6_9null_typeES8_S8_S8_S8_S8_S8_S8_EEEEZNS1_11reduce_implILb1ES3_NS6_12zip_iteratorINS7_INS6_11hip_rocprim26transform_input_iterator_tIbNSD_35transform_pair_of_input_iterators_tIbNS6_6detail15normal_iteratorINS6_10device_ptrIKiEEEESL_NS6_8equal_toIiEEEENSG_9not_fun_tINSD_8identityEEEEENSD_19counting_iterator_tIlEES8_S8_S8_S8_S8_S8_S8_S8_EEEEPS9_S9_NSD_9__find_if7functorIS9_EEEE10hipError_tPvRmT1_T2_T3_mT4_P12ihipStream_tbEUlT_E1_NS1_11comp_targetILNS1_3genE8ELNS1_11target_archE1030ELNS1_3gpuE2ELNS1_3repE0EEENS1_30default_config_static_selectorELNS0_4arch9wavefront6targetE0EEEvS14_.has_recursion, 0
	.set _ZN7rocprim17ROCPRIM_400000_NS6detail17trampoline_kernelINS0_14default_configENS1_22reduce_config_selectorIN6thrust23THRUST_200600_302600_NS5tupleIblNS6_9null_typeES8_S8_S8_S8_S8_S8_S8_EEEEZNS1_11reduce_implILb1ES3_NS6_12zip_iteratorINS7_INS6_11hip_rocprim26transform_input_iterator_tIbNSD_35transform_pair_of_input_iterators_tIbNS6_6detail15normal_iteratorINS6_10device_ptrIKiEEEESL_NS6_8equal_toIiEEEENSG_9not_fun_tINSD_8identityEEEEENSD_19counting_iterator_tIlEES8_S8_S8_S8_S8_S8_S8_S8_EEEEPS9_S9_NSD_9__find_if7functorIS9_EEEE10hipError_tPvRmT1_T2_T3_mT4_P12ihipStream_tbEUlT_E1_NS1_11comp_targetILNS1_3genE8ELNS1_11target_archE1030ELNS1_3gpuE2ELNS1_3repE0EEENS1_30default_config_static_selectorELNS0_4arch9wavefront6targetE0EEEvS14_.has_indirect_call, 0
	.section	.AMDGPU.csdata,"",@progbits
; Kernel info:
; codeLenInByte = 14960
; TotalNumSgprs: 34
; NumVgprs: 27
; ScratchSize: 0
; MemoryBound: 0
; FloatMode: 240
; IeeeMode: 1
; LDSByteSize: 640 bytes/workgroup (compile time only)
; SGPRBlocks: 0
; VGPRBlocks: 3
; NumSGPRsForWavesPerEU: 34
; NumVGPRsForWavesPerEU: 27
; Occupancy: 16
; WaveLimiterHint : 0
; COMPUTE_PGM_RSRC2:SCRATCH_EN: 0
; COMPUTE_PGM_RSRC2:USER_SGPR: 6
; COMPUTE_PGM_RSRC2:TRAP_HANDLER: 0
; COMPUTE_PGM_RSRC2:TGID_X_EN: 1
; COMPUTE_PGM_RSRC2:TGID_Y_EN: 0
; COMPUTE_PGM_RSRC2:TGID_Z_EN: 0
; COMPUTE_PGM_RSRC2:TIDIG_COMP_CNT: 0
	.section	.text._ZN6thrust23THRUST_200600_302600_NS11hip_rocprim14__parallel_for6kernelILj256ENS1_20__uninitialized_fill7functorINS0_10device_ptrIsEEsEEmLj1EEEvT0_T1_SA_,"axG",@progbits,_ZN6thrust23THRUST_200600_302600_NS11hip_rocprim14__parallel_for6kernelILj256ENS1_20__uninitialized_fill7functorINS0_10device_ptrIsEEsEEmLj1EEEvT0_T1_SA_,comdat
	.protected	_ZN6thrust23THRUST_200600_302600_NS11hip_rocprim14__parallel_for6kernelILj256ENS1_20__uninitialized_fill7functorINS0_10device_ptrIsEEsEEmLj1EEEvT0_T1_SA_ ; -- Begin function _ZN6thrust23THRUST_200600_302600_NS11hip_rocprim14__parallel_for6kernelILj256ENS1_20__uninitialized_fill7functorINS0_10device_ptrIsEEsEEmLj1EEEvT0_T1_SA_
	.globl	_ZN6thrust23THRUST_200600_302600_NS11hip_rocprim14__parallel_for6kernelILj256ENS1_20__uninitialized_fill7functorINS0_10device_ptrIsEEsEEmLj1EEEvT0_T1_SA_
	.p2align	8
	.type	_ZN6thrust23THRUST_200600_302600_NS11hip_rocprim14__parallel_for6kernelILj256ENS1_20__uninitialized_fill7functorINS0_10device_ptrIsEEsEEmLj1EEEvT0_T1_SA_,@function
_ZN6thrust23THRUST_200600_302600_NS11hip_rocprim14__parallel_for6kernelILj256ENS1_20__uninitialized_fill7functorINS0_10device_ptrIsEEsEEmLj1EEEvT0_T1_SA_: ; @_ZN6thrust23THRUST_200600_302600_NS11hip_rocprim14__parallel_for6kernelILj256ENS1_20__uninitialized_fill7functorINS0_10device_ptrIsEEsEEmLj1EEEvT0_T1_SA_
; %bb.0:
	s_clause 0x2
	s_load_dwordx4 s[8:11], s[4:5], 0x10
	s_load_dwordx2 s[0:1], s[4:5], 0x0
	s_load_dword s7, s[4:5], 0x8
	s_lshl_b32 s2, s6, 8
	s_waitcnt lgkmcnt(0)
	s_add_u32 s2, s10, s2
	s_addc_u32 s3, s11, 0
	s_sub_u32 s4, s8, s2
	s_subb_u32 s5, s9, s3
	v_cmp_lt_u64_e64 s5, 0xff, s[4:5]
	s_and_b32 vcc_lo, exec_lo, s5
	s_mov_b32 s5, -1
	s_cbranch_vccz .LBB279_3
; %bb.1:
	s_andn2_b32 vcc_lo, exec_lo, s5
	s_cbranch_vccz .LBB279_6
.LBB279_2:
	s_endpgm
.LBB279_3:
	v_cmp_gt_u32_e32 vcc_lo, s4, v0
	s_and_saveexec_b32 s4, vcc_lo
	s_cbranch_execz .LBB279_5
; %bb.4:
	v_lshlrev_b32_e32 v1, 1, v0
	s_lshl_b64 s[8:9], s[2:3], 1
	v_mov_b32_e32 v3, s7
	s_add_u32 s5, s0, s8
	s_addc_u32 s6, s1, s9
	v_add_co_u32 v1, s5, s5, v1
	v_add_co_ci_u32_e64 v2, null, s6, 0, s5
	flat_store_short v[1:2], v3
.LBB279_5:
	s_or_b32 exec_lo, exec_lo, s4
	s_cbranch_execnz .LBB279_2
.LBB279_6:
	v_lshlrev_b32_e32 v0, 1, v0
	s_lshl_b64 s[2:3], s[2:3], 1
	v_mov_b32_e32 v2, s7
	s_add_u32 s0, s0, s2
	s_addc_u32 s1, s1, s3
	v_add_co_u32 v0, s0, s0, v0
	v_add_co_ci_u32_e64 v1, null, s1, 0, s0
	flat_store_short v[0:1], v2
	s_endpgm
	.section	.rodata,"a",@progbits
	.p2align	6, 0x0
	.amdhsa_kernel _ZN6thrust23THRUST_200600_302600_NS11hip_rocprim14__parallel_for6kernelILj256ENS1_20__uninitialized_fill7functorINS0_10device_ptrIsEEsEEmLj1EEEvT0_T1_SA_
		.amdhsa_group_segment_fixed_size 0
		.amdhsa_private_segment_fixed_size 0
		.amdhsa_kernarg_size 32
		.amdhsa_user_sgpr_count 6
		.amdhsa_user_sgpr_private_segment_buffer 1
		.amdhsa_user_sgpr_dispatch_ptr 0
		.amdhsa_user_sgpr_queue_ptr 0
		.amdhsa_user_sgpr_kernarg_segment_ptr 1
		.amdhsa_user_sgpr_dispatch_id 0
		.amdhsa_user_sgpr_flat_scratch_init 0
		.amdhsa_user_sgpr_private_segment_size 0
		.amdhsa_wavefront_size32 1
		.amdhsa_uses_dynamic_stack 0
		.amdhsa_system_sgpr_private_segment_wavefront_offset 0
		.amdhsa_system_sgpr_workgroup_id_x 1
		.amdhsa_system_sgpr_workgroup_id_y 0
		.amdhsa_system_sgpr_workgroup_id_z 0
		.amdhsa_system_sgpr_workgroup_info 0
		.amdhsa_system_vgpr_workitem_id 0
		.amdhsa_next_free_vgpr 4
		.amdhsa_next_free_sgpr 12
		.amdhsa_reserve_vcc 1
		.amdhsa_reserve_flat_scratch 0
		.amdhsa_float_round_mode_32 0
		.amdhsa_float_round_mode_16_64 0
		.amdhsa_float_denorm_mode_32 3
		.amdhsa_float_denorm_mode_16_64 3
		.amdhsa_dx10_clamp 1
		.amdhsa_ieee_mode 1
		.amdhsa_fp16_overflow 0
		.amdhsa_workgroup_processor_mode 1
		.amdhsa_memory_ordered 1
		.amdhsa_forward_progress 1
		.amdhsa_shared_vgpr_count 0
		.amdhsa_exception_fp_ieee_invalid_op 0
		.amdhsa_exception_fp_denorm_src 0
		.amdhsa_exception_fp_ieee_div_zero 0
		.amdhsa_exception_fp_ieee_overflow 0
		.amdhsa_exception_fp_ieee_underflow 0
		.amdhsa_exception_fp_ieee_inexact 0
		.amdhsa_exception_int_div_zero 0
	.end_amdhsa_kernel
	.section	.text._ZN6thrust23THRUST_200600_302600_NS11hip_rocprim14__parallel_for6kernelILj256ENS1_20__uninitialized_fill7functorINS0_10device_ptrIsEEsEEmLj1EEEvT0_T1_SA_,"axG",@progbits,_ZN6thrust23THRUST_200600_302600_NS11hip_rocprim14__parallel_for6kernelILj256ENS1_20__uninitialized_fill7functorINS0_10device_ptrIsEEsEEmLj1EEEvT0_T1_SA_,comdat
.Lfunc_end279:
	.size	_ZN6thrust23THRUST_200600_302600_NS11hip_rocprim14__parallel_for6kernelILj256ENS1_20__uninitialized_fill7functorINS0_10device_ptrIsEEsEEmLj1EEEvT0_T1_SA_, .Lfunc_end279-_ZN6thrust23THRUST_200600_302600_NS11hip_rocprim14__parallel_for6kernelILj256ENS1_20__uninitialized_fill7functorINS0_10device_ptrIsEEsEEmLj1EEEvT0_T1_SA_
                                        ; -- End function
	.set _ZN6thrust23THRUST_200600_302600_NS11hip_rocprim14__parallel_for6kernelILj256ENS1_20__uninitialized_fill7functorINS0_10device_ptrIsEEsEEmLj1EEEvT0_T1_SA_.num_vgpr, 4
	.set _ZN6thrust23THRUST_200600_302600_NS11hip_rocprim14__parallel_for6kernelILj256ENS1_20__uninitialized_fill7functorINS0_10device_ptrIsEEsEEmLj1EEEvT0_T1_SA_.num_agpr, 0
	.set _ZN6thrust23THRUST_200600_302600_NS11hip_rocprim14__parallel_for6kernelILj256ENS1_20__uninitialized_fill7functorINS0_10device_ptrIsEEsEEmLj1EEEvT0_T1_SA_.numbered_sgpr, 12
	.set _ZN6thrust23THRUST_200600_302600_NS11hip_rocprim14__parallel_for6kernelILj256ENS1_20__uninitialized_fill7functorINS0_10device_ptrIsEEsEEmLj1EEEvT0_T1_SA_.num_named_barrier, 0
	.set _ZN6thrust23THRUST_200600_302600_NS11hip_rocprim14__parallel_for6kernelILj256ENS1_20__uninitialized_fill7functorINS0_10device_ptrIsEEsEEmLj1EEEvT0_T1_SA_.private_seg_size, 0
	.set _ZN6thrust23THRUST_200600_302600_NS11hip_rocprim14__parallel_for6kernelILj256ENS1_20__uninitialized_fill7functorINS0_10device_ptrIsEEsEEmLj1EEEvT0_T1_SA_.uses_vcc, 1
	.set _ZN6thrust23THRUST_200600_302600_NS11hip_rocprim14__parallel_for6kernelILj256ENS1_20__uninitialized_fill7functorINS0_10device_ptrIsEEsEEmLj1EEEvT0_T1_SA_.uses_flat_scratch, 0
	.set _ZN6thrust23THRUST_200600_302600_NS11hip_rocprim14__parallel_for6kernelILj256ENS1_20__uninitialized_fill7functorINS0_10device_ptrIsEEsEEmLj1EEEvT0_T1_SA_.has_dyn_sized_stack, 0
	.set _ZN6thrust23THRUST_200600_302600_NS11hip_rocprim14__parallel_for6kernelILj256ENS1_20__uninitialized_fill7functorINS0_10device_ptrIsEEsEEmLj1EEEvT0_T1_SA_.has_recursion, 0
	.set _ZN6thrust23THRUST_200600_302600_NS11hip_rocprim14__parallel_for6kernelILj256ENS1_20__uninitialized_fill7functorINS0_10device_ptrIsEEsEEmLj1EEEvT0_T1_SA_.has_indirect_call, 0
	.section	.AMDGPU.csdata,"",@progbits
; Kernel info:
; codeLenInByte = 200
; TotalNumSgprs: 14
; NumVgprs: 4
; ScratchSize: 0
; MemoryBound: 0
; FloatMode: 240
; IeeeMode: 1
; LDSByteSize: 0 bytes/workgroup (compile time only)
; SGPRBlocks: 0
; VGPRBlocks: 0
; NumSGPRsForWavesPerEU: 14
; NumVGPRsForWavesPerEU: 4
; Occupancy: 16
; WaveLimiterHint : 0
; COMPUTE_PGM_RSRC2:SCRATCH_EN: 0
; COMPUTE_PGM_RSRC2:USER_SGPR: 6
; COMPUTE_PGM_RSRC2:TRAP_HANDLER: 0
; COMPUTE_PGM_RSRC2:TGID_X_EN: 1
; COMPUTE_PGM_RSRC2:TGID_Y_EN: 0
; COMPUTE_PGM_RSRC2:TGID_Z_EN: 0
; COMPUTE_PGM_RSRC2:TIDIG_COMP_CNT: 0
	.section	.text._ZN7rocprim17ROCPRIM_400000_NS6detail17trampoline_kernelINS0_14default_configENS1_21merge_config_selectorINS0_5tupleIJssEEENS0_10empty_typeEEEZNS1_10merge_implIS3_NS0_12zip_iteratorINS5_IJN6thrust23THRUST_200600_302600_NS6detail15normal_iteratorINSC_10device_ptrIKsEEEESI_EEEEESK_NSA_INS5_IJNSE_INSF_IsEEEESM_EEEEEPS7_SP_SP_NSC_11hip_rocprim7__merge17predicate_wrapperIssNSC_4lessIsEEEEEE10hipError_tPvRmT0_T1_T2_T3_T4_T5_mmT6_P12ihipStream_tbEUlT_E_NS1_11comp_targetILNS1_3genE0ELNS1_11target_archE4294967295ELNS1_3gpuE0ELNS1_3repE0EEENS1_30default_config_static_selectorELNS0_4arch9wavefront6targetE0EEEvS10_,"axG",@progbits,_ZN7rocprim17ROCPRIM_400000_NS6detail17trampoline_kernelINS0_14default_configENS1_21merge_config_selectorINS0_5tupleIJssEEENS0_10empty_typeEEEZNS1_10merge_implIS3_NS0_12zip_iteratorINS5_IJN6thrust23THRUST_200600_302600_NS6detail15normal_iteratorINSC_10device_ptrIKsEEEESI_EEEEESK_NSA_INS5_IJNSE_INSF_IsEEEESM_EEEEEPS7_SP_SP_NSC_11hip_rocprim7__merge17predicate_wrapperIssNSC_4lessIsEEEEEE10hipError_tPvRmT0_T1_T2_T3_T4_T5_mmT6_P12ihipStream_tbEUlT_E_NS1_11comp_targetILNS1_3genE0ELNS1_11target_archE4294967295ELNS1_3gpuE0ELNS1_3repE0EEENS1_30default_config_static_selectorELNS0_4arch9wavefront6targetE0EEEvS10_,comdat
	.protected	_ZN7rocprim17ROCPRIM_400000_NS6detail17trampoline_kernelINS0_14default_configENS1_21merge_config_selectorINS0_5tupleIJssEEENS0_10empty_typeEEEZNS1_10merge_implIS3_NS0_12zip_iteratorINS5_IJN6thrust23THRUST_200600_302600_NS6detail15normal_iteratorINSC_10device_ptrIKsEEEESI_EEEEESK_NSA_INS5_IJNSE_INSF_IsEEEESM_EEEEEPS7_SP_SP_NSC_11hip_rocprim7__merge17predicate_wrapperIssNSC_4lessIsEEEEEE10hipError_tPvRmT0_T1_T2_T3_T4_T5_mmT6_P12ihipStream_tbEUlT_E_NS1_11comp_targetILNS1_3genE0ELNS1_11target_archE4294967295ELNS1_3gpuE0ELNS1_3repE0EEENS1_30default_config_static_selectorELNS0_4arch9wavefront6targetE0EEEvS10_ ; -- Begin function _ZN7rocprim17ROCPRIM_400000_NS6detail17trampoline_kernelINS0_14default_configENS1_21merge_config_selectorINS0_5tupleIJssEEENS0_10empty_typeEEEZNS1_10merge_implIS3_NS0_12zip_iteratorINS5_IJN6thrust23THRUST_200600_302600_NS6detail15normal_iteratorINSC_10device_ptrIKsEEEESI_EEEEESK_NSA_INS5_IJNSE_INSF_IsEEEESM_EEEEEPS7_SP_SP_NSC_11hip_rocprim7__merge17predicate_wrapperIssNSC_4lessIsEEEEEE10hipError_tPvRmT0_T1_T2_T3_T4_T5_mmT6_P12ihipStream_tbEUlT_E_NS1_11comp_targetILNS1_3genE0ELNS1_11target_archE4294967295ELNS1_3gpuE0ELNS1_3repE0EEENS1_30default_config_static_selectorELNS0_4arch9wavefront6targetE0EEEvS10_
	.globl	_ZN7rocprim17ROCPRIM_400000_NS6detail17trampoline_kernelINS0_14default_configENS1_21merge_config_selectorINS0_5tupleIJssEEENS0_10empty_typeEEEZNS1_10merge_implIS3_NS0_12zip_iteratorINS5_IJN6thrust23THRUST_200600_302600_NS6detail15normal_iteratorINSC_10device_ptrIKsEEEESI_EEEEESK_NSA_INS5_IJNSE_INSF_IsEEEESM_EEEEEPS7_SP_SP_NSC_11hip_rocprim7__merge17predicate_wrapperIssNSC_4lessIsEEEEEE10hipError_tPvRmT0_T1_T2_T3_T4_T5_mmT6_P12ihipStream_tbEUlT_E_NS1_11comp_targetILNS1_3genE0ELNS1_11target_archE4294967295ELNS1_3gpuE0ELNS1_3repE0EEENS1_30default_config_static_selectorELNS0_4arch9wavefront6targetE0EEEvS10_
	.p2align	8
	.type	_ZN7rocprim17ROCPRIM_400000_NS6detail17trampoline_kernelINS0_14default_configENS1_21merge_config_selectorINS0_5tupleIJssEEENS0_10empty_typeEEEZNS1_10merge_implIS3_NS0_12zip_iteratorINS5_IJN6thrust23THRUST_200600_302600_NS6detail15normal_iteratorINSC_10device_ptrIKsEEEESI_EEEEESK_NSA_INS5_IJNSE_INSF_IsEEEESM_EEEEEPS7_SP_SP_NSC_11hip_rocprim7__merge17predicate_wrapperIssNSC_4lessIsEEEEEE10hipError_tPvRmT0_T1_T2_T3_T4_T5_mmT6_P12ihipStream_tbEUlT_E_NS1_11comp_targetILNS1_3genE0ELNS1_11target_archE4294967295ELNS1_3gpuE0ELNS1_3repE0EEENS1_30default_config_static_selectorELNS0_4arch9wavefront6targetE0EEEvS10_,@function
_ZN7rocprim17ROCPRIM_400000_NS6detail17trampoline_kernelINS0_14default_configENS1_21merge_config_selectorINS0_5tupleIJssEEENS0_10empty_typeEEEZNS1_10merge_implIS3_NS0_12zip_iteratorINS5_IJN6thrust23THRUST_200600_302600_NS6detail15normal_iteratorINSC_10device_ptrIKsEEEESI_EEEEESK_NSA_INS5_IJNSE_INSF_IsEEEESM_EEEEEPS7_SP_SP_NSC_11hip_rocprim7__merge17predicate_wrapperIssNSC_4lessIsEEEEEE10hipError_tPvRmT0_T1_T2_T3_T4_T5_mmT6_P12ihipStream_tbEUlT_E_NS1_11comp_targetILNS1_3genE0ELNS1_11target_archE4294967295ELNS1_3gpuE0ELNS1_3repE0EEENS1_30default_config_static_selectorELNS0_4arch9wavefront6targetE0EEEvS10_: ; @_ZN7rocprim17ROCPRIM_400000_NS6detail17trampoline_kernelINS0_14default_configENS1_21merge_config_selectorINS0_5tupleIJssEEENS0_10empty_typeEEEZNS1_10merge_implIS3_NS0_12zip_iteratorINS5_IJN6thrust23THRUST_200600_302600_NS6detail15normal_iteratorINSC_10device_ptrIKsEEEESI_EEEEESK_NSA_INS5_IJNSE_INSF_IsEEEESM_EEEEEPS7_SP_SP_NSC_11hip_rocprim7__merge17predicate_wrapperIssNSC_4lessIsEEEEEE10hipError_tPvRmT0_T1_T2_T3_T4_T5_mmT6_P12ihipStream_tbEUlT_E_NS1_11comp_targetILNS1_3genE0ELNS1_11target_archE4294967295ELNS1_3gpuE0ELNS1_3repE0EEENS1_30default_config_static_selectorELNS0_4arch9wavefront6targetE0EEEvS10_
; %bb.0:
	.section	.rodata,"a",@progbits
	.p2align	6, 0x0
	.amdhsa_kernel _ZN7rocprim17ROCPRIM_400000_NS6detail17trampoline_kernelINS0_14default_configENS1_21merge_config_selectorINS0_5tupleIJssEEENS0_10empty_typeEEEZNS1_10merge_implIS3_NS0_12zip_iteratorINS5_IJN6thrust23THRUST_200600_302600_NS6detail15normal_iteratorINSC_10device_ptrIKsEEEESI_EEEEESK_NSA_INS5_IJNSE_INSF_IsEEEESM_EEEEEPS7_SP_SP_NSC_11hip_rocprim7__merge17predicate_wrapperIssNSC_4lessIsEEEEEE10hipError_tPvRmT0_T1_T2_T3_T4_T5_mmT6_P12ihipStream_tbEUlT_E_NS1_11comp_targetILNS1_3genE0ELNS1_11target_archE4294967295ELNS1_3gpuE0ELNS1_3repE0EEENS1_30default_config_static_selectorELNS0_4arch9wavefront6targetE0EEEvS10_
		.amdhsa_group_segment_fixed_size 0
		.amdhsa_private_segment_fixed_size 0
		.amdhsa_kernarg_size 64
		.amdhsa_user_sgpr_count 6
		.amdhsa_user_sgpr_private_segment_buffer 1
		.amdhsa_user_sgpr_dispatch_ptr 0
		.amdhsa_user_sgpr_queue_ptr 0
		.amdhsa_user_sgpr_kernarg_segment_ptr 1
		.amdhsa_user_sgpr_dispatch_id 0
		.amdhsa_user_sgpr_flat_scratch_init 0
		.amdhsa_user_sgpr_private_segment_size 0
		.amdhsa_wavefront_size32 1
		.amdhsa_uses_dynamic_stack 0
		.amdhsa_system_sgpr_private_segment_wavefront_offset 0
		.amdhsa_system_sgpr_workgroup_id_x 1
		.amdhsa_system_sgpr_workgroup_id_y 0
		.amdhsa_system_sgpr_workgroup_id_z 0
		.amdhsa_system_sgpr_workgroup_info 0
		.amdhsa_system_vgpr_workitem_id 0
		.amdhsa_next_free_vgpr 1
		.amdhsa_next_free_sgpr 1
		.amdhsa_reserve_vcc 0
		.amdhsa_reserve_flat_scratch 0
		.amdhsa_float_round_mode_32 0
		.amdhsa_float_round_mode_16_64 0
		.amdhsa_float_denorm_mode_32 3
		.amdhsa_float_denorm_mode_16_64 3
		.amdhsa_dx10_clamp 1
		.amdhsa_ieee_mode 1
		.amdhsa_fp16_overflow 0
		.amdhsa_workgroup_processor_mode 1
		.amdhsa_memory_ordered 1
		.amdhsa_forward_progress 1
		.amdhsa_shared_vgpr_count 0
		.amdhsa_exception_fp_ieee_invalid_op 0
		.amdhsa_exception_fp_denorm_src 0
		.amdhsa_exception_fp_ieee_div_zero 0
		.amdhsa_exception_fp_ieee_overflow 0
		.amdhsa_exception_fp_ieee_underflow 0
		.amdhsa_exception_fp_ieee_inexact 0
		.amdhsa_exception_int_div_zero 0
	.end_amdhsa_kernel
	.section	.text._ZN7rocprim17ROCPRIM_400000_NS6detail17trampoline_kernelINS0_14default_configENS1_21merge_config_selectorINS0_5tupleIJssEEENS0_10empty_typeEEEZNS1_10merge_implIS3_NS0_12zip_iteratorINS5_IJN6thrust23THRUST_200600_302600_NS6detail15normal_iteratorINSC_10device_ptrIKsEEEESI_EEEEESK_NSA_INS5_IJNSE_INSF_IsEEEESM_EEEEEPS7_SP_SP_NSC_11hip_rocprim7__merge17predicate_wrapperIssNSC_4lessIsEEEEEE10hipError_tPvRmT0_T1_T2_T3_T4_T5_mmT6_P12ihipStream_tbEUlT_E_NS1_11comp_targetILNS1_3genE0ELNS1_11target_archE4294967295ELNS1_3gpuE0ELNS1_3repE0EEENS1_30default_config_static_selectorELNS0_4arch9wavefront6targetE0EEEvS10_,"axG",@progbits,_ZN7rocprim17ROCPRIM_400000_NS6detail17trampoline_kernelINS0_14default_configENS1_21merge_config_selectorINS0_5tupleIJssEEENS0_10empty_typeEEEZNS1_10merge_implIS3_NS0_12zip_iteratorINS5_IJN6thrust23THRUST_200600_302600_NS6detail15normal_iteratorINSC_10device_ptrIKsEEEESI_EEEEESK_NSA_INS5_IJNSE_INSF_IsEEEESM_EEEEEPS7_SP_SP_NSC_11hip_rocprim7__merge17predicate_wrapperIssNSC_4lessIsEEEEEE10hipError_tPvRmT0_T1_T2_T3_T4_T5_mmT6_P12ihipStream_tbEUlT_E_NS1_11comp_targetILNS1_3genE0ELNS1_11target_archE4294967295ELNS1_3gpuE0ELNS1_3repE0EEENS1_30default_config_static_selectorELNS0_4arch9wavefront6targetE0EEEvS10_,comdat
.Lfunc_end280:
	.size	_ZN7rocprim17ROCPRIM_400000_NS6detail17trampoline_kernelINS0_14default_configENS1_21merge_config_selectorINS0_5tupleIJssEEENS0_10empty_typeEEEZNS1_10merge_implIS3_NS0_12zip_iteratorINS5_IJN6thrust23THRUST_200600_302600_NS6detail15normal_iteratorINSC_10device_ptrIKsEEEESI_EEEEESK_NSA_INS5_IJNSE_INSF_IsEEEESM_EEEEEPS7_SP_SP_NSC_11hip_rocprim7__merge17predicate_wrapperIssNSC_4lessIsEEEEEE10hipError_tPvRmT0_T1_T2_T3_T4_T5_mmT6_P12ihipStream_tbEUlT_E_NS1_11comp_targetILNS1_3genE0ELNS1_11target_archE4294967295ELNS1_3gpuE0ELNS1_3repE0EEENS1_30default_config_static_selectorELNS0_4arch9wavefront6targetE0EEEvS10_, .Lfunc_end280-_ZN7rocprim17ROCPRIM_400000_NS6detail17trampoline_kernelINS0_14default_configENS1_21merge_config_selectorINS0_5tupleIJssEEENS0_10empty_typeEEEZNS1_10merge_implIS3_NS0_12zip_iteratorINS5_IJN6thrust23THRUST_200600_302600_NS6detail15normal_iteratorINSC_10device_ptrIKsEEEESI_EEEEESK_NSA_INS5_IJNSE_INSF_IsEEEESM_EEEEEPS7_SP_SP_NSC_11hip_rocprim7__merge17predicate_wrapperIssNSC_4lessIsEEEEEE10hipError_tPvRmT0_T1_T2_T3_T4_T5_mmT6_P12ihipStream_tbEUlT_E_NS1_11comp_targetILNS1_3genE0ELNS1_11target_archE4294967295ELNS1_3gpuE0ELNS1_3repE0EEENS1_30default_config_static_selectorELNS0_4arch9wavefront6targetE0EEEvS10_
                                        ; -- End function
	.set _ZN7rocprim17ROCPRIM_400000_NS6detail17trampoline_kernelINS0_14default_configENS1_21merge_config_selectorINS0_5tupleIJssEEENS0_10empty_typeEEEZNS1_10merge_implIS3_NS0_12zip_iteratorINS5_IJN6thrust23THRUST_200600_302600_NS6detail15normal_iteratorINSC_10device_ptrIKsEEEESI_EEEEESK_NSA_INS5_IJNSE_INSF_IsEEEESM_EEEEEPS7_SP_SP_NSC_11hip_rocprim7__merge17predicate_wrapperIssNSC_4lessIsEEEEEE10hipError_tPvRmT0_T1_T2_T3_T4_T5_mmT6_P12ihipStream_tbEUlT_E_NS1_11comp_targetILNS1_3genE0ELNS1_11target_archE4294967295ELNS1_3gpuE0ELNS1_3repE0EEENS1_30default_config_static_selectorELNS0_4arch9wavefront6targetE0EEEvS10_.num_vgpr, 0
	.set _ZN7rocprim17ROCPRIM_400000_NS6detail17trampoline_kernelINS0_14default_configENS1_21merge_config_selectorINS0_5tupleIJssEEENS0_10empty_typeEEEZNS1_10merge_implIS3_NS0_12zip_iteratorINS5_IJN6thrust23THRUST_200600_302600_NS6detail15normal_iteratorINSC_10device_ptrIKsEEEESI_EEEEESK_NSA_INS5_IJNSE_INSF_IsEEEESM_EEEEEPS7_SP_SP_NSC_11hip_rocprim7__merge17predicate_wrapperIssNSC_4lessIsEEEEEE10hipError_tPvRmT0_T1_T2_T3_T4_T5_mmT6_P12ihipStream_tbEUlT_E_NS1_11comp_targetILNS1_3genE0ELNS1_11target_archE4294967295ELNS1_3gpuE0ELNS1_3repE0EEENS1_30default_config_static_selectorELNS0_4arch9wavefront6targetE0EEEvS10_.num_agpr, 0
	.set _ZN7rocprim17ROCPRIM_400000_NS6detail17trampoline_kernelINS0_14default_configENS1_21merge_config_selectorINS0_5tupleIJssEEENS0_10empty_typeEEEZNS1_10merge_implIS3_NS0_12zip_iteratorINS5_IJN6thrust23THRUST_200600_302600_NS6detail15normal_iteratorINSC_10device_ptrIKsEEEESI_EEEEESK_NSA_INS5_IJNSE_INSF_IsEEEESM_EEEEEPS7_SP_SP_NSC_11hip_rocprim7__merge17predicate_wrapperIssNSC_4lessIsEEEEEE10hipError_tPvRmT0_T1_T2_T3_T4_T5_mmT6_P12ihipStream_tbEUlT_E_NS1_11comp_targetILNS1_3genE0ELNS1_11target_archE4294967295ELNS1_3gpuE0ELNS1_3repE0EEENS1_30default_config_static_selectorELNS0_4arch9wavefront6targetE0EEEvS10_.numbered_sgpr, 0
	.set _ZN7rocprim17ROCPRIM_400000_NS6detail17trampoline_kernelINS0_14default_configENS1_21merge_config_selectorINS0_5tupleIJssEEENS0_10empty_typeEEEZNS1_10merge_implIS3_NS0_12zip_iteratorINS5_IJN6thrust23THRUST_200600_302600_NS6detail15normal_iteratorINSC_10device_ptrIKsEEEESI_EEEEESK_NSA_INS5_IJNSE_INSF_IsEEEESM_EEEEEPS7_SP_SP_NSC_11hip_rocprim7__merge17predicate_wrapperIssNSC_4lessIsEEEEEE10hipError_tPvRmT0_T1_T2_T3_T4_T5_mmT6_P12ihipStream_tbEUlT_E_NS1_11comp_targetILNS1_3genE0ELNS1_11target_archE4294967295ELNS1_3gpuE0ELNS1_3repE0EEENS1_30default_config_static_selectorELNS0_4arch9wavefront6targetE0EEEvS10_.num_named_barrier, 0
	.set _ZN7rocprim17ROCPRIM_400000_NS6detail17trampoline_kernelINS0_14default_configENS1_21merge_config_selectorINS0_5tupleIJssEEENS0_10empty_typeEEEZNS1_10merge_implIS3_NS0_12zip_iteratorINS5_IJN6thrust23THRUST_200600_302600_NS6detail15normal_iteratorINSC_10device_ptrIKsEEEESI_EEEEESK_NSA_INS5_IJNSE_INSF_IsEEEESM_EEEEEPS7_SP_SP_NSC_11hip_rocprim7__merge17predicate_wrapperIssNSC_4lessIsEEEEEE10hipError_tPvRmT0_T1_T2_T3_T4_T5_mmT6_P12ihipStream_tbEUlT_E_NS1_11comp_targetILNS1_3genE0ELNS1_11target_archE4294967295ELNS1_3gpuE0ELNS1_3repE0EEENS1_30default_config_static_selectorELNS0_4arch9wavefront6targetE0EEEvS10_.private_seg_size, 0
	.set _ZN7rocprim17ROCPRIM_400000_NS6detail17trampoline_kernelINS0_14default_configENS1_21merge_config_selectorINS0_5tupleIJssEEENS0_10empty_typeEEEZNS1_10merge_implIS3_NS0_12zip_iteratorINS5_IJN6thrust23THRUST_200600_302600_NS6detail15normal_iteratorINSC_10device_ptrIKsEEEESI_EEEEESK_NSA_INS5_IJNSE_INSF_IsEEEESM_EEEEEPS7_SP_SP_NSC_11hip_rocprim7__merge17predicate_wrapperIssNSC_4lessIsEEEEEE10hipError_tPvRmT0_T1_T2_T3_T4_T5_mmT6_P12ihipStream_tbEUlT_E_NS1_11comp_targetILNS1_3genE0ELNS1_11target_archE4294967295ELNS1_3gpuE0ELNS1_3repE0EEENS1_30default_config_static_selectorELNS0_4arch9wavefront6targetE0EEEvS10_.uses_vcc, 0
	.set _ZN7rocprim17ROCPRIM_400000_NS6detail17trampoline_kernelINS0_14default_configENS1_21merge_config_selectorINS0_5tupleIJssEEENS0_10empty_typeEEEZNS1_10merge_implIS3_NS0_12zip_iteratorINS5_IJN6thrust23THRUST_200600_302600_NS6detail15normal_iteratorINSC_10device_ptrIKsEEEESI_EEEEESK_NSA_INS5_IJNSE_INSF_IsEEEESM_EEEEEPS7_SP_SP_NSC_11hip_rocprim7__merge17predicate_wrapperIssNSC_4lessIsEEEEEE10hipError_tPvRmT0_T1_T2_T3_T4_T5_mmT6_P12ihipStream_tbEUlT_E_NS1_11comp_targetILNS1_3genE0ELNS1_11target_archE4294967295ELNS1_3gpuE0ELNS1_3repE0EEENS1_30default_config_static_selectorELNS0_4arch9wavefront6targetE0EEEvS10_.uses_flat_scratch, 0
	.set _ZN7rocprim17ROCPRIM_400000_NS6detail17trampoline_kernelINS0_14default_configENS1_21merge_config_selectorINS0_5tupleIJssEEENS0_10empty_typeEEEZNS1_10merge_implIS3_NS0_12zip_iteratorINS5_IJN6thrust23THRUST_200600_302600_NS6detail15normal_iteratorINSC_10device_ptrIKsEEEESI_EEEEESK_NSA_INS5_IJNSE_INSF_IsEEEESM_EEEEEPS7_SP_SP_NSC_11hip_rocprim7__merge17predicate_wrapperIssNSC_4lessIsEEEEEE10hipError_tPvRmT0_T1_T2_T3_T4_T5_mmT6_P12ihipStream_tbEUlT_E_NS1_11comp_targetILNS1_3genE0ELNS1_11target_archE4294967295ELNS1_3gpuE0ELNS1_3repE0EEENS1_30default_config_static_selectorELNS0_4arch9wavefront6targetE0EEEvS10_.has_dyn_sized_stack, 0
	.set _ZN7rocprim17ROCPRIM_400000_NS6detail17trampoline_kernelINS0_14default_configENS1_21merge_config_selectorINS0_5tupleIJssEEENS0_10empty_typeEEEZNS1_10merge_implIS3_NS0_12zip_iteratorINS5_IJN6thrust23THRUST_200600_302600_NS6detail15normal_iteratorINSC_10device_ptrIKsEEEESI_EEEEESK_NSA_INS5_IJNSE_INSF_IsEEEESM_EEEEEPS7_SP_SP_NSC_11hip_rocprim7__merge17predicate_wrapperIssNSC_4lessIsEEEEEE10hipError_tPvRmT0_T1_T2_T3_T4_T5_mmT6_P12ihipStream_tbEUlT_E_NS1_11comp_targetILNS1_3genE0ELNS1_11target_archE4294967295ELNS1_3gpuE0ELNS1_3repE0EEENS1_30default_config_static_selectorELNS0_4arch9wavefront6targetE0EEEvS10_.has_recursion, 0
	.set _ZN7rocprim17ROCPRIM_400000_NS6detail17trampoline_kernelINS0_14default_configENS1_21merge_config_selectorINS0_5tupleIJssEEENS0_10empty_typeEEEZNS1_10merge_implIS3_NS0_12zip_iteratorINS5_IJN6thrust23THRUST_200600_302600_NS6detail15normal_iteratorINSC_10device_ptrIKsEEEESI_EEEEESK_NSA_INS5_IJNSE_INSF_IsEEEESM_EEEEEPS7_SP_SP_NSC_11hip_rocprim7__merge17predicate_wrapperIssNSC_4lessIsEEEEEE10hipError_tPvRmT0_T1_T2_T3_T4_T5_mmT6_P12ihipStream_tbEUlT_E_NS1_11comp_targetILNS1_3genE0ELNS1_11target_archE4294967295ELNS1_3gpuE0ELNS1_3repE0EEENS1_30default_config_static_selectorELNS0_4arch9wavefront6targetE0EEEvS10_.has_indirect_call, 0
	.section	.AMDGPU.csdata,"",@progbits
; Kernel info:
; codeLenInByte = 0
; TotalNumSgprs: 0
; NumVgprs: 0
; ScratchSize: 0
; MemoryBound: 0
; FloatMode: 240
; IeeeMode: 1
; LDSByteSize: 0 bytes/workgroup (compile time only)
; SGPRBlocks: 0
; VGPRBlocks: 0
; NumSGPRsForWavesPerEU: 1
; NumVGPRsForWavesPerEU: 1
; Occupancy: 16
; WaveLimiterHint : 0
; COMPUTE_PGM_RSRC2:SCRATCH_EN: 0
; COMPUTE_PGM_RSRC2:USER_SGPR: 6
; COMPUTE_PGM_RSRC2:TRAP_HANDLER: 0
; COMPUTE_PGM_RSRC2:TGID_X_EN: 1
; COMPUTE_PGM_RSRC2:TGID_Y_EN: 0
; COMPUTE_PGM_RSRC2:TGID_Z_EN: 0
; COMPUTE_PGM_RSRC2:TIDIG_COMP_CNT: 0
	.section	.text._ZN7rocprim17ROCPRIM_400000_NS6detail17trampoline_kernelINS0_14default_configENS1_21merge_config_selectorINS0_5tupleIJssEEENS0_10empty_typeEEEZNS1_10merge_implIS3_NS0_12zip_iteratorINS5_IJN6thrust23THRUST_200600_302600_NS6detail15normal_iteratorINSC_10device_ptrIKsEEEESI_EEEEESK_NSA_INS5_IJNSE_INSF_IsEEEESM_EEEEEPS7_SP_SP_NSC_11hip_rocprim7__merge17predicate_wrapperIssNSC_4lessIsEEEEEE10hipError_tPvRmT0_T1_T2_T3_T4_T5_mmT6_P12ihipStream_tbEUlT_E_NS1_11comp_targetILNS1_3genE5ELNS1_11target_archE942ELNS1_3gpuE9ELNS1_3repE0EEENS1_30default_config_static_selectorELNS0_4arch9wavefront6targetE0EEEvS10_,"axG",@progbits,_ZN7rocprim17ROCPRIM_400000_NS6detail17trampoline_kernelINS0_14default_configENS1_21merge_config_selectorINS0_5tupleIJssEEENS0_10empty_typeEEEZNS1_10merge_implIS3_NS0_12zip_iteratorINS5_IJN6thrust23THRUST_200600_302600_NS6detail15normal_iteratorINSC_10device_ptrIKsEEEESI_EEEEESK_NSA_INS5_IJNSE_INSF_IsEEEESM_EEEEEPS7_SP_SP_NSC_11hip_rocprim7__merge17predicate_wrapperIssNSC_4lessIsEEEEEE10hipError_tPvRmT0_T1_T2_T3_T4_T5_mmT6_P12ihipStream_tbEUlT_E_NS1_11comp_targetILNS1_3genE5ELNS1_11target_archE942ELNS1_3gpuE9ELNS1_3repE0EEENS1_30default_config_static_selectorELNS0_4arch9wavefront6targetE0EEEvS10_,comdat
	.protected	_ZN7rocprim17ROCPRIM_400000_NS6detail17trampoline_kernelINS0_14default_configENS1_21merge_config_selectorINS0_5tupleIJssEEENS0_10empty_typeEEEZNS1_10merge_implIS3_NS0_12zip_iteratorINS5_IJN6thrust23THRUST_200600_302600_NS6detail15normal_iteratorINSC_10device_ptrIKsEEEESI_EEEEESK_NSA_INS5_IJNSE_INSF_IsEEEESM_EEEEEPS7_SP_SP_NSC_11hip_rocprim7__merge17predicate_wrapperIssNSC_4lessIsEEEEEE10hipError_tPvRmT0_T1_T2_T3_T4_T5_mmT6_P12ihipStream_tbEUlT_E_NS1_11comp_targetILNS1_3genE5ELNS1_11target_archE942ELNS1_3gpuE9ELNS1_3repE0EEENS1_30default_config_static_selectorELNS0_4arch9wavefront6targetE0EEEvS10_ ; -- Begin function _ZN7rocprim17ROCPRIM_400000_NS6detail17trampoline_kernelINS0_14default_configENS1_21merge_config_selectorINS0_5tupleIJssEEENS0_10empty_typeEEEZNS1_10merge_implIS3_NS0_12zip_iteratorINS5_IJN6thrust23THRUST_200600_302600_NS6detail15normal_iteratorINSC_10device_ptrIKsEEEESI_EEEEESK_NSA_INS5_IJNSE_INSF_IsEEEESM_EEEEEPS7_SP_SP_NSC_11hip_rocprim7__merge17predicate_wrapperIssNSC_4lessIsEEEEEE10hipError_tPvRmT0_T1_T2_T3_T4_T5_mmT6_P12ihipStream_tbEUlT_E_NS1_11comp_targetILNS1_3genE5ELNS1_11target_archE942ELNS1_3gpuE9ELNS1_3repE0EEENS1_30default_config_static_selectorELNS0_4arch9wavefront6targetE0EEEvS10_
	.globl	_ZN7rocprim17ROCPRIM_400000_NS6detail17trampoline_kernelINS0_14default_configENS1_21merge_config_selectorINS0_5tupleIJssEEENS0_10empty_typeEEEZNS1_10merge_implIS3_NS0_12zip_iteratorINS5_IJN6thrust23THRUST_200600_302600_NS6detail15normal_iteratorINSC_10device_ptrIKsEEEESI_EEEEESK_NSA_INS5_IJNSE_INSF_IsEEEESM_EEEEEPS7_SP_SP_NSC_11hip_rocprim7__merge17predicate_wrapperIssNSC_4lessIsEEEEEE10hipError_tPvRmT0_T1_T2_T3_T4_T5_mmT6_P12ihipStream_tbEUlT_E_NS1_11comp_targetILNS1_3genE5ELNS1_11target_archE942ELNS1_3gpuE9ELNS1_3repE0EEENS1_30default_config_static_selectorELNS0_4arch9wavefront6targetE0EEEvS10_
	.p2align	8
	.type	_ZN7rocprim17ROCPRIM_400000_NS6detail17trampoline_kernelINS0_14default_configENS1_21merge_config_selectorINS0_5tupleIJssEEENS0_10empty_typeEEEZNS1_10merge_implIS3_NS0_12zip_iteratorINS5_IJN6thrust23THRUST_200600_302600_NS6detail15normal_iteratorINSC_10device_ptrIKsEEEESI_EEEEESK_NSA_INS5_IJNSE_INSF_IsEEEESM_EEEEEPS7_SP_SP_NSC_11hip_rocprim7__merge17predicate_wrapperIssNSC_4lessIsEEEEEE10hipError_tPvRmT0_T1_T2_T3_T4_T5_mmT6_P12ihipStream_tbEUlT_E_NS1_11comp_targetILNS1_3genE5ELNS1_11target_archE942ELNS1_3gpuE9ELNS1_3repE0EEENS1_30default_config_static_selectorELNS0_4arch9wavefront6targetE0EEEvS10_,@function
_ZN7rocprim17ROCPRIM_400000_NS6detail17trampoline_kernelINS0_14default_configENS1_21merge_config_selectorINS0_5tupleIJssEEENS0_10empty_typeEEEZNS1_10merge_implIS3_NS0_12zip_iteratorINS5_IJN6thrust23THRUST_200600_302600_NS6detail15normal_iteratorINSC_10device_ptrIKsEEEESI_EEEEESK_NSA_INS5_IJNSE_INSF_IsEEEESM_EEEEEPS7_SP_SP_NSC_11hip_rocprim7__merge17predicate_wrapperIssNSC_4lessIsEEEEEE10hipError_tPvRmT0_T1_T2_T3_T4_T5_mmT6_P12ihipStream_tbEUlT_E_NS1_11comp_targetILNS1_3genE5ELNS1_11target_archE942ELNS1_3gpuE9ELNS1_3repE0EEENS1_30default_config_static_selectorELNS0_4arch9wavefront6targetE0EEEvS10_: ; @_ZN7rocprim17ROCPRIM_400000_NS6detail17trampoline_kernelINS0_14default_configENS1_21merge_config_selectorINS0_5tupleIJssEEENS0_10empty_typeEEEZNS1_10merge_implIS3_NS0_12zip_iteratorINS5_IJN6thrust23THRUST_200600_302600_NS6detail15normal_iteratorINSC_10device_ptrIKsEEEESI_EEEEESK_NSA_INS5_IJNSE_INSF_IsEEEESM_EEEEEPS7_SP_SP_NSC_11hip_rocprim7__merge17predicate_wrapperIssNSC_4lessIsEEEEEE10hipError_tPvRmT0_T1_T2_T3_T4_T5_mmT6_P12ihipStream_tbEUlT_E_NS1_11comp_targetILNS1_3genE5ELNS1_11target_archE942ELNS1_3gpuE9ELNS1_3repE0EEENS1_30default_config_static_selectorELNS0_4arch9wavefront6targetE0EEEvS10_
; %bb.0:
	.section	.rodata,"a",@progbits
	.p2align	6, 0x0
	.amdhsa_kernel _ZN7rocprim17ROCPRIM_400000_NS6detail17trampoline_kernelINS0_14default_configENS1_21merge_config_selectorINS0_5tupleIJssEEENS0_10empty_typeEEEZNS1_10merge_implIS3_NS0_12zip_iteratorINS5_IJN6thrust23THRUST_200600_302600_NS6detail15normal_iteratorINSC_10device_ptrIKsEEEESI_EEEEESK_NSA_INS5_IJNSE_INSF_IsEEEESM_EEEEEPS7_SP_SP_NSC_11hip_rocprim7__merge17predicate_wrapperIssNSC_4lessIsEEEEEE10hipError_tPvRmT0_T1_T2_T3_T4_T5_mmT6_P12ihipStream_tbEUlT_E_NS1_11comp_targetILNS1_3genE5ELNS1_11target_archE942ELNS1_3gpuE9ELNS1_3repE0EEENS1_30default_config_static_selectorELNS0_4arch9wavefront6targetE0EEEvS10_
		.amdhsa_group_segment_fixed_size 0
		.amdhsa_private_segment_fixed_size 0
		.amdhsa_kernarg_size 64
		.amdhsa_user_sgpr_count 6
		.amdhsa_user_sgpr_private_segment_buffer 1
		.amdhsa_user_sgpr_dispatch_ptr 0
		.amdhsa_user_sgpr_queue_ptr 0
		.amdhsa_user_sgpr_kernarg_segment_ptr 1
		.amdhsa_user_sgpr_dispatch_id 0
		.amdhsa_user_sgpr_flat_scratch_init 0
		.amdhsa_user_sgpr_private_segment_size 0
		.amdhsa_wavefront_size32 1
		.amdhsa_uses_dynamic_stack 0
		.amdhsa_system_sgpr_private_segment_wavefront_offset 0
		.amdhsa_system_sgpr_workgroup_id_x 1
		.amdhsa_system_sgpr_workgroup_id_y 0
		.amdhsa_system_sgpr_workgroup_id_z 0
		.amdhsa_system_sgpr_workgroup_info 0
		.amdhsa_system_vgpr_workitem_id 0
		.amdhsa_next_free_vgpr 1
		.amdhsa_next_free_sgpr 1
		.amdhsa_reserve_vcc 0
		.amdhsa_reserve_flat_scratch 0
		.amdhsa_float_round_mode_32 0
		.amdhsa_float_round_mode_16_64 0
		.amdhsa_float_denorm_mode_32 3
		.amdhsa_float_denorm_mode_16_64 3
		.amdhsa_dx10_clamp 1
		.amdhsa_ieee_mode 1
		.amdhsa_fp16_overflow 0
		.amdhsa_workgroup_processor_mode 1
		.amdhsa_memory_ordered 1
		.amdhsa_forward_progress 1
		.amdhsa_shared_vgpr_count 0
		.amdhsa_exception_fp_ieee_invalid_op 0
		.amdhsa_exception_fp_denorm_src 0
		.amdhsa_exception_fp_ieee_div_zero 0
		.amdhsa_exception_fp_ieee_overflow 0
		.amdhsa_exception_fp_ieee_underflow 0
		.amdhsa_exception_fp_ieee_inexact 0
		.amdhsa_exception_int_div_zero 0
	.end_amdhsa_kernel
	.section	.text._ZN7rocprim17ROCPRIM_400000_NS6detail17trampoline_kernelINS0_14default_configENS1_21merge_config_selectorINS0_5tupleIJssEEENS0_10empty_typeEEEZNS1_10merge_implIS3_NS0_12zip_iteratorINS5_IJN6thrust23THRUST_200600_302600_NS6detail15normal_iteratorINSC_10device_ptrIKsEEEESI_EEEEESK_NSA_INS5_IJNSE_INSF_IsEEEESM_EEEEEPS7_SP_SP_NSC_11hip_rocprim7__merge17predicate_wrapperIssNSC_4lessIsEEEEEE10hipError_tPvRmT0_T1_T2_T3_T4_T5_mmT6_P12ihipStream_tbEUlT_E_NS1_11comp_targetILNS1_3genE5ELNS1_11target_archE942ELNS1_3gpuE9ELNS1_3repE0EEENS1_30default_config_static_selectorELNS0_4arch9wavefront6targetE0EEEvS10_,"axG",@progbits,_ZN7rocprim17ROCPRIM_400000_NS6detail17trampoline_kernelINS0_14default_configENS1_21merge_config_selectorINS0_5tupleIJssEEENS0_10empty_typeEEEZNS1_10merge_implIS3_NS0_12zip_iteratorINS5_IJN6thrust23THRUST_200600_302600_NS6detail15normal_iteratorINSC_10device_ptrIKsEEEESI_EEEEESK_NSA_INS5_IJNSE_INSF_IsEEEESM_EEEEEPS7_SP_SP_NSC_11hip_rocprim7__merge17predicate_wrapperIssNSC_4lessIsEEEEEE10hipError_tPvRmT0_T1_T2_T3_T4_T5_mmT6_P12ihipStream_tbEUlT_E_NS1_11comp_targetILNS1_3genE5ELNS1_11target_archE942ELNS1_3gpuE9ELNS1_3repE0EEENS1_30default_config_static_selectorELNS0_4arch9wavefront6targetE0EEEvS10_,comdat
.Lfunc_end281:
	.size	_ZN7rocprim17ROCPRIM_400000_NS6detail17trampoline_kernelINS0_14default_configENS1_21merge_config_selectorINS0_5tupleIJssEEENS0_10empty_typeEEEZNS1_10merge_implIS3_NS0_12zip_iteratorINS5_IJN6thrust23THRUST_200600_302600_NS6detail15normal_iteratorINSC_10device_ptrIKsEEEESI_EEEEESK_NSA_INS5_IJNSE_INSF_IsEEEESM_EEEEEPS7_SP_SP_NSC_11hip_rocprim7__merge17predicate_wrapperIssNSC_4lessIsEEEEEE10hipError_tPvRmT0_T1_T2_T3_T4_T5_mmT6_P12ihipStream_tbEUlT_E_NS1_11comp_targetILNS1_3genE5ELNS1_11target_archE942ELNS1_3gpuE9ELNS1_3repE0EEENS1_30default_config_static_selectorELNS0_4arch9wavefront6targetE0EEEvS10_, .Lfunc_end281-_ZN7rocprim17ROCPRIM_400000_NS6detail17trampoline_kernelINS0_14default_configENS1_21merge_config_selectorINS0_5tupleIJssEEENS0_10empty_typeEEEZNS1_10merge_implIS3_NS0_12zip_iteratorINS5_IJN6thrust23THRUST_200600_302600_NS6detail15normal_iteratorINSC_10device_ptrIKsEEEESI_EEEEESK_NSA_INS5_IJNSE_INSF_IsEEEESM_EEEEEPS7_SP_SP_NSC_11hip_rocprim7__merge17predicate_wrapperIssNSC_4lessIsEEEEEE10hipError_tPvRmT0_T1_T2_T3_T4_T5_mmT6_P12ihipStream_tbEUlT_E_NS1_11comp_targetILNS1_3genE5ELNS1_11target_archE942ELNS1_3gpuE9ELNS1_3repE0EEENS1_30default_config_static_selectorELNS0_4arch9wavefront6targetE0EEEvS10_
                                        ; -- End function
	.set _ZN7rocprim17ROCPRIM_400000_NS6detail17trampoline_kernelINS0_14default_configENS1_21merge_config_selectorINS0_5tupleIJssEEENS0_10empty_typeEEEZNS1_10merge_implIS3_NS0_12zip_iteratorINS5_IJN6thrust23THRUST_200600_302600_NS6detail15normal_iteratorINSC_10device_ptrIKsEEEESI_EEEEESK_NSA_INS5_IJNSE_INSF_IsEEEESM_EEEEEPS7_SP_SP_NSC_11hip_rocprim7__merge17predicate_wrapperIssNSC_4lessIsEEEEEE10hipError_tPvRmT0_T1_T2_T3_T4_T5_mmT6_P12ihipStream_tbEUlT_E_NS1_11comp_targetILNS1_3genE5ELNS1_11target_archE942ELNS1_3gpuE9ELNS1_3repE0EEENS1_30default_config_static_selectorELNS0_4arch9wavefront6targetE0EEEvS10_.num_vgpr, 0
	.set _ZN7rocprim17ROCPRIM_400000_NS6detail17trampoline_kernelINS0_14default_configENS1_21merge_config_selectorINS0_5tupleIJssEEENS0_10empty_typeEEEZNS1_10merge_implIS3_NS0_12zip_iteratorINS5_IJN6thrust23THRUST_200600_302600_NS6detail15normal_iteratorINSC_10device_ptrIKsEEEESI_EEEEESK_NSA_INS5_IJNSE_INSF_IsEEEESM_EEEEEPS7_SP_SP_NSC_11hip_rocprim7__merge17predicate_wrapperIssNSC_4lessIsEEEEEE10hipError_tPvRmT0_T1_T2_T3_T4_T5_mmT6_P12ihipStream_tbEUlT_E_NS1_11comp_targetILNS1_3genE5ELNS1_11target_archE942ELNS1_3gpuE9ELNS1_3repE0EEENS1_30default_config_static_selectorELNS0_4arch9wavefront6targetE0EEEvS10_.num_agpr, 0
	.set _ZN7rocprim17ROCPRIM_400000_NS6detail17trampoline_kernelINS0_14default_configENS1_21merge_config_selectorINS0_5tupleIJssEEENS0_10empty_typeEEEZNS1_10merge_implIS3_NS0_12zip_iteratorINS5_IJN6thrust23THRUST_200600_302600_NS6detail15normal_iteratorINSC_10device_ptrIKsEEEESI_EEEEESK_NSA_INS5_IJNSE_INSF_IsEEEESM_EEEEEPS7_SP_SP_NSC_11hip_rocprim7__merge17predicate_wrapperIssNSC_4lessIsEEEEEE10hipError_tPvRmT0_T1_T2_T3_T4_T5_mmT6_P12ihipStream_tbEUlT_E_NS1_11comp_targetILNS1_3genE5ELNS1_11target_archE942ELNS1_3gpuE9ELNS1_3repE0EEENS1_30default_config_static_selectorELNS0_4arch9wavefront6targetE0EEEvS10_.numbered_sgpr, 0
	.set _ZN7rocprim17ROCPRIM_400000_NS6detail17trampoline_kernelINS0_14default_configENS1_21merge_config_selectorINS0_5tupleIJssEEENS0_10empty_typeEEEZNS1_10merge_implIS3_NS0_12zip_iteratorINS5_IJN6thrust23THRUST_200600_302600_NS6detail15normal_iteratorINSC_10device_ptrIKsEEEESI_EEEEESK_NSA_INS5_IJNSE_INSF_IsEEEESM_EEEEEPS7_SP_SP_NSC_11hip_rocprim7__merge17predicate_wrapperIssNSC_4lessIsEEEEEE10hipError_tPvRmT0_T1_T2_T3_T4_T5_mmT6_P12ihipStream_tbEUlT_E_NS1_11comp_targetILNS1_3genE5ELNS1_11target_archE942ELNS1_3gpuE9ELNS1_3repE0EEENS1_30default_config_static_selectorELNS0_4arch9wavefront6targetE0EEEvS10_.num_named_barrier, 0
	.set _ZN7rocprim17ROCPRIM_400000_NS6detail17trampoline_kernelINS0_14default_configENS1_21merge_config_selectorINS0_5tupleIJssEEENS0_10empty_typeEEEZNS1_10merge_implIS3_NS0_12zip_iteratorINS5_IJN6thrust23THRUST_200600_302600_NS6detail15normal_iteratorINSC_10device_ptrIKsEEEESI_EEEEESK_NSA_INS5_IJNSE_INSF_IsEEEESM_EEEEEPS7_SP_SP_NSC_11hip_rocprim7__merge17predicate_wrapperIssNSC_4lessIsEEEEEE10hipError_tPvRmT0_T1_T2_T3_T4_T5_mmT6_P12ihipStream_tbEUlT_E_NS1_11comp_targetILNS1_3genE5ELNS1_11target_archE942ELNS1_3gpuE9ELNS1_3repE0EEENS1_30default_config_static_selectorELNS0_4arch9wavefront6targetE0EEEvS10_.private_seg_size, 0
	.set _ZN7rocprim17ROCPRIM_400000_NS6detail17trampoline_kernelINS0_14default_configENS1_21merge_config_selectorINS0_5tupleIJssEEENS0_10empty_typeEEEZNS1_10merge_implIS3_NS0_12zip_iteratorINS5_IJN6thrust23THRUST_200600_302600_NS6detail15normal_iteratorINSC_10device_ptrIKsEEEESI_EEEEESK_NSA_INS5_IJNSE_INSF_IsEEEESM_EEEEEPS7_SP_SP_NSC_11hip_rocprim7__merge17predicate_wrapperIssNSC_4lessIsEEEEEE10hipError_tPvRmT0_T1_T2_T3_T4_T5_mmT6_P12ihipStream_tbEUlT_E_NS1_11comp_targetILNS1_3genE5ELNS1_11target_archE942ELNS1_3gpuE9ELNS1_3repE0EEENS1_30default_config_static_selectorELNS0_4arch9wavefront6targetE0EEEvS10_.uses_vcc, 0
	.set _ZN7rocprim17ROCPRIM_400000_NS6detail17trampoline_kernelINS0_14default_configENS1_21merge_config_selectorINS0_5tupleIJssEEENS0_10empty_typeEEEZNS1_10merge_implIS3_NS0_12zip_iteratorINS5_IJN6thrust23THRUST_200600_302600_NS6detail15normal_iteratorINSC_10device_ptrIKsEEEESI_EEEEESK_NSA_INS5_IJNSE_INSF_IsEEEESM_EEEEEPS7_SP_SP_NSC_11hip_rocprim7__merge17predicate_wrapperIssNSC_4lessIsEEEEEE10hipError_tPvRmT0_T1_T2_T3_T4_T5_mmT6_P12ihipStream_tbEUlT_E_NS1_11comp_targetILNS1_3genE5ELNS1_11target_archE942ELNS1_3gpuE9ELNS1_3repE0EEENS1_30default_config_static_selectorELNS0_4arch9wavefront6targetE0EEEvS10_.uses_flat_scratch, 0
	.set _ZN7rocprim17ROCPRIM_400000_NS6detail17trampoline_kernelINS0_14default_configENS1_21merge_config_selectorINS0_5tupleIJssEEENS0_10empty_typeEEEZNS1_10merge_implIS3_NS0_12zip_iteratorINS5_IJN6thrust23THRUST_200600_302600_NS6detail15normal_iteratorINSC_10device_ptrIKsEEEESI_EEEEESK_NSA_INS5_IJNSE_INSF_IsEEEESM_EEEEEPS7_SP_SP_NSC_11hip_rocprim7__merge17predicate_wrapperIssNSC_4lessIsEEEEEE10hipError_tPvRmT0_T1_T2_T3_T4_T5_mmT6_P12ihipStream_tbEUlT_E_NS1_11comp_targetILNS1_3genE5ELNS1_11target_archE942ELNS1_3gpuE9ELNS1_3repE0EEENS1_30default_config_static_selectorELNS0_4arch9wavefront6targetE0EEEvS10_.has_dyn_sized_stack, 0
	.set _ZN7rocprim17ROCPRIM_400000_NS6detail17trampoline_kernelINS0_14default_configENS1_21merge_config_selectorINS0_5tupleIJssEEENS0_10empty_typeEEEZNS1_10merge_implIS3_NS0_12zip_iteratorINS5_IJN6thrust23THRUST_200600_302600_NS6detail15normal_iteratorINSC_10device_ptrIKsEEEESI_EEEEESK_NSA_INS5_IJNSE_INSF_IsEEEESM_EEEEEPS7_SP_SP_NSC_11hip_rocprim7__merge17predicate_wrapperIssNSC_4lessIsEEEEEE10hipError_tPvRmT0_T1_T2_T3_T4_T5_mmT6_P12ihipStream_tbEUlT_E_NS1_11comp_targetILNS1_3genE5ELNS1_11target_archE942ELNS1_3gpuE9ELNS1_3repE0EEENS1_30default_config_static_selectorELNS0_4arch9wavefront6targetE0EEEvS10_.has_recursion, 0
	.set _ZN7rocprim17ROCPRIM_400000_NS6detail17trampoline_kernelINS0_14default_configENS1_21merge_config_selectorINS0_5tupleIJssEEENS0_10empty_typeEEEZNS1_10merge_implIS3_NS0_12zip_iteratorINS5_IJN6thrust23THRUST_200600_302600_NS6detail15normal_iteratorINSC_10device_ptrIKsEEEESI_EEEEESK_NSA_INS5_IJNSE_INSF_IsEEEESM_EEEEEPS7_SP_SP_NSC_11hip_rocprim7__merge17predicate_wrapperIssNSC_4lessIsEEEEEE10hipError_tPvRmT0_T1_T2_T3_T4_T5_mmT6_P12ihipStream_tbEUlT_E_NS1_11comp_targetILNS1_3genE5ELNS1_11target_archE942ELNS1_3gpuE9ELNS1_3repE0EEENS1_30default_config_static_selectorELNS0_4arch9wavefront6targetE0EEEvS10_.has_indirect_call, 0
	.section	.AMDGPU.csdata,"",@progbits
; Kernel info:
; codeLenInByte = 0
; TotalNumSgprs: 0
; NumVgprs: 0
; ScratchSize: 0
; MemoryBound: 0
; FloatMode: 240
; IeeeMode: 1
; LDSByteSize: 0 bytes/workgroup (compile time only)
; SGPRBlocks: 0
; VGPRBlocks: 0
; NumSGPRsForWavesPerEU: 1
; NumVGPRsForWavesPerEU: 1
; Occupancy: 16
; WaveLimiterHint : 0
; COMPUTE_PGM_RSRC2:SCRATCH_EN: 0
; COMPUTE_PGM_RSRC2:USER_SGPR: 6
; COMPUTE_PGM_RSRC2:TRAP_HANDLER: 0
; COMPUTE_PGM_RSRC2:TGID_X_EN: 1
; COMPUTE_PGM_RSRC2:TGID_Y_EN: 0
; COMPUTE_PGM_RSRC2:TGID_Z_EN: 0
; COMPUTE_PGM_RSRC2:TIDIG_COMP_CNT: 0
	.section	.text._ZN7rocprim17ROCPRIM_400000_NS6detail17trampoline_kernelINS0_14default_configENS1_21merge_config_selectorINS0_5tupleIJssEEENS0_10empty_typeEEEZNS1_10merge_implIS3_NS0_12zip_iteratorINS5_IJN6thrust23THRUST_200600_302600_NS6detail15normal_iteratorINSC_10device_ptrIKsEEEESI_EEEEESK_NSA_INS5_IJNSE_INSF_IsEEEESM_EEEEEPS7_SP_SP_NSC_11hip_rocprim7__merge17predicate_wrapperIssNSC_4lessIsEEEEEE10hipError_tPvRmT0_T1_T2_T3_T4_T5_mmT6_P12ihipStream_tbEUlT_E_NS1_11comp_targetILNS1_3genE4ELNS1_11target_archE910ELNS1_3gpuE8ELNS1_3repE0EEENS1_30default_config_static_selectorELNS0_4arch9wavefront6targetE0EEEvS10_,"axG",@progbits,_ZN7rocprim17ROCPRIM_400000_NS6detail17trampoline_kernelINS0_14default_configENS1_21merge_config_selectorINS0_5tupleIJssEEENS0_10empty_typeEEEZNS1_10merge_implIS3_NS0_12zip_iteratorINS5_IJN6thrust23THRUST_200600_302600_NS6detail15normal_iteratorINSC_10device_ptrIKsEEEESI_EEEEESK_NSA_INS5_IJNSE_INSF_IsEEEESM_EEEEEPS7_SP_SP_NSC_11hip_rocprim7__merge17predicate_wrapperIssNSC_4lessIsEEEEEE10hipError_tPvRmT0_T1_T2_T3_T4_T5_mmT6_P12ihipStream_tbEUlT_E_NS1_11comp_targetILNS1_3genE4ELNS1_11target_archE910ELNS1_3gpuE8ELNS1_3repE0EEENS1_30default_config_static_selectorELNS0_4arch9wavefront6targetE0EEEvS10_,comdat
	.protected	_ZN7rocprim17ROCPRIM_400000_NS6detail17trampoline_kernelINS0_14default_configENS1_21merge_config_selectorINS0_5tupleIJssEEENS0_10empty_typeEEEZNS1_10merge_implIS3_NS0_12zip_iteratorINS5_IJN6thrust23THRUST_200600_302600_NS6detail15normal_iteratorINSC_10device_ptrIKsEEEESI_EEEEESK_NSA_INS5_IJNSE_INSF_IsEEEESM_EEEEEPS7_SP_SP_NSC_11hip_rocprim7__merge17predicate_wrapperIssNSC_4lessIsEEEEEE10hipError_tPvRmT0_T1_T2_T3_T4_T5_mmT6_P12ihipStream_tbEUlT_E_NS1_11comp_targetILNS1_3genE4ELNS1_11target_archE910ELNS1_3gpuE8ELNS1_3repE0EEENS1_30default_config_static_selectorELNS0_4arch9wavefront6targetE0EEEvS10_ ; -- Begin function _ZN7rocprim17ROCPRIM_400000_NS6detail17trampoline_kernelINS0_14default_configENS1_21merge_config_selectorINS0_5tupleIJssEEENS0_10empty_typeEEEZNS1_10merge_implIS3_NS0_12zip_iteratorINS5_IJN6thrust23THRUST_200600_302600_NS6detail15normal_iteratorINSC_10device_ptrIKsEEEESI_EEEEESK_NSA_INS5_IJNSE_INSF_IsEEEESM_EEEEEPS7_SP_SP_NSC_11hip_rocprim7__merge17predicate_wrapperIssNSC_4lessIsEEEEEE10hipError_tPvRmT0_T1_T2_T3_T4_T5_mmT6_P12ihipStream_tbEUlT_E_NS1_11comp_targetILNS1_3genE4ELNS1_11target_archE910ELNS1_3gpuE8ELNS1_3repE0EEENS1_30default_config_static_selectorELNS0_4arch9wavefront6targetE0EEEvS10_
	.globl	_ZN7rocprim17ROCPRIM_400000_NS6detail17trampoline_kernelINS0_14default_configENS1_21merge_config_selectorINS0_5tupleIJssEEENS0_10empty_typeEEEZNS1_10merge_implIS3_NS0_12zip_iteratorINS5_IJN6thrust23THRUST_200600_302600_NS6detail15normal_iteratorINSC_10device_ptrIKsEEEESI_EEEEESK_NSA_INS5_IJNSE_INSF_IsEEEESM_EEEEEPS7_SP_SP_NSC_11hip_rocprim7__merge17predicate_wrapperIssNSC_4lessIsEEEEEE10hipError_tPvRmT0_T1_T2_T3_T4_T5_mmT6_P12ihipStream_tbEUlT_E_NS1_11comp_targetILNS1_3genE4ELNS1_11target_archE910ELNS1_3gpuE8ELNS1_3repE0EEENS1_30default_config_static_selectorELNS0_4arch9wavefront6targetE0EEEvS10_
	.p2align	8
	.type	_ZN7rocprim17ROCPRIM_400000_NS6detail17trampoline_kernelINS0_14default_configENS1_21merge_config_selectorINS0_5tupleIJssEEENS0_10empty_typeEEEZNS1_10merge_implIS3_NS0_12zip_iteratorINS5_IJN6thrust23THRUST_200600_302600_NS6detail15normal_iteratorINSC_10device_ptrIKsEEEESI_EEEEESK_NSA_INS5_IJNSE_INSF_IsEEEESM_EEEEEPS7_SP_SP_NSC_11hip_rocprim7__merge17predicate_wrapperIssNSC_4lessIsEEEEEE10hipError_tPvRmT0_T1_T2_T3_T4_T5_mmT6_P12ihipStream_tbEUlT_E_NS1_11comp_targetILNS1_3genE4ELNS1_11target_archE910ELNS1_3gpuE8ELNS1_3repE0EEENS1_30default_config_static_selectorELNS0_4arch9wavefront6targetE0EEEvS10_,@function
_ZN7rocprim17ROCPRIM_400000_NS6detail17trampoline_kernelINS0_14default_configENS1_21merge_config_selectorINS0_5tupleIJssEEENS0_10empty_typeEEEZNS1_10merge_implIS3_NS0_12zip_iteratorINS5_IJN6thrust23THRUST_200600_302600_NS6detail15normal_iteratorINSC_10device_ptrIKsEEEESI_EEEEESK_NSA_INS5_IJNSE_INSF_IsEEEESM_EEEEEPS7_SP_SP_NSC_11hip_rocprim7__merge17predicate_wrapperIssNSC_4lessIsEEEEEE10hipError_tPvRmT0_T1_T2_T3_T4_T5_mmT6_P12ihipStream_tbEUlT_E_NS1_11comp_targetILNS1_3genE4ELNS1_11target_archE910ELNS1_3gpuE8ELNS1_3repE0EEENS1_30default_config_static_selectorELNS0_4arch9wavefront6targetE0EEEvS10_: ; @_ZN7rocprim17ROCPRIM_400000_NS6detail17trampoline_kernelINS0_14default_configENS1_21merge_config_selectorINS0_5tupleIJssEEENS0_10empty_typeEEEZNS1_10merge_implIS3_NS0_12zip_iteratorINS5_IJN6thrust23THRUST_200600_302600_NS6detail15normal_iteratorINSC_10device_ptrIKsEEEESI_EEEEESK_NSA_INS5_IJNSE_INSF_IsEEEESM_EEEEEPS7_SP_SP_NSC_11hip_rocprim7__merge17predicate_wrapperIssNSC_4lessIsEEEEEE10hipError_tPvRmT0_T1_T2_T3_T4_T5_mmT6_P12ihipStream_tbEUlT_E_NS1_11comp_targetILNS1_3genE4ELNS1_11target_archE910ELNS1_3gpuE8ELNS1_3repE0EEENS1_30default_config_static_selectorELNS0_4arch9wavefront6targetE0EEEvS10_
; %bb.0:
	.section	.rodata,"a",@progbits
	.p2align	6, 0x0
	.amdhsa_kernel _ZN7rocprim17ROCPRIM_400000_NS6detail17trampoline_kernelINS0_14default_configENS1_21merge_config_selectorINS0_5tupleIJssEEENS0_10empty_typeEEEZNS1_10merge_implIS3_NS0_12zip_iteratorINS5_IJN6thrust23THRUST_200600_302600_NS6detail15normal_iteratorINSC_10device_ptrIKsEEEESI_EEEEESK_NSA_INS5_IJNSE_INSF_IsEEEESM_EEEEEPS7_SP_SP_NSC_11hip_rocprim7__merge17predicate_wrapperIssNSC_4lessIsEEEEEE10hipError_tPvRmT0_T1_T2_T3_T4_T5_mmT6_P12ihipStream_tbEUlT_E_NS1_11comp_targetILNS1_3genE4ELNS1_11target_archE910ELNS1_3gpuE8ELNS1_3repE0EEENS1_30default_config_static_selectorELNS0_4arch9wavefront6targetE0EEEvS10_
		.amdhsa_group_segment_fixed_size 0
		.amdhsa_private_segment_fixed_size 0
		.amdhsa_kernarg_size 64
		.amdhsa_user_sgpr_count 6
		.amdhsa_user_sgpr_private_segment_buffer 1
		.amdhsa_user_sgpr_dispatch_ptr 0
		.amdhsa_user_sgpr_queue_ptr 0
		.amdhsa_user_sgpr_kernarg_segment_ptr 1
		.amdhsa_user_sgpr_dispatch_id 0
		.amdhsa_user_sgpr_flat_scratch_init 0
		.amdhsa_user_sgpr_private_segment_size 0
		.amdhsa_wavefront_size32 1
		.amdhsa_uses_dynamic_stack 0
		.amdhsa_system_sgpr_private_segment_wavefront_offset 0
		.amdhsa_system_sgpr_workgroup_id_x 1
		.amdhsa_system_sgpr_workgroup_id_y 0
		.amdhsa_system_sgpr_workgroup_id_z 0
		.amdhsa_system_sgpr_workgroup_info 0
		.amdhsa_system_vgpr_workitem_id 0
		.amdhsa_next_free_vgpr 1
		.amdhsa_next_free_sgpr 1
		.amdhsa_reserve_vcc 0
		.amdhsa_reserve_flat_scratch 0
		.amdhsa_float_round_mode_32 0
		.amdhsa_float_round_mode_16_64 0
		.amdhsa_float_denorm_mode_32 3
		.amdhsa_float_denorm_mode_16_64 3
		.amdhsa_dx10_clamp 1
		.amdhsa_ieee_mode 1
		.amdhsa_fp16_overflow 0
		.amdhsa_workgroup_processor_mode 1
		.amdhsa_memory_ordered 1
		.amdhsa_forward_progress 1
		.amdhsa_shared_vgpr_count 0
		.amdhsa_exception_fp_ieee_invalid_op 0
		.amdhsa_exception_fp_denorm_src 0
		.amdhsa_exception_fp_ieee_div_zero 0
		.amdhsa_exception_fp_ieee_overflow 0
		.amdhsa_exception_fp_ieee_underflow 0
		.amdhsa_exception_fp_ieee_inexact 0
		.amdhsa_exception_int_div_zero 0
	.end_amdhsa_kernel
	.section	.text._ZN7rocprim17ROCPRIM_400000_NS6detail17trampoline_kernelINS0_14default_configENS1_21merge_config_selectorINS0_5tupleIJssEEENS0_10empty_typeEEEZNS1_10merge_implIS3_NS0_12zip_iteratorINS5_IJN6thrust23THRUST_200600_302600_NS6detail15normal_iteratorINSC_10device_ptrIKsEEEESI_EEEEESK_NSA_INS5_IJNSE_INSF_IsEEEESM_EEEEEPS7_SP_SP_NSC_11hip_rocprim7__merge17predicate_wrapperIssNSC_4lessIsEEEEEE10hipError_tPvRmT0_T1_T2_T3_T4_T5_mmT6_P12ihipStream_tbEUlT_E_NS1_11comp_targetILNS1_3genE4ELNS1_11target_archE910ELNS1_3gpuE8ELNS1_3repE0EEENS1_30default_config_static_selectorELNS0_4arch9wavefront6targetE0EEEvS10_,"axG",@progbits,_ZN7rocprim17ROCPRIM_400000_NS6detail17trampoline_kernelINS0_14default_configENS1_21merge_config_selectorINS0_5tupleIJssEEENS0_10empty_typeEEEZNS1_10merge_implIS3_NS0_12zip_iteratorINS5_IJN6thrust23THRUST_200600_302600_NS6detail15normal_iteratorINSC_10device_ptrIKsEEEESI_EEEEESK_NSA_INS5_IJNSE_INSF_IsEEEESM_EEEEEPS7_SP_SP_NSC_11hip_rocprim7__merge17predicate_wrapperIssNSC_4lessIsEEEEEE10hipError_tPvRmT0_T1_T2_T3_T4_T5_mmT6_P12ihipStream_tbEUlT_E_NS1_11comp_targetILNS1_3genE4ELNS1_11target_archE910ELNS1_3gpuE8ELNS1_3repE0EEENS1_30default_config_static_selectorELNS0_4arch9wavefront6targetE0EEEvS10_,comdat
.Lfunc_end282:
	.size	_ZN7rocprim17ROCPRIM_400000_NS6detail17trampoline_kernelINS0_14default_configENS1_21merge_config_selectorINS0_5tupleIJssEEENS0_10empty_typeEEEZNS1_10merge_implIS3_NS0_12zip_iteratorINS5_IJN6thrust23THRUST_200600_302600_NS6detail15normal_iteratorINSC_10device_ptrIKsEEEESI_EEEEESK_NSA_INS5_IJNSE_INSF_IsEEEESM_EEEEEPS7_SP_SP_NSC_11hip_rocprim7__merge17predicate_wrapperIssNSC_4lessIsEEEEEE10hipError_tPvRmT0_T1_T2_T3_T4_T5_mmT6_P12ihipStream_tbEUlT_E_NS1_11comp_targetILNS1_3genE4ELNS1_11target_archE910ELNS1_3gpuE8ELNS1_3repE0EEENS1_30default_config_static_selectorELNS0_4arch9wavefront6targetE0EEEvS10_, .Lfunc_end282-_ZN7rocprim17ROCPRIM_400000_NS6detail17trampoline_kernelINS0_14default_configENS1_21merge_config_selectorINS0_5tupleIJssEEENS0_10empty_typeEEEZNS1_10merge_implIS3_NS0_12zip_iteratorINS5_IJN6thrust23THRUST_200600_302600_NS6detail15normal_iteratorINSC_10device_ptrIKsEEEESI_EEEEESK_NSA_INS5_IJNSE_INSF_IsEEEESM_EEEEEPS7_SP_SP_NSC_11hip_rocprim7__merge17predicate_wrapperIssNSC_4lessIsEEEEEE10hipError_tPvRmT0_T1_T2_T3_T4_T5_mmT6_P12ihipStream_tbEUlT_E_NS1_11comp_targetILNS1_3genE4ELNS1_11target_archE910ELNS1_3gpuE8ELNS1_3repE0EEENS1_30default_config_static_selectorELNS0_4arch9wavefront6targetE0EEEvS10_
                                        ; -- End function
	.set _ZN7rocprim17ROCPRIM_400000_NS6detail17trampoline_kernelINS0_14default_configENS1_21merge_config_selectorINS0_5tupleIJssEEENS0_10empty_typeEEEZNS1_10merge_implIS3_NS0_12zip_iteratorINS5_IJN6thrust23THRUST_200600_302600_NS6detail15normal_iteratorINSC_10device_ptrIKsEEEESI_EEEEESK_NSA_INS5_IJNSE_INSF_IsEEEESM_EEEEEPS7_SP_SP_NSC_11hip_rocprim7__merge17predicate_wrapperIssNSC_4lessIsEEEEEE10hipError_tPvRmT0_T1_T2_T3_T4_T5_mmT6_P12ihipStream_tbEUlT_E_NS1_11comp_targetILNS1_3genE4ELNS1_11target_archE910ELNS1_3gpuE8ELNS1_3repE0EEENS1_30default_config_static_selectorELNS0_4arch9wavefront6targetE0EEEvS10_.num_vgpr, 0
	.set _ZN7rocprim17ROCPRIM_400000_NS6detail17trampoline_kernelINS0_14default_configENS1_21merge_config_selectorINS0_5tupleIJssEEENS0_10empty_typeEEEZNS1_10merge_implIS3_NS0_12zip_iteratorINS5_IJN6thrust23THRUST_200600_302600_NS6detail15normal_iteratorINSC_10device_ptrIKsEEEESI_EEEEESK_NSA_INS5_IJNSE_INSF_IsEEEESM_EEEEEPS7_SP_SP_NSC_11hip_rocprim7__merge17predicate_wrapperIssNSC_4lessIsEEEEEE10hipError_tPvRmT0_T1_T2_T3_T4_T5_mmT6_P12ihipStream_tbEUlT_E_NS1_11comp_targetILNS1_3genE4ELNS1_11target_archE910ELNS1_3gpuE8ELNS1_3repE0EEENS1_30default_config_static_selectorELNS0_4arch9wavefront6targetE0EEEvS10_.num_agpr, 0
	.set _ZN7rocprim17ROCPRIM_400000_NS6detail17trampoline_kernelINS0_14default_configENS1_21merge_config_selectorINS0_5tupleIJssEEENS0_10empty_typeEEEZNS1_10merge_implIS3_NS0_12zip_iteratorINS5_IJN6thrust23THRUST_200600_302600_NS6detail15normal_iteratorINSC_10device_ptrIKsEEEESI_EEEEESK_NSA_INS5_IJNSE_INSF_IsEEEESM_EEEEEPS7_SP_SP_NSC_11hip_rocprim7__merge17predicate_wrapperIssNSC_4lessIsEEEEEE10hipError_tPvRmT0_T1_T2_T3_T4_T5_mmT6_P12ihipStream_tbEUlT_E_NS1_11comp_targetILNS1_3genE4ELNS1_11target_archE910ELNS1_3gpuE8ELNS1_3repE0EEENS1_30default_config_static_selectorELNS0_4arch9wavefront6targetE0EEEvS10_.numbered_sgpr, 0
	.set _ZN7rocprim17ROCPRIM_400000_NS6detail17trampoline_kernelINS0_14default_configENS1_21merge_config_selectorINS0_5tupleIJssEEENS0_10empty_typeEEEZNS1_10merge_implIS3_NS0_12zip_iteratorINS5_IJN6thrust23THRUST_200600_302600_NS6detail15normal_iteratorINSC_10device_ptrIKsEEEESI_EEEEESK_NSA_INS5_IJNSE_INSF_IsEEEESM_EEEEEPS7_SP_SP_NSC_11hip_rocprim7__merge17predicate_wrapperIssNSC_4lessIsEEEEEE10hipError_tPvRmT0_T1_T2_T3_T4_T5_mmT6_P12ihipStream_tbEUlT_E_NS1_11comp_targetILNS1_3genE4ELNS1_11target_archE910ELNS1_3gpuE8ELNS1_3repE0EEENS1_30default_config_static_selectorELNS0_4arch9wavefront6targetE0EEEvS10_.num_named_barrier, 0
	.set _ZN7rocprim17ROCPRIM_400000_NS6detail17trampoline_kernelINS0_14default_configENS1_21merge_config_selectorINS0_5tupleIJssEEENS0_10empty_typeEEEZNS1_10merge_implIS3_NS0_12zip_iteratorINS5_IJN6thrust23THRUST_200600_302600_NS6detail15normal_iteratorINSC_10device_ptrIKsEEEESI_EEEEESK_NSA_INS5_IJNSE_INSF_IsEEEESM_EEEEEPS7_SP_SP_NSC_11hip_rocprim7__merge17predicate_wrapperIssNSC_4lessIsEEEEEE10hipError_tPvRmT0_T1_T2_T3_T4_T5_mmT6_P12ihipStream_tbEUlT_E_NS1_11comp_targetILNS1_3genE4ELNS1_11target_archE910ELNS1_3gpuE8ELNS1_3repE0EEENS1_30default_config_static_selectorELNS0_4arch9wavefront6targetE0EEEvS10_.private_seg_size, 0
	.set _ZN7rocprim17ROCPRIM_400000_NS6detail17trampoline_kernelINS0_14default_configENS1_21merge_config_selectorINS0_5tupleIJssEEENS0_10empty_typeEEEZNS1_10merge_implIS3_NS0_12zip_iteratorINS5_IJN6thrust23THRUST_200600_302600_NS6detail15normal_iteratorINSC_10device_ptrIKsEEEESI_EEEEESK_NSA_INS5_IJNSE_INSF_IsEEEESM_EEEEEPS7_SP_SP_NSC_11hip_rocprim7__merge17predicate_wrapperIssNSC_4lessIsEEEEEE10hipError_tPvRmT0_T1_T2_T3_T4_T5_mmT6_P12ihipStream_tbEUlT_E_NS1_11comp_targetILNS1_3genE4ELNS1_11target_archE910ELNS1_3gpuE8ELNS1_3repE0EEENS1_30default_config_static_selectorELNS0_4arch9wavefront6targetE0EEEvS10_.uses_vcc, 0
	.set _ZN7rocprim17ROCPRIM_400000_NS6detail17trampoline_kernelINS0_14default_configENS1_21merge_config_selectorINS0_5tupleIJssEEENS0_10empty_typeEEEZNS1_10merge_implIS3_NS0_12zip_iteratorINS5_IJN6thrust23THRUST_200600_302600_NS6detail15normal_iteratorINSC_10device_ptrIKsEEEESI_EEEEESK_NSA_INS5_IJNSE_INSF_IsEEEESM_EEEEEPS7_SP_SP_NSC_11hip_rocprim7__merge17predicate_wrapperIssNSC_4lessIsEEEEEE10hipError_tPvRmT0_T1_T2_T3_T4_T5_mmT6_P12ihipStream_tbEUlT_E_NS1_11comp_targetILNS1_3genE4ELNS1_11target_archE910ELNS1_3gpuE8ELNS1_3repE0EEENS1_30default_config_static_selectorELNS0_4arch9wavefront6targetE0EEEvS10_.uses_flat_scratch, 0
	.set _ZN7rocprim17ROCPRIM_400000_NS6detail17trampoline_kernelINS0_14default_configENS1_21merge_config_selectorINS0_5tupleIJssEEENS0_10empty_typeEEEZNS1_10merge_implIS3_NS0_12zip_iteratorINS5_IJN6thrust23THRUST_200600_302600_NS6detail15normal_iteratorINSC_10device_ptrIKsEEEESI_EEEEESK_NSA_INS5_IJNSE_INSF_IsEEEESM_EEEEEPS7_SP_SP_NSC_11hip_rocprim7__merge17predicate_wrapperIssNSC_4lessIsEEEEEE10hipError_tPvRmT0_T1_T2_T3_T4_T5_mmT6_P12ihipStream_tbEUlT_E_NS1_11comp_targetILNS1_3genE4ELNS1_11target_archE910ELNS1_3gpuE8ELNS1_3repE0EEENS1_30default_config_static_selectorELNS0_4arch9wavefront6targetE0EEEvS10_.has_dyn_sized_stack, 0
	.set _ZN7rocprim17ROCPRIM_400000_NS6detail17trampoline_kernelINS0_14default_configENS1_21merge_config_selectorINS0_5tupleIJssEEENS0_10empty_typeEEEZNS1_10merge_implIS3_NS0_12zip_iteratorINS5_IJN6thrust23THRUST_200600_302600_NS6detail15normal_iteratorINSC_10device_ptrIKsEEEESI_EEEEESK_NSA_INS5_IJNSE_INSF_IsEEEESM_EEEEEPS7_SP_SP_NSC_11hip_rocprim7__merge17predicate_wrapperIssNSC_4lessIsEEEEEE10hipError_tPvRmT0_T1_T2_T3_T4_T5_mmT6_P12ihipStream_tbEUlT_E_NS1_11comp_targetILNS1_3genE4ELNS1_11target_archE910ELNS1_3gpuE8ELNS1_3repE0EEENS1_30default_config_static_selectorELNS0_4arch9wavefront6targetE0EEEvS10_.has_recursion, 0
	.set _ZN7rocprim17ROCPRIM_400000_NS6detail17trampoline_kernelINS0_14default_configENS1_21merge_config_selectorINS0_5tupleIJssEEENS0_10empty_typeEEEZNS1_10merge_implIS3_NS0_12zip_iteratorINS5_IJN6thrust23THRUST_200600_302600_NS6detail15normal_iteratorINSC_10device_ptrIKsEEEESI_EEEEESK_NSA_INS5_IJNSE_INSF_IsEEEESM_EEEEEPS7_SP_SP_NSC_11hip_rocprim7__merge17predicate_wrapperIssNSC_4lessIsEEEEEE10hipError_tPvRmT0_T1_T2_T3_T4_T5_mmT6_P12ihipStream_tbEUlT_E_NS1_11comp_targetILNS1_3genE4ELNS1_11target_archE910ELNS1_3gpuE8ELNS1_3repE0EEENS1_30default_config_static_selectorELNS0_4arch9wavefront6targetE0EEEvS10_.has_indirect_call, 0
	.section	.AMDGPU.csdata,"",@progbits
; Kernel info:
; codeLenInByte = 0
; TotalNumSgprs: 0
; NumVgprs: 0
; ScratchSize: 0
; MemoryBound: 0
; FloatMode: 240
; IeeeMode: 1
; LDSByteSize: 0 bytes/workgroup (compile time only)
; SGPRBlocks: 0
; VGPRBlocks: 0
; NumSGPRsForWavesPerEU: 1
; NumVGPRsForWavesPerEU: 1
; Occupancy: 16
; WaveLimiterHint : 0
; COMPUTE_PGM_RSRC2:SCRATCH_EN: 0
; COMPUTE_PGM_RSRC2:USER_SGPR: 6
; COMPUTE_PGM_RSRC2:TRAP_HANDLER: 0
; COMPUTE_PGM_RSRC2:TGID_X_EN: 1
; COMPUTE_PGM_RSRC2:TGID_Y_EN: 0
; COMPUTE_PGM_RSRC2:TGID_Z_EN: 0
; COMPUTE_PGM_RSRC2:TIDIG_COMP_CNT: 0
	.section	.text._ZN7rocprim17ROCPRIM_400000_NS6detail17trampoline_kernelINS0_14default_configENS1_21merge_config_selectorINS0_5tupleIJssEEENS0_10empty_typeEEEZNS1_10merge_implIS3_NS0_12zip_iteratorINS5_IJN6thrust23THRUST_200600_302600_NS6detail15normal_iteratorINSC_10device_ptrIKsEEEESI_EEEEESK_NSA_INS5_IJNSE_INSF_IsEEEESM_EEEEEPS7_SP_SP_NSC_11hip_rocprim7__merge17predicate_wrapperIssNSC_4lessIsEEEEEE10hipError_tPvRmT0_T1_T2_T3_T4_T5_mmT6_P12ihipStream_tbEUlT_E_NS1_11comp_targetILNS1_3genE3ELNS1_11target_archE908ELNS1_3gpuE7ELNS1_3repE0EEENS1_30default_config_static_selectorELNS0_4arch9wavefront6targetE0EEEvS10_,"axG",@progbits,_ZN7rocprim17ROCPRIM_400000_NS6detail17trampoline_kernelINS0_14default_configENS1_21merge_config_selectorINS0_5tupleIJssEEENS0_10empty_typeEEEZNS1_10merge_implIS3_NS0_12zip_iteratorINS5_IJN6thrust23THRUST_200600_302600_NS6detail15normal_iteratorINSC_10device_ptrIKsEEEESI_EEEEESK_NSA_INS5_IJNSE_INSF_IsEEEESM_EEEEEPS7_SP_SP_NSC_11hip_rocprim7__merge17predicate_wrapperIssNSC_4lessIsEEEEEE10hipError_tPvRmT0_T1_T2_T3_T4_T5_mmT6_P12ihipStream_tbEUlT_E_NS1_11comp_targetILNS1_3genE3ELNS1_11target_archE908ELNS1_3gpuE7ELNS1_3repE0EEENS1_30default_config_static_selectorELNS0_4arch9wavefront6targetE0EEEvS10_,comdat
	.protected	_ZN7rocprim17ROCPRIM_400000_NS6detail17trampoline_kernelINS0_14default_configENS1_21merge_config_selectorINS0_5tupleIJssEEENS0_10empty_typeEEEZNS1_10merge_implIS3_NS0_12zip_iteratorINS5_IJN6thrust23THRUST_200600_302600_NS6detail15normal_iteratorINSC_10device_ptrIKsEEEESI_EEEEESK_NSA_INS5_IJNSE_INSF_IsEEEESM_EEEEEPS7_SP_SP_NSC_11hip_rocprim7__merge17predicate_wrapperIssNSC_4lessIsEEEEEE10hipError_tPvRmT0_T1_T2_T3_T4_T5_mmT6_P12ihipStream_tbEUlT_E_NS1_11comp_targetILNS1_3genE3ELNS1_11target_archE908ELNS1_3gpuE7ELNS1_3repE0EEENS1_30default_config_static_selectorELNS0_4arch9wavefront6targetE0EEEvS10_ ; -- Begin function _ZN7rocprim17ROCPRIM_400000_NS6detail17trampoline_kernelINS0_14default_configENS1_21merge_config_selectorINS0_5tupleIJssEEENS0_10empty_typeEEEZNS1_10merge_implIS3_NS0_12zip_iteratorINS5_IJN6thrust23THRUST_200600_302600_NS6detail15normal_iteratorINSC_10device_ptrIKsEEEESI_EEEEESK_NSA_INS5_IJNSE_INSF_IsEEEESM_EEEEEPS7_SP_SP_NSC_11hip_rocprim7__merge17predicate_wrapperIssNSC_4lessIsEEEEEE10hipError_tPvRmT0_T1_T2_T3_T4_T5_mmT6_P12ihipStream_tbEUlT_E_NS1_11comp_targetILNS1_3genE3ELNS1_11target_archE908ELNS1_3gpuE7ELNS1_3repE0EEENS1_30default_config_static_selectorELNS0_4arch9wavefront6targetE0EEEvS10_
	.globl	_ZN7rocprim17ROCPRIM_400000_NS6detail17trampoline_kernelINS0_14default_configENS1_21merge_config_selectorINS0_5tupleIJssEEENS0_10empty_typeEEEZNS1_10merge_implIS3_NS0_12zip_iteratorINS5_IJN6thrust23THRUST_200600_302600_NS6detail15normal_iteratorINSC_10device_ptrIKsEEEESI_EEEEESK_NSA_INS5_IJNSE_INSF_IsEEEESM_EEEEEPS7_SP_SP_NSC_11hip_rocprim7__merge17predicate_wrapperIssNSC_4lessIsEEEEEE10hipError_tPvRmT0_T1_T2_T3_T4_T5_mmT6_P12ihipStream_tbEUlT_E_NS1_11comp_targetILNS1_3genE3ELNS1_11target_archE908ELNS1_3gpuE7ELNS1_3repE0EEENS1_30default_config_static_selectorELNS0_4arch9wavefront6targetE0EEEvS10_
	.p2align	8
	.type	_ZN7rocprim17ROCPRIM_400000_NS6detail17trampoline_kernelINS0_14default_configENS1_21merge_config_selectorINS0_5tupleIJssEEENS0_10empty_typeEEEZNS1_10merge_implIS3_NS0_12zip_iteratorINS5_IJN6thrust23THRUST_200600_302600_NS6detail15normal_iteratorINSC_10device_ptrIKsEEEESI_EEEEESK_NSA_INS5_IJNSE_INSF_IsEEEESM_EEEEEPS7_SP_SP_NSC_11hip_rocprim7__merge17predicate_wrapperIssNSC_4lessIsEEEEEE10hipError_tPvRmT0_T1_T2_T3_T4_T5_mmT6_P12ihipStream_tbEUlT_E_NS1_11comp_targetILNS1_3genE3ELNS1_11target_archE908ELNS1_3gpuE7ELNS1_3repE0EEENS1_30default_config_static_selectorELNS0_4arch9wavefront6targetE0EEEvS10_,@function
_ZN7rocprim17ROCPRIM_400000_NS6detail17trampoline_kernelINS0_14default_configENS1_21merge_config_selectorINS0_5tupleIJssEEENS0_10empty_typeEEEZNS1_10merge_implIS3_NS0_12zip_iteratorINS5_IJN6thrust23THRUST_200600_302600_NS6detail15normal_iteratorINSC_10device_ptrIKsEEEESI_EEEEESK_NSA_INS5_IJNSE_INSF_IsEEEESM_EEEEEPS7_SP_SP_NSC_11hip_rocprim7__merge17predicate_wrapperIssNSC_4lessIsEEEEEE10hipError_tPvRmT0_T1_T2_T3_T4_T5_mmT6_P12ihipStream_tbEUlT_E_NS1_11comp_targetILNS1_3genE3ELNS1_11target_archE908ELNS1_3gpuE7ELNS1_3repE0EEENS1_30default_config_static_selectorELNS0_4arch9wavefront6targetE0EEEvS10_: ; @_ZN7rocprim17ROCPRIM_400000_NS6detail17trampoline_kernelINS0_14default_configENS1_21merge_config_selectorINS0_5tupleIJssEEENS0_10empty_typeEEEZNS1_10merge_implIS3_NS0_12zip_iteratorINS5_IJN6thrust23THRUST_200600_302600_NS6detail15normal_iteratorINSC_10device_ptrIKsEEEESI_EEEEESK_NSA_INS5_IJNSE_INSF_IsEEEESM_EEEEEPS7_SP_SP_NSC_11hip_rocprim7__merge17predicate_wrapperIssNSC_4lessIsEEEEEE10hipError_tPvRmT0_T1_T2_T3_T4_T5_mmT6_P12ihipStream_tbEUlT_E_NS1_11comp_targetILNS1_3genE3ELNS1_11target_archE908ELNS1_3gpuE7ELNS1_3repE0EEENS1_30default_config_static_selectorELNS0_4arch9wavefront6targetE0EEEvS10_
; %bb.0:
	.section	.rodata,"a",@progbits
	.p2align	6, 0x0
	.amdhsa_kernel _ZN7rocprim17ROCPRIM_400000_NS6detail17trampoline_kernelINS0_14default_configENS1_21merge_config_selectorINS0_5tupleIJssEEENS0_10empty_typeEEEZNS1_10merge_implIS3_NS0_12zip_iteratorINS5_IJN6thrust23THRUST_200600_302600_NS6detail15normal_iteratorINSC_10device_ptrIKsEEEESI_EEEEESK_NSA_INS5_IJNSE_INSF_IsEEEESM_EEEEEPS7_SP_SP_NSC_11hip_rocprim7__merge17predicate_wrapperIssNSC_4lessIsEEEEEE10hipError_tPvRmT0_T1_T2_T3_T4_T5_mmT6_P12ihipStream_tbEUlT_E_NS1_11comp_targetILNS1_3genE3ELNS1_11target_archE908ELNS1_3gpuE7ELNS1_3repE0EEENS1_30default_config_static_selectorELNS0_4arch9wavefront6targetE0EEEvS10_
		.amdhsa_group_segment_fixed_size 0
		.amdhsa_private_segment_fixed_size 0
		.amdhsa_kernarg_size 64
		.amdhsa_user_sgpr_count 6
		.amdhsa_user_sgpr_private_segment_buffer 1
		.amdhsa_user_sgpr_dispatch_ptr 0
		.amdhsa_user_sgpr_queue_ptr 0
		.amdhsa_user_sgpr_kernarg_segment_ptr 1
		.amdhsa_user_sgpr_dispatch_id 0
		.amdhsa_user_sgpr_flat_scratch_init 0
		.amdhsa_user_sgpr_private_segment_size 0
		.amdhsa_wavefront_size32 1
		.amdhsa_uses_dynamic_stack 0
		.amdhsa_system_sgpr_private_segment_wavefront_offset 0
		.amdhsa_system_sgpr_workgroup_id_x 1
		.amdhsa_system_sgpr_workgroup_id_y 0
		.amdhsa_system_sgpr_workgroup_id_z 0
		.amdhsa_system_sgpr_workgroup_info 0
		.amdhsa_system_vgpr_workitem_id 0
		.amdhsa_next_free_vgpr 1
		.amdhsa_next_free_sgpr 1
		.amdhsa_reserve_vcc 0
		.amdhsa_reserve_flat_scratch 0
		.amdhsa_float_round_mode_32 0
		.amdhsa_float_round_mode_16_64 0
		.amdhsa_float_denorm_mode_32 3
		.amdhsa_float_denorm_mode_16_64 3
		.amdhsa_dx10_clamp 1
		.amdhsa_ieee_mode 1
		.amdhsa_fp16_overflow 0
		.amdhsa_workgroup_processor_mode 1
		.amdhsa_memory_ordered 1
		.amdhsa_forward_progress 1
		.amdhsa_shared_vgpr_count 0
		.amdhsa_exception_fp_ieee_invalid_op 0
		.amdhsa_exception_fp_denorm_src 0
		.amdhsa_exception_fp_ieee_div_zero 0
		.amdhsa_exception_fp_ieee_overflow 0
		.amdhsa_exception_fp_ieee_underflow 0
		.amdhsa_exception_fp_ieee_inexact 0
		.amdhsa_exception_int_div_zero 0
	.end_amdhsa_kernel
	.section	.text._ZN7rocprim17ROCPRIM_400000_NS6detail17trampoline_kernelINS0_14default_configENS1_21merge_config_selectorINS0_5tupleIJssEEENS0_10empty_typeEEEZNS1_10merge_implIS3_NS0_12zip_iteratorINS5_IJN6thrust23THRUST_200600_302600_NS6detail15normal_iteratorINSC_10device_ptrIKsEEEESI_EEEEESK_NSA_INS5_IJNSE_INSF_IsEEEESM_EEEEEPS7_SP_SP_NSC_11hip_rocprim7__merge17predicate_wrapperIssNSC_4lessIsEEEEEE10hipError_tPvRmT0_T1_T2_T3_T4_T5_mmT6_P12ihipStream_tbEUlT_E_NS1_11comp_targetILNS1_3genE3ELNS1_11target_archE908ELNS1_3gpuE7ELNS1_3repE0EEENS1_30default_config_static_selectorELNS0_4arch9wavefront6targetE0EEEvS10_,"axG",@progbits,_ZN7rocprim17ROCPRIM_400000_NS6detail17trampoline_kernelINS0_14default_configENS1_21merge_config_selectorINS0_5tupleIJssEEENS0_10empty_typeEEEZNS1_10merge_implIS3_NS0_12zip_iteratorINS5_IJN6thrust23THRUST_200600_302600_NS6detail15normal_iteratorINSC_10device_ptrIKsEEEESI_EEEEESK_NSA_INS5_IJNSE_INSF_IsEEEESM_EEEEEPS7_SP_SP_NSC_11hip_rocprim7__merge17predicate_wrapperIssNSC_4lessIsEEEEEE10hipError_tPvRmT0_T1_T2_T3_T4_T5_mmT6_P12ihipStream_tbEUlT_E_NS1_11comp_targetILNS1_3genE3ELNS1_11target_archE908ELNS1_3gpuE7ELNS1_3repE0EEENS1_30default_config_static_selectorELNS0_4arch9wavefront6targetE0EEEvS10_,comdat
.Lfunc_end283:
	.size	_ZN7rocprim17ROCPRIM_400000_NS6detail17trampoline_kernelINS0_14default_configENS1_21merge_config_selectorINS0_5tupleIJssEEENS0_10empty_typeEEEZNS1_10merge_implIS3_NS0_12zip_iteratorINS5_IJN6thrust23THRUST_200600_302600_NS6detail15normal_iteratorINSC_10device_ptrIKsEEEESI_EEEEESK_NSA_INS5_IJNSE_INSF_IsEEEESM_EEEEEPS7_SP_SP_NSC_11hip_rocprim7__merge17predicate_wrapperIssNSC_4lessIsEEEEEE10hipError_tPvRmT0_T1_T2_T3_T4_T5_mmT6_P12ihipStream_tbEUlT_E_NS1_11comp_targetILNS1_3genE3ELNS1_11target_archE908ELNS1_3gpuE7ELNS1_3repE0EEENS1_30default_config_static_selectorELNS0_4arch9wavefront6targetE0EEEvS10_, .Lfunc_end283-_ZN7rocprim17ROCPRIM_400000_NS6detail17trampoline_kernelINS0_14default_configENS1_21merge_config_selectorINS0_5tupleIJssEEENS0_10empty_typeEEEZNS1_10merge_implIS3_NS0_12zip_iteratorINS5_IJN6thrust23THRUST_200600_302600_NS6detail15normal_iteratorINSC_10device_ptrIKsEEEESI_EEEEESK_NSA_INS5_IJNSE_INSF_IsEEEESM_EEEEEPS7_SP_SP_NSC_11hip_rocprim7__merge17predicate_wrapperIssNSC_4lessIsEEEEEE10hipError_tPvRmT0_T1_T2_T3_T4_T5_mmT6_P12ihipStream_tbEUlT_E_NS1_11comp_targetILNS1_3genE3ELNS1_11target_archE908ELNS1_3gpuE7ELNS1_3repE0EEENS1_30default_config_static_selectorELNS0_4arch9wavefront6targetE0EEEvS10_
                                        ; -- End function
	.set _ZN7rocprim17ROCPRIM_400000_NS6detail17trampoline_kernelINS0_14default_configENS1_21merge_config_selectorINS0_5tupleIJssEEENS0_10empty_typeEEEZNS1_10merge_implIS3_NS0_12zip_iteratorINS5_IJN6thrust23THRUST_200600_302600_NS6detail15normal_iteratorINSC_10device_ptrIKsEEEESI_EEEEESK_NSA_INS5_IJNSE_INSF_IsEEEESM_EEEEEPS7_SP_SP_NSC_11hip_rocprim7__merge17predicate_wrapperIssNSC_4lessIsEEEEEE10hipError_tPvRmT0_T1_T2_T3_T4_T5_mmT6_P12ihipStream_tbEUlT_E_NS1_11comp_targetILNS1_3genE3ELNS1_11target_archE908ELNS1_3gpuE7ELNS1_3repE0EEENS1_30default_config_static_selectorELNS0_4arch9wavefront6targetE0EEEvS10_.num_vgpr, 0
	.set _ZN7rocprim17ROCPRIM_400000_NS6detail17trampoline_kernelINS0_14default_configENS1_21merge_config_selectorINS0_5tupleIJssEEENS0_10empty_typeEEEZNS1_10merge_implIS3_NS0_12zip_iteratorINS5_IJN6thrust23THRUST_200600_302600_NS6detail15normal_iteratorINSC_10device_ptrIKsEEEESI_EEEEESK_NSA_INS5_IJNSE_INSF_IsEEEESM_EEEEEPS7_SP_SP_NSC_11hip_rocprim7__merge17predicate_wrapperIssNSC_4lessIsEEEEEE10hipError_tPvRmT0_T1_T2_T3_T4_T5_mmT6_P12ihipStream_tbEUlT_E_NS1_11comp_targetILNS1_3genE3ELNS1_11target_archE908ELNS1_3gpuE7ELNS1_3repE0EEENS1_30default_config_static_selectorELNS0_4arch9wavefront6targetE0EEEvS10_.num_agpr, 0
	.set _ZN7rocprim17ROCPRIM_400000_NS6detail17trampoline_kernelINS0_14default_configENS1_21merge_config_selectorINS0_5tupleIJssEEENS0_10empty_typeEEEZNS1_10merge_implIS3_NS0_12zip_iteratorINS5_IJN6thrust23THRUST_200600_302600_NS6detail15normal_iteratorINSC_10device_ptrIKsEEEESI_EEEEESK_NSA_INS5_IJNSE_INSF_IsEEEESM_EEEEEPS7_SP_SP_NSC_11hip_rocprim7__merge17predicate_wrapperIssNSC_4lessIsEEEEEE10hipError_tPvRmT0_T1_T2_T3_T4_T5_mmT6_P12ihipStream_tbEUlT_E_NS1_11comp_targetILNS1_3genE3ELNS1_11target_archE908ELNS1_3gpuE7ELNS1_3repE0EEENS1_30default_config_static_selectorELNS0_4arch9wavefront6targetE0EEEvS10_.numbered_sgpr, 0
	.set _ZN7rocprim17ROCPRIM_400000_NS6detail17trampoline_kernelINS0_14default_configENS1_21merge_config_selectorINS0_5tupleIJssEEENS0_10empty_typeEEEZNS1_10merge_implIS3_NS0_12zip_iteratorINS5_IJN6thrust23THRUST_200600_302600_NS6detail15normal_iteratorINSC_10device_ptrIKsEEEESI_EEEEESK_NSA_INS5_IJNSE_INSF_IsEEEESM_EEEEEPS7_SP_SP_NSC_11hip_rocprim7__merge17predicate_wrapperIssNSC_4lessIsEEEEEE10hipError_tPvRmT0_T1_T2_T3_T4_T5_mmT6_P12ihipStream_tbEUlT_E_NS1_11comp_targetILNS1_3genE3ELNS1_11target_archE908ELNS1_3gpuE7ELNS1_3repE0EEENS1_30default_config_static_selectorELNS0_4arch9wavefront6targetE0EEEvS10_.num_named_barrier, 0
	.set _ZN7rocprim17ROCPRIM_400000_NS6detail17trampoline_kernelINS0_14default_configENS1_21merge_config_selectorINS0_5tupleIJssEEENS0_10empty_typeEEEZNS1_10merge_implIS3_NS0_12zip_iteratorINS5_IJN6thrust23THRUST_200600_302600_NS6detail15normal_iteratorINSC_10device_ptrIKsEEEESI_EEEEESK_NSA_INS5_IJNSE_INSF_IsEEEESM_EEEEEPS7_SP_SP_NSC_11hip_rocprim7__merge17predicate_wrapperIssNSC_4lessIsEEEEEE10hipError_tPvRmT0_T1_T2_T3_T4_T5_mmT6_P12ihipStream_tbEUlT_E_NS1_11comp_targetILNS1_3genE3ELNS1_11target_archE908ELNS1_3gpuE7ELNS1_3repE0EEENS1_30default_config_static_selectorELNS0_4arch9wavefront6targetE0EEEvS10_.private_seg_size, 0
	.set _ZN7rocprim17ROCPRIM_400000_NS6detail17trampoline_kernelINS0_14default_configENS1_21merge_config_selectorINS0_5tupleIJssEEENS0_10empty_typeEEEZNS1_10merge_implIS3_NS0_12zip_iteratorINS5_IJN6thrust23THRUST_200600_302600_NS6detail15normal_iteratorINSC_10device_ptrIKsEEEESI_EEEEESK_NSA_INS5_IJNSE_INSF_IsEEEESM_EEEEEPS7_SP_SP_NSC_11hip_rocprim7__merge17predicate_wrapperIssNSC_4lessIsEEEEEE10hipError_tPvRmT0_T1_T2_T3_T4_T5_mmT6_P12ihipStream_tbEUlT_E_NS1_11comp_targetILNS1_3genE3ELNS1_11target_archE908ELNS1_3gpuE7ELNS1_3repE0EEENS1_30default_config_static_selectorELNS0_4arch9wavefront6targetE0EEEvS10_.uses_vcc, 0
	.set _ZN7rocprim17ROCPRIM_400000_NS6detail17trampoline_kernelINS0_14default_configENS1_21merge_config_selectorINS0_5tupleIJssEEENS0_10empty_typeEEEZNS1_10merge_implIS3_NS0_12zip_iteratorINS5_IJN6thrust23THRUST_200600_302600_NS6detail15normal_iteratorINSC_10device_ptrIKsEEEESI_EEEEESK_NSA_INS5_IJNSE_INSF_IsEEEESM_EEEEEPS7_SP_SP_NSC_11hip_rocprim7__merge17predicate_wrapperIssNSC_4lessIsEEEEEE10hipError_tPvRmT0_T1_T2_T3_T4_T5_mmT6_P12ihipStream_tbEUlT_E_NS1_11comp_targetILNS1_3genE3ELNS1_11target_archE908ELNS1_3gpuE7ELNS1_3repE0EEENS1_30default_config_static_selectorELNS0_4arch9wavefront6targetE0EEEvS10_.uses_flat_scratch, 0
	.set _ZN7rocprim17ROCPRIM_400000_NS6detail17trampoline_kernelINS0_14default_configENS1_21merge_config_selectorINS0_5tupleIJssEEENS0_10empty_typeEEEZNS1_10merge_implIS3_NS0_12zip_iteratorINS5_IJN6thrust23THRUST_200600_302600_NS6detail15normal_iteratorINSC_10device_ptrIKsEEEESI_EEEEESK_NSA_INS5_IJNSE_INSF_IsEEEESM_EEEEEPS7_SP_SP_NSC_11hip_rocprim7__merge17predicate_wrapperIssNSC_4lessIsEEEEEE10hipError_tPvRmT0_T1_T2_T3_T4_T5_mmT6_P12ihipStream_tbEUlT_E_NS1_11comp_targetILNS1_3genE3ELNS1_11target_archE908ELNS1_3gpuE7ELNS1_3repE0EEENS1_30default_config_static_selectorELNS0_4arch9wavefront6targetE0EEEvS10_.has_dyn_sized_stack, 0
	.set _ZN7rocprim17ROCPRIM_400000_NS6detail17trampoline_kernelINS0_14default_configENS1_21merge_config_selectorINS0_5tupleIJssEEENS0_10empty_typeEEEZNS1_10merge_implIS3_NS0_12zip_iteratorINS5_IJN6thrust23THRUST_200600_302600_NS6detail15normal_iteratorINSC_10device_ptrIKsEEEESI_EEEEESK_NSA_INS5_IJNSE_INSF_IsEEEESM_EEEEEPS7_SP_SP_NSC_11hip_rocprim7__merge17predicate_wrapperIssNSC_4lessIsEEEEEE10hipError_tPvRmT0_T1_T2_T3_T4_T5_mmT6_P12ihipStream_tbEUlT_E_NS1_11comp_targetILNS1_3genE3ELNS1_11target_archE908ELNS1_3gpuE7ELNS1_3repE0EEENS1_30default_config_static_selectorELNS0_4arch9wavefront6targetE0EEEvS10_.has_recursion, 0
	.set _ZN7rocprim17ROCPRIM_400000_NS6detail17trampoline_kernelINS0_14default_configENS1_21merge_config_selectorINS0_5tupleIJssEEENS0_10empty_typeEEEZNS1_10merge_implIS3_NS0_12zip_iteratorINS5_IJN6thrust23THRUST_200600_302600_NS6detail15normal_iteratorINSC_10device_ptrIKsEEEESI_EEEEESK_NSA_INS5_IJNSE_INSF_IsEEEESM_EEEEEPS7_SP_SP_NSC_11hip_rocprim7__merge17predicate_wrapperIssNSC_4lessIsEEEEEE10hipError_tPvRmT0_T1_T2_T3_T4_T5_mmT6_P12ihipStream_tbEUlT_E_NS1_11comp_targetILNS1_3genE3ELNS1_11target_archE908ELNS1_3gpuE7ELNS1_3repE0EEENS1_30default_config_static_selectorELNS0_4arch9wavefront6targetE0EEEvS10_.has_indirect_call, 0
	.section	.AMDGPU.csdata,"",@progbits
; Kernel info:
; codeLenInByte = 0
; TotalNumSgprs: 0
; NumVgprs: 0
; ScratchSize: 0
; MemoryBound: 0
; FloatMode: 240
; IeeeMode: 1
; LDSByteSize: 0 bytes/workgroup (compile time only)
; SGPRBlocks: 0
; VGPRBlocks: 0
; NumSGPRsForWavesPerEU: 1
; NumVGPRsForWavesPerEU: 1
; Occupancy: 16
; WaveLimiterHint : 0
; COMPUTE_PGM_RSRC2:SCRATCH_EN: 0
; COMPUTE_PGM_RSRC2:USER_SGPR: 6
; COMPUTE_PGM_RSRC2:TRAP_HANDLER: 0
; COMPUTE_PGM_RSRC2:TGID_X_EN: 1
; COMPUTE_PGM_RSRC2:TGID_Y_EN: 0
; COMPUTE_PGM_RSRC2:TGID_Z_EN: 0
; COMPUTE_PGM_RSRC2:TIDIG_COMP_CNT: 0
	.section	.text._ZN7rocprim17ROCPRIM_400000_NS6detail17trampoline_kernelINS0_14default_configENS1_21merge_config_selectorINS0_5tupleIJssEEENS0_10empty_typeEEEZNS1_10merge_implIS3_NS0_12zip_iteratorINS5_IJN6thrust23THRUST_200600_302600_NS6detail15normal_iteratorINSC_10device_ptrIKsEEEESI_EEEEESK_NSA_INS5_IJNSE_INSF_IsEEEESM_EEEEEPS7_SP_SP_NSC_11hip_rocprim7__merge17predicate_wrapperIssNSC_4lessIsEEEEEE10hipError_tPvRmT0_T1_T2_T3_T4_T5_mmT6_P12ihipStream_tbEUlT_E_NS1_11comp_targetILNS1_3genE2ELNS1_11target_archE906ELNS1_3gpuE6ELNS1_3repE0EEENS1_30default_config_static_selectorELNS0_4arch9wavefront6targetE0EEEvS10_,"axG",@progbits,_ZN7rocprim17ROCPRIM_400000_NS6detail17trampoline_kernelINS0_14default_configENS1_21merge_config_selectorINS0_5tupleIJssEEENS0_10empty_typeEEEZNS1_10merge_implIS3_NS0_12zip_iteratorINS5_IJN6thrust23THRUST_200600_302600_NS6detail15normal_iteratorINSC_10device_ptrIKsEEEESI_EEEEESK_NSA_INS5_IJNSE_INSF_IsEEEESM_EEEEEPS7_SP_SP_NSC_11hip_rocprim7__merge17predicate_wrapperIssNSC_4lessIsEEEEEE10hipError_tPvRmT0_T1_T2_T3_T4_T5_mmT6_P12ihipStream_tbEUlT_E_NS1_11comp_targetILNS1_3genE2ELNS1_11target_archE906ELNS1_3gpuE6ELNS1_3repE0EEENS1_30default_config_static_selectorELNS0_4arch9wavefront6targetE0EEEvS10_,comdat
	.protected	_ZN7rocprim17ROCPRIM_400000_NS6detail17trampoline_kernelINS0_14default_configENS1_21merge_config_selectorINS0_5tupleIJssEEENS0_10empty_typeEEEZNS1_10merge_implIS3_NS0_12zip_iteratorINS5_IJN6thrust23THRUST_200600_302600_NS6detail15normal_iteratorINSC_10device_ptrIKsEEEESI_EEEEESK_NSA_INS5_IJNSE_INSF_IsEEEESM_EEEEEPS7_SP_SP_NSC_11hip_rocprim7__merge17predicate_wrapperIssNSC_4lessIsEEEEEE10hipError_tPvRmT0_T1_T2_T3_T4_T5_mmT6_P12ihipStream_tbEUlT_E_NS1_11comp_targetILNS1_3genE2ELNS1_11target_archE906ELNS1_3gpuE6ELNS1_3repE0EEENS1_30default_config_static_selectorELNS0_4arch9wavefront6targetE0EEEvS10_ ; -- Begin function _ZN7rocprim17ROCPRIM_400000_NS6detail17trampoline_kernelINS0_14default_configENS1_21merge_config_selectorINS0_5tupleIJssEEENS0_10empty_typeEEEZNS1_10merge_implIS3_NS0_12zip_iteratorINS5_IJN6thrust23THRUST_200600_302600_NS6detail15normal_iteratorINSC_10device_ptrIKsEEEESI_EEEEESK_NSA_INS5_IJNSE_INSF_IsEEEESM_EEEEEPS7_SP_SP_NSC_11hip_rocprim7__merge17predicate_wrapperIssNSC_4lessIsEEEEEE10hipError_tPvRmT0_T1_T2_T3_T4_T5_mmT6_P12ihipStream_tbEUlT_E_NS1_11comp_targetILNS1_3genE2ELNS1_11target_archE906ELNS1_3gpuE6ELNS1_3repE0EEENS1_30default_config_static_selectorELNS0_4arch9wavefront6targetE0EEEvS10_
	.globl	_ZN7rocprim17ROCPRIM_400000_NS6detail17trampoline_kernelINS0_14default_configENS1_21merge_config_selectorINS0_5tupleIJssEEENS0_10empty_typeEEEZNS1_10merge_implIS3_NS0_12zip_iteratorINS5_IJN6thrust23THRUST_200600_302600_NS6detail15normal_iteratorINSC_10device_ptrIKsEEEESI_EEEEESK_NSA_INS5_IJNSE_INSF_IsEEEESM_EEEEEPS7_SP_SP_NSC_11hip_rocprim7__merge17predicate_wrapperIssNSC_4lessIsEEEEEE10hipError_tPvRmT0_T1_T2_T3_T4_T5_mmT6_P12ihipStream_tbEUlT_E_NS1_11comp_targetILNS1_3genE2ELNS1_11target_archE906ELNS1_3gpuE6ELNS1_3repE0EEENS1_30default_config_static_selectorELNS0_4arch9wavefront6targetE0EEEvS10_
	.p2align	8
	.type	_ZN7rocprim17ROCPRIM_400000_NS6detail17trampoline_kernelINS0_14default_configENS1_21merge_config_selectorINS0_5tupleIJssEEENS0_10empty_typeEEEZNS1_10merge_implIS3_NS0_12zip_iteratorINS5_IJN6thrust23THRUST_200600_302600_NS6detail15normal_iteratorINSC_10device_ptrIKsEEEESI_EEEEESK_NSA_INS5_IJNSE_INSF_IsEEEESM_EEEEEPS7_SP_SP_NSC_11hip_rocprim7__merge17predicate_wrapperIssNSC_4lessIsEEEEEE10hipError_tPvRmT0_T1_T2_T3_T4_T5_mmT6_P12ihipStream_tbEUlT_E_NS1_11comp_targetILNS1_3genE2ELNS1_11target_archE906ELNS1_3gpuE6ELNS1_3repE0EEENS1_30default_config_static_selectorELNS0_4arch9wavefront6targetE0EEEvS10_,@function
_ZN7rocprim17ROCPRIM_400000_NS6detail17trampoline_kernelINS0_14default_configENS1_21merge_config_selectorINS0_5tupleIJssEEENS0_10empty_typeEEEZNS1_10merge_implIS3_NS0_12zip_iteratorINS5_IJN6thrust23THRUST_200600_302600_NS6detail15normal_iteratorINSC_10device_ptrIKsEEEESI_EEEEESK_NSA_INS5_IJNSE_INSF_IsEEEESM_EEEEEPS7_SP_SP_NSC_11hip_rocprim7__merge17predicate_wrapperIssNSC_4lessIsEEEEEE10hipError_tPvRmT0_T1_T2_T3_T4_T5_mmT6_P12ihipStream_tbEUlT_E_NS1_11comp_targetILNS1_3genE2ELNS1_11target_archE906ELNS1_3gpuE6ELNS1_3repE0EEENS1_30default_config_static_selectorELNS0_4arch9wavefront6targetE0EEEvS10_: ; @_ZN7rocprim17ROCPRIM_400000_NS6detail17trampoline_kernelINS0_14default_configENS1_21merge_config_selectorINS0_5tupleIJssEEENS0_10empty_typeEEEZNS1_10merge_implIS3_NS0_12zip_iteratorINS5_IJN6thrust23THRUST_200600_302600_NS6detail15normal_iteratorINSC_10device_ptrIKsEEEESI_EEEEESK_NSA_INS5_IJNSE_INSF_IsEEEESM_EEEEEPS7_SP_SP_NSC_11hip_rocprim7__merge17predicate_wrapperIssNSC_4lessIsEEEEEE10hipError_tPvRmT0_T1_T2_T3_T4_T5_mmT6_P12ihipStream_tbEUlT_E_NS1_11comp_targetILNS1_3genE2ELNS1_11target_archE906ELNS1_3gpuE6ELNS1_3repE0EEENS1_30default_config_static_selectorELNS0_4arch9wavefront6targetE0EEEvS10_
; %bb.0:
	.section	.rodata,"a",@progbits
	.p2align	6, 0x0
	.amdhsa_kernel _ZN7rocprim17ROCPRIM_400000_NS6detail17trampoline_kernelINS0_14default_configENS1_21merge_config_selectorINS0_5tupleIJssEEENS0_10empty_typeEEEZNS1_10merge_implIS3_NS0_12zip_iteratorINS5_IJN6thrust23THRUST_200600_302600_NS6detail15normal_iteratorINSC_10device_ptrIKsEEEESI_EEEEESK_NSA_INS5_IJNSE_INSF_IsEEEESM_EEEEEPS7_SP_SP_NSC_11hip_rocprim7__merge17predicate_wrapperIssNSC_4lessIsEEEEEE10hipError_tPvRmT0_T1_T2_T3_T4_T5_mmT6_P12ihipStream_tbEUlT_E_NS1_11comp_targetILNS1_3genE2ELNS1_11target_archE906ELNS1_3gpuE6ELNS1_3repE0EEENS1_30default_config_static_selectorELNS0_4arch9wavefront6targetE0EEEvS10_
		.amdhsa_group_segment_fixed_size 0
		.amdhsa_private_segment_fixed_size 0
		.amdhsa_kernarg_size 64
		.amdhsa_user_sgpr_count 6
		.amdhsa_user_sgpr_private_segment_buffer 1
		.amdhsa_user_sgpr_dispatch_ptr 0
		.amdhsa_user_sgpr_queue_ptr 0
		.amdhsa_user_sgpr_kernarg_segment_ptr 1
		.amdhsa_user_sgpr_dispatch_id 0
		.amdhsa_user_sgpr_flat_scratch_init 0
		.amdhsa_user_sgpr_private_segment_size 0
		.amdhsa_wavefront_size32 1
		.amdhsa_uses_dynamic_stack 0
		.amdhsa_system_sgpr_private_segment_wavefront_offset 0
		.amdhsa_system_sgpr_workgroup_id_x 1
		.amdhsa_system_sgpr_workgroup_id_y 0
		.amdhsa_system_sgpr_workgroup_id_z 0
		.amdhsa_system_sgpr_workgroup_info 0
		.amdhsa_system_vgpr_workitem_id 0
		.amdhsa_next_free_vgpr 1
		.amdhsa_next_free_sgpr 1
		.amdhsa_reserve_vcc 0
		.amdhsa_reserve_flat_scratch 0
		.amdhsa_float_round_mode_32 0
		.amdhsa_float_round_mode_16_64 0
		.amdhsa_float_denorm_mode_32 3
		.amdhsa_float_denorm_mode_16_64 3
		.amdhsa_dx10_clamp 1
		.amdhsa_ieee_mode 1
		.amdhsa_fp16_overflow 0
		.amdhsa_workgroup_processor_mode 1
		.amdhsa_memory_ordered 1
		.amdhsa_forward_progress 1
		.amdhsa_shared_vgpr_count 0
		.amdhsa_exception_fp_ieee_invalid_op 0
		.amdhsa_exception_fp_denorm_src 0
		.amdhsa_exception_fp_ieee_div_zero 0
		.amdhsa_exception_fp_ieee_overflow 0
		.amdhsa_exception_fp_ieee_underflow 0
		.amdhsa_exception_fp_ieee_inexact 0
		.amdhsa_exception_int_div_zero 0
	.end_amdhsa_kernel
	.section	.text._ZN7rocprim17ROCPRIM_400000_NS6detail17trampoline_kernelINS0_14default_configENS1_21merge_config_selectorINS0_5tupleIJssEEENS0_10empty_typeEEEZNS1_10merge_implIS3_NS0_12zip_iteratorINS5_IJN6thrust23THRUST_200600_302600_NS6detail15normal_iteratorINSC_10device_ptrIKsEEEESI_EEEEESK_NSA_INS5_IJNSE_INSF_IsEEEESM_EEEEEPS7_SP_SP_NSC_11hip_rocprim7__merge17predicate_wrapperIssNSC_4lessIsEEEEEE10hipError_tPvRmT0_T1_T2_T3_T4_T5_mmT6_P12ihipStream_tbEUlT_E_NS1_11comp_targetILNS1_3genE2ELNS1_11target_archE906ELNS1_3gpuE6ELNS1_3repE0EEENS1_30default_config_static_selectorELNS0_4arch9wavefront6targetE0EEEvS10_,"axG",@progbits,_ZN7rocprim17ROCPRIM_400000_NS6detail17trampoline_kernelINS0_14default_configENS1_21merge_config_selectorINS0_5tupleIJssEEENS0_10empty_typeEEEZNS1_10merge_implIS3_NS0_12zip_iteratorINS5_IJN6thrust23THRUST_200600_302600_NS6detail15normal_iteratorINSC_10device_ptrIKsEEEESI_EEEEESK_NSA_INS5_IJNSE_INSF_IsEEEESM_EEEEEPS7_SP_SP_NSC_11hip_rocprim7__merge17predicate_wrapperIssNSC_4lessIsEEEEEE10hipError_tPvRmT0_T1_T2_T3_T4_T5_mmT6_P12ihipStream_tbEUlT_E_NS1_11comp_targetILNS1_3genE2ELNS1_11target_archE906ELNS1_3gpuE6ELNS1_3repE0EEENS1_30default_config_static_selectorELNS0_4arch9wavefront6targetE0EEEvS10_,comdat
.Lfunc_end284:
	.size	_ZN7rocprim17ROCPRIM_400000_NS6detail17trampoline_kernelINS0_14default_configENS1_21merge_config_selectorINS0_5tupleIJssEEENS0_10empty_typeEEEZNS1_10merge_implIS3_NS0_12zip_iteratorINS5_IJN6thrust23THRUST_200600_302600_NS6detail15normal_iteratorINSC_10device_ptrIKsEEEESI_EEEEESK_NSA_INS5_IJNSE_INSF_IsEEEESM_EEEEEPS7_SP_SP_NSC_11hip_rocprim7__merge17predicate_wrapperIssNSC_4lessIsEEEEEE10hipError_tPvRmT0_T1_T2_T3_T4_T5_mmT6_P12ihipStream_tbEUlT_E_NS1_11comp_targetILNS1_3genE2ELNS1_11target_archE906ELNS1_3gpuE6ELNS1_3repE0EEENS1_30default_config_static_selectorELNS0_4arch9wavefront6targetE0EEEvS10_, .Lfunc_end284-_ZN7rocprim17ROCPRIM_400000_NS6detail17trampoline_kernelINS0_14default_configENS1_21merge_config_selectorINS0_5tupleIJssEEENS0_10empty_typeEEEZNS1_10merge_implIS3_NS0_12zip_iteratorINS5_IJN6thrust23THRUST_200600_302600_NS6detail15normal_iteratorINSC_10device_ptrIKsEEEESI_EEEEESK_NSA_INS5_IJNSE_INSF_IsEEEESM_EEEEEPS7_SP_SP_NSC_11hip_rocprim7__merge17predicate_wrapperIssNSC_4lessIsEEEEEE10hipError_tPvRmT0_T1_T2_T3_T4_T5_mmT6_P12ihipStream_tbEUlT_E_NS1_11comp_targetILNS1_3genE2ELNS1_11target_archE906ELNS1_3gpuE6ELNS1_3repE0EEENS1_30default_config_static_selectorELNS0_4arch9wavefront6targetE0EEEvS10_
                                        ; -- End function
	.set _ZN7rocprim17ROCPRIM_400000_NS6detail17trampoline_kernelINS0_14default_configENS1_21merge_config_selectorINS0_5tupleIJssEEENS0_10empty_typeEEEZNS1_10merge_implIS3_NS0_12zip_iteratorINS5_IJN6thrust23THRUST_200600_302600_NS6detail15normal_iteratorINSC_10device_ptrIKsEEEESI_EEEEESK_NSA_INS5_IJNSE_INSF_IsEEEESM_EEEEEPS7_SP_SP_NSC_11hip_rocprim7__merge17predicate_wrapperIssNSC_4lessIsEEEEEE10hipError_tPvRmT0_T1_T2_T3_T4_T5_mmT6_P12ihipStream_tbEUlT_E_NS1_11comp_targetILNS1_3genE2ELNS1_11target_archE906ELNS1_3gpuE6ELNS1_3repE0EEENS1_30default_config_static_selectorELNS0_4arch9wavefront6targetE0EEEvS10_.num_vgpr, 0
	.set _ZN7rocprim17ROCPRIM_400000_NS6detail17trampoline_kernelINS0_14default_configENS1_21merge_config_selectorINS0_5tupleIJssEEENS0_10empty_typeEEEZNS1_10merge_implIS3_NS0_12zip_iteratorINS5_IJN6thrust23THRUST_200600_302600_NS6detail15normal_iteratorINSC_10device_ptrIKsEEEESI_EEEEESK_NSA_INS5_IJNSE_INSF_IsEEEESM_EEEEEPS7_SP_SP_NSC_11hip_rocprim7__merge17predicate_wrapperIssNSC_4lessIsEEEEEE10hipError_tPvRmT0_T1_T2_T3_T4_T5_mmT6_P12ihipStream_tbEUlT_E_NS1_11comp_targetILNS1_3genE2ELNS1_11target_archE906ELNS1_3gpuE6ELNS1_3repE0EEENS1_30default_config_static_selectorELNS0_4arch9wavefront6targetE0EEEvS10_.num_agpr, 0
	.set _ZN7rocprim17ROCPRIM_400000_NS6detail17trampoline_kernelINS0_14default_configENS1_21merge_config_selectorINS0_5tupleIJssEEENS0_10empty_typeEEEZNS1_10merge_implIS3_NS0_12zip_iteratorINS5_IJN6thrust23THRUST_200600_302600_NS6detail15normal_iteratorINSC_10device_ptrIKsEEEESI_EEEEESK_NSA_INS5_IJNSE_INSF_IsEEEESM_EEEEEPS7_SP_SP_NSC_11hip_rocprim7__merge17predicate_wrapperIssNSC_4lessIsEEEEEE10hipError_tPvRmT0_T1_T2_T3_T4_T5_mmT6_P12ihipStream_tbEUlT_E_NS1_11comp_targetILNS1_3genE2ELNS1_11target_archE906ELNS1_3gpuE6ELNS1_3repE0EEENS1_30default_config_static_selectorELNS0_4arch9wavefront6targetE0EEEvS10_.numbered_sgpr, 0
	.set _ZN7rocprim17ROCPRIM_400000_NS6detail17trampoline_kernelINS0_14default_configENS1_21merge_config_selectorINS0_5tupleIJssEEENS0_10empty_typeEEEZNS1_10merge_implIS3_NS0_12zip_iteratorINS5_IJN6thrust23THRUST_200600_302600_NS6detail15normal_iteratorINSC_10device_ptrIKsEEEESI_EEEEESK_NSA_INS5_IJNSE_INSF_IsEEEESM_EEEEEPS7_SP_SP_NSC_11hip_rocprim7__merge17predicate_wrapperIssNSC_4lessIsEEEEEE10hipError_tPvRmT0_T1_T2_T3_T4_T5_mmT6_P12ihipStream_tbEUlT_E_NS1_11comp_targetILNS1_3genE2ELNS1_11target_archE906ELNS1_3gpuE6ELNS1_3repE0EEENS1_30default_config_static_selectorELNS0_4arch9wavefront6targetE0EEEvS10_.num_named_barrier, 0
	.set _ZN7rocprim17ROCPRIM_400000_NS6detail17trampoline_kernelINS0_14default_configENS1_21merge_config_selectorINS0_5tupleIJssEEENS0_10empty_typeEEEZNS1_10merge_implIS3_NS0_12zip_iteratorINS5_IJN6thrust23THRUST_200600_302600_NS6detail15normal_iteratorINSC_10device_ptrIKsEEEESI_EEEEESK_NSA_INS5_IJNSE_INSF_IsEEEESM_EEEEEPS7_SP_SP_NSC_11hip_rocprim7__merge17predicate_wrapperIssNSC_4lessIsEEEEEE10hipError_tPvRmT0_T1_T2_T3_T4_T5_mmT6_P12ihipStream_tbEUlT_E_NS1_11comp_targetILNS1_3genE2ELNS1_11target_archE906ELNS1_3gpuE6ELNS1_3repE0EEENS1_30default_config_static_selectorELNS0_4arch9wavefront6targetE0EEEvS10_.private_seg_size, 0
	.set _ZN7rocprim17ROCPRIM_400000_NS6detail17trampoline_kernelINS0_14default_configENS1_21merge_config_selectorINS0_5tupleIJssEEENS0_10empty_typeEEEZNS1_10merge_implIS3_NS0_12zip_iteratorINS5_IJN6thrust23THRUST_200600_302600_NS6detail15normal_iteratorINSC_10device_ptrIKsEEEESI_EEEEESK_NSA_INS5_IJNSE_INSF_IsEEEESM_EEEEEPS7_SP_SP_NSC_11hip_rocprim7__merge17predicate_wrapperIssNSC_4lessIsEEEEEE10hipError_tPvRmT0_T1_T2_T3_T4_T5_mmT6_P12ihipStream_tbEUlT_E_NS1_11comp_targetILNS1_3genE2ELNS1_11target_archE906ELNS1_3gpuE6ELNS1_3repE0EEENS1_30default_config_static_selectorELNS0_4arch9wavefront6targetE0EEEvS10_.uses_vcc, 0
	.set _ZN7rocprim17ROCPRIM_400000_NS6detail17trampoline_kernelINS0_14default_configENS1_21merge_config_selectorINS0_5tupleIJssEEENS0_10empty_typeEEEZNS1_10merge_implIS3_NS0_12zip_iteratorINS5_IJN6thrust23THRUST_200600_302600_NS6detail15normal_iteratorINSC_10device_ptrIKsEEEESI_EEEEESK_NSA_INS5_IJNSE_INSF_IsEEEESM_EEEEEPS7_SP_SP_NSC_11hip_rocprim7__merge17predicate_wrapperIssNSC_4lessIsEEEEEE10hipError_tPvRmT0_T1_T2_T3_T4_T5_mmT6_P12ihipStream_tbEUlT_E_NS1_11comp_targetILNS1_3genE2ELNS1_11target_archE906ELNS1_3gpuE6ELNS1_3repE0EEENS1_30default_config_static_selectorELNS0_4arch9wavefront6targetE0EEEvS10_.uses_flat_scratch, 0
	.set _ZN7rocprim17ROCPRIM_400000_NS6detail17trampoline_kernelINS0_14default_configENS1_21merge_config_selectorINS0_5tupleIJssEEENS0_10empty_typeEEEZNS1_10merge_implIS3_NS0_12zip_iteratorINS5_IJN6thrust23THRUST_200600_302600_NS6detail15normal_iteratorINSC_10device_ptrIKsEEEESI_EEEEESK_NSA_INS5_IJNSE_INSF_IsEEEESM_EEEEEPS7_SP_SP_NSC_11hip_rocprim7__merge17predicate_wrapperIssNSC_4lessIsEEEEEE10hipError_tPvRmT0_T1_T2_T3_T4_T5_mmT6_P12ihipStream_tbEUlT_E_NS1_11comp_targetILNS1_3genE2ELNS1_11target_archE906ELNS1_3gpuE6ELNS1_3repE0EEENS1_30default_config_static_selectorELNS0_4arch9wavefront6targetE0EEEvS10_.has_dyn_sized_stack, 0
	.set _ZN7rocprim17ROCPRIM_400000_NS6detail17trampoline_kernelINS0_14default_configENS1_21merge_config_selectorINS0_5tupleIJssEEENS0_10empty_typeEEEZNS1_10merge_implIS3_NS0_12zip_iteratorINS5_IJN6thrust23THRUST_200600_302600_NS6detail15normal_iteratorINSC_10device_ptrIKsEEEESI_EEEEESK_NSA_INS5_IJNSE_INSF_IsEEEESM_EEEEEPS7_SP_SP_NSC_11hip_rocprim7__merge17predicate_wrapperIssNSC_4lessIsEEEEEE10hipError_tPvRmT0_T1_T2_T3_T4_T5_mmT6_P12ihipStream_tbEUlT_E_NS1_11comp_targetILNS1_3genE2ELNS1_11target_archE906ELNS1_3gpuE6ELNS1_3repE0EEENS1_30default_config_static_selectorELNS0_4arch9wavefront6targetE0EEEvS10_.has_recursion, 0
	.set _ZN7rocprim17ROCPRIM_400000_NS6detail17trampoline_kernelINS0_14default_configENS1_21merge_config_selectorINS0_5tupleIJssEEENS0_10empty_typeEEEZNS1_10merge_implIS3_NS0_12zip_iteratorINS5_IJN6thrust23THRUST_200600_302600_NS6detail15normal_iteratorINSC_10device_ptrIKsEEEESI_EEEEESK_NSA_INS5_IJNSE_INSF_IsEEEESM_EEEEEPS7_SP_SP_NSC_11hip_rocprim7__merge17predicate_wrapperIssNSC_4lessIsEEEEEE10hipError_tPvRmT0_T1_T2_T3_T4_T5_mmT6_P12ihipStream_tbEUlT_E_NS1_11comp_targetILNS1_3genE2ELNS1_11target_archE906ELNS1_3gpuE6ELNS1_3repE0EEENS1_30default_config_static_selectorELNS0_4arch9wavefront6targetE0EEEvS10_.has_indirect_call, 0
	.section	.AMDGPU.csdata,"",@progbits
; Kernel info:
; codeLenInByte = 0
; TotalNumSgprs: 0
; NumVgprs: 0
; ScratchSize: 0
; MemoryBound: 0
; FloatMode: 240
; IeeeMode: 1
; LDSByteSize: 0 bytes/workgroup (compile time only)
; SGPRBlocks: 0
; VGPRBlocks: 0
; NumSGPRsForWavesPerEU: 1
; NumVGPRsForWavesPerEU: 1
; Occupancy: 16
; WaveLimiterHint : 0
; COMPUTE_PGM_RSRC2:SCRATCH_EN: 0
; COMPUTE_PGM_RSRC2:USER_SGPR: 6
; COMPUTE_PGM_RSRC2:TRAP_HANDLER: 0
; COMPUTE_PGM_RSRC2:TGID_X_EN: 1
; COMPUTE_PGM_RSRC2:TGID_Y_EN: 0
; COMPUTE_PGM_RSRC2:TGID_Z_EN: 0
; COMPUTE_PGM_RSRC2:TIDIG_COMP_CNT: 0
	.section	.text._ZN7rocprim17ROCPRIM_400000_NS6detail17trampoline_kernelINS0_14default_configENS1_21merge_config_selectorINS0_5tupleIJssEEENS0_10empty_typeEEEZNS1_10merge_implIS3_NS0_12zip_iteratorINS5_IJN6thrust23THRUST_200600_302600_NS6detail15normal_iteratorINSC_10device_ptrIKsEEEESI_EEEEESK_NSA_INS5_IJNSE_INSF_IsEEEESM_EEEEEPS7_SP_SP_NSC_11hip_rocprim7__merge17predicate_wrapperIssNSC_4lessIsEEEEEE10hipError_tPvRmT0_T1_T2_T3_T4_T5_mmT6_P12ihipStream_tbEUlT_E_NS1_11comp_targetILNS1_3genE10ELNS1_11target_archE1201ELNS1_3gpuE5ELNS1_3repE0EEENS1_30default_config_static_selectorELNS0_4arch9wavefront6targetE0EEEvS10_,"axG",@progbits,_ZN7rocprim17ROCPRIM_400000_NS6detail17trampoline_kernelINS0_14default_configENS1_21merge_config_selectorINS0_5tupleIJssEEENS0_10empty_typeEEEZNS1_10merge_implIS3_NS0_12zip_iteratorINS5_IJN6thrust23THRUST_200600_302600_NS6detail15normal_iteratorINSC_10device_ptrIKsEEEESI_EEEEESK_NSA_INS5_IJNSE_INSF_IsEEEESM_EEEEEPS7_SP_SP_NSC_11hip_rocprim7__merge17predicate_wrapperIssNSC_4lessIsEEEEEE10hipError_tPvRmT0_T1_T2_T3_T4_T5_mmT6_P12ihipStream_tbEUlT_E_NS1_11comp_targetILNS1_3genE10ELNS1_11target_archE1201ELNS1_3gpuE5ELNS1_3repE0EEENS1_30default_config_static_selectorELNS0_4arch9wavefront6targetE0EEEvS10_,comdat
	.protected	_ZN7rocprim17ROCPRIM_400000_NS6detail17trampoline_kernelINS0_14default_configENS1_21merge_config_selectorINS0_5tupleIJssEEENS0_10empty_typeEEEZNS1_10merge_implIS3_NS0_12zip_iteratorINS5_IJN6thrust23THRUST_200600_302600_NS6detail15normal_iteratorINSC_10device_ptrIKsEEEESI_EEEEESK_NSA_INS5_IJNSE_INSF_IsEEEESM_EEEEEPS7_SP_SP_NSC_11hip_rocprim7__merge17predicate_wrapperIssNSC_4lessIsEEEEEE10hipError_tPvRmT0_T1_T2_T3_T4_T5_mmT6_P12ihipStream_tbEUlT_E_NS1_11comp_targetILNS1_3genE10ELNS1_11target_archE1201ELNS1_3gpuE5ELNS1_3repE0EEENS1_30default_config_static_selectorELNS0_4arch9wavefront6targetE0EEEvS10_ ; -- Begin function _ZN7rocprim17ROCPRIM_400000_NS6detail17trampoline_kernelINS0_14default_configENS1_21merge_config_selectorINS0_5tupleIJssEEENS0_10empty_typeEEEZNS1_10merge_implIS3_NS0_12zip_iteratorINS5_IJN6thrust23THRUST_200600_302600_NS6detail15normal_iteratorINSC_10device_ptrIKsEEEESI_EEEEESK_NSA_INS5_IJNSE_INSF_IsEEEESM_EEEEEPS7_SP_SP_NSC_11hip_rocprim7__merge17predicate_wrapperIssNSC_4lessIsEEEEEE10hipError_tPvRmT0_T1_T2_T3_T4_T5_mmT6_P12ihipStream_tbEUlT_E_NS1_11comp_targetILNS1_3genE10ELNS1_11target_archE1201ELNS1_3gpuE5ELNS1_3repE0EEENS1_30default_config_static_selectorELNS0_4arch9wavefront6targetE0EEEvS10_
	.globl	_ZN7rocprim17ROCPRIM_400000_NS6detail17trampoline_kernelINS0_14default_configENS1_21merge_config_selectorINS0_5tupleIJssEEENS0_10empty_typeEEEZNS1_10merge_implIS3_NS0_12zip_iteratorINS5_IJN6thrust23THRUST_200600_302600_NS6detail15normal_iteratorINSC_10device_ptrIKsEEEESI_EEEEESK_NSA_INS5_IJNSE_INSF_IsEEEESM_EEEEEPS7_SP_SP_NSC_11hip_rocprim7__merge17predicate_wrapperIssNSC_4lessIsEEEEEE10hipError_tPvRmT0_T1_T2_T3_T4_T5_mmT6_P12ihipStream_tbEUlT_E_NS1_11comp_targetILNS1_3genE10ELNS1_11target_archE1201ELNS1_3gpuE5ELNS1_3repE0EEENS1_30default_config_static_selectorELNS0_4arch9wavefront6targetE0EEEvS10_
	.p2align	8
	.type	_ZN7rocprim17ROCPRIM_400000_NS6detail17trampoline_kernelINS0_14default_configENS1_21merge_config_selectorINS0_5tupleIJssEEENS0_10empty_typeEEEZNS1_10merge_implIS3_NS0_12zip_iteratorINS5_IJN6thrust23THRUST_200600_302600_NS6detail15normal_iteratorINSC_10device_ptrIKsEEEESI_EEEEESK_NSA_INS5_IJNSE_INSF_IsEEEESM_EEEEEPS7_SP_SP_NSC_11hip_rocprim7__merge17predicate_wrapperIssNSC_4lessIsEEEEEE10hipError_tPvRmT0_T1_T2_T3_T4_T5_mmT6_P12ihipStream_tbEUlT_E_NS1_11comp_targetILNS1_3genE10ELNS1_11target_archE1201ELNS1_3gpuE5ELNS1_3repE0EEENS1_30default_config_static_selectorELNS0_4arch9wavefront6targetE0EEEvS10_,@function
_ZN7rocprim17ROCPRIM_400000_NS6detail17trampoline_kernelINS0_14default_configENS1_21merge_config_selectorINS0_5tupleIJssEEENS0_10empty_typeEEEZNS1_10merge_implIS3_NS0_12zip_iteratorINS5_IJN6thrust23THRUST_200600_302600_NS6detail15normal_iteratorINSC_10device_ptrIKsEEEESI_EEEEESK_NSA_INS5_IJNSE_INSF_IsEEEESM_EEEEEPS7_SP_SP_NSC_11hip_rocprim7__merge17predicate_wrapperIssNSC_4lessIsEEEEEE10hipError_tPvRmT0_T1_T2_T3_T4_T5_mmT6_P12ihipStream_tbEUlT_E_NS1_11comp_targetILNS1_3genE10ELNS1_11target_archE1201ELNS1_3gpuE5ELNS1_3repE0EEENS1_30default_config_static_selectorELNS0_4arch9wavefront6targetE0EEEvS10_: ; @_ZN7rocprim17ROCPRIM_400000_NS6detail17trampoline_kernelINS0_14default_configENS1_21merge_config_selectorINS0_5tupleIJssEEENS0_10empty_typeEEEZNS1_10merge_implIS3_NS0_12zip_iteratorINS5_IJN6thrust23THRUST_200600_302600_NS6detail15normal_iteratorINSC_10device_ptrIKsEEEESI_EEEEESK_NSA_INS5_IJNSE_INSF_IsEEEESM_EEEEEPS7_SP_SP_NSC_11hip_rocprim7__merge17predicate_wrapperIssNSC_4lessIsEEEEEE10hipError_tPvRmT0_T1_T2_T3_T4_T5_mmT6_P12ihipStream_tbEUlT_E_NS1_11comp_targetILNS1_3genE10ELNS1_11target_archE1201ELNS1_3gpuE5ELNS1_3repE0EEENS1_30default_config_static_selectorELNS0_4arch9wavefront6targetE0EEEvS10_
; %bb.0:
	.section	.rodata,"a",@progbits
	.p2align	6, 0x0
	.amdhsa_kernel _ZN7rocprim17ROCPRIM_400000_NS6detail17trampoline_kernelINS0_14default_configENS1_21merge_config_selectorINS0_5tupleIJssEEENS0_10empty_typeEEEZNS1_10merge_implIS3_NS0_12zip_iteratorINS5_IJN6thrust23THRUST_200600_302600_NS6detail15normal_iteratorINSC_10device_ptrIKsEEEESI_EEEEESK_NSA_INS5_IJNSE_INSF_IsEEEESM_EEEEEPS7_SP_SP_NSC_11hip_rocprim7__merge17predicate_wrapperIssNSC_4lessIsEEEEEE10hipError_tPvRmT0_T1_T2_T3_T4_T5_mmT6_P12ihipStream_tbEUlT_E_NS1_11comp_targetILNS1_3genE10ELNS1_11target_archE1201ELNS1_3gpuE5ELNS1_3repE0EEENS1_30default_config_static_selectorELNS0_4arch9wavefront6targetE0EEEvS10_
		.amdhsa_group_segment_fixed_size 0
		.amdhsa_private_segment_fixed_size 0
		.amdhsa_kernarg_size 64
		.amdhsa_user_sgpr_count 6
		.amdhsa_user_sgpr_private_segment_buffer 1
		.amdhsa_user_sgpr_dispatch_ptr 0
		.amdhsa_user_sgpr_queue_ptr 0
		.amdhsa_user_sgpr_kernarg_segment_ptr 1
		.amdhsa_user_sgpr_dispatch_id 0
		.amdhsa_user_sgpr_flat_scratch_init 0
		.amdhsa_user_sgpr_private_segment_size 0
		.amdhsa_wavefront_size32 1
		.amdhsa_uses_dynamic_stack 0
		.amdhsa_system_sgpr_private_segment_wavefront_offset 0
		.amdhsa_system_sgpr_workgroup_id_x 1
		.amdhsa_system_sgpr_workgroup_id_y 0
		.amdhsa_system_sgpr_workgroup_id_z 0
		.amdhsa_system_sgpr_workgroup_info 0
		.amdhsa_system_vgpr_workitem_id 0
		.amdhsa_next_free_vgpr 1
		.amdhsa_next_free_sgpr 1
		.amdhsa_reserve_vcc 0
		.amdhsa_reserve_flat_scratch 0
		.amdhsa_float_round_mode_32 0
		.amdhsa_float_round_mode_16_64 0
		.amdhsa_float_denorm_mode_32 3
		.amdhsa_float_denorm_mode_16_64 3
		.amdhsa_dx10_clamp 1
		.amdhsa_ieee_mode 1
		.amdhsa_fp16_overflow 0
		.amdhsa_workgroup_processor_mode 1
		.amdhsa_memory_ordered 1
		.amdhsa_forward_progress 1
		.amdhsa_shared_vgpr_count 0
		.amdhsa_exception_fp_ieee_invalid_op 0
		.amdhsa_exception_fp_denorm_src 0
		.amdhsa_exception_fp_ieee_div_zero 0
		.amdhsa_exception_fp_ieee_overflow 0
		.amdhsa_exception_fp_ieee_underflow 0
		.amdhsa_exception_fp_ieee_inexact 0
		.amdhsa_exception_int_div_zero 0
	.end_amdhsa_kernel
	.section	.text._ZN7rocprim17ROCPRIM_400000_NS6detail17trampoline_kernelINS0_14default_configENS1_21merge_config_selectorINS0_5tupleIJssEEENS0_10empty_typeEEEZNS1_10merge_implIS3_NS0_12zip_iteratorINS5_IJN6thrust23THRUST_200600_302600_NS6detail15normal_iteratorINSC_10device_ptrIKsEEEESI_EEEEESK_NSA_INS5_IJNSE_INSF_IsEEEESM_EEEEEPS7_SP_SP_NSC_11hip_rocprim7__merge17predicate_wrapperIssNSC_4lessIsEEEEEE10hipError_tPvRmT0_T1_T2_T3_T4_T5_mmT6_P12ihipStream_tbEUlT_E_NS1_11comp_targetILNS1_3genE10ELNS1_11target_archE1201ELNS1_3gpuE5ELNS1_3repE0EEENS1_30default_config_static_selectorELNS0_4arch9wavefront6targetE0EEEvS10_,"axG",@progbits,_ZN7rocprim17ROCPRIM_400000_NS6detail17trampoline_kernelINS0_14default_configENS1_21merge_config_selectorINS0_5tupleIJssEEENS0_10empty_typeEEEZNS1_10merge_implIS3_NS0_12zip_iteratorINS5_IJN6thrust23THRUST_200600_302600_NS6detail15normal_iteratorINSC_10device_ptrIKsEEEESI_EEEEESK_NSA_INS5_IJNSE_INSF_IsEEEESM_EEEEEPS7_SP_SP_NSC_11hip_rocprim7__merge17predicate_wrapperIssNSC_4lessIsEEEEEE10hipError_tPvRmT0_T1_T2_T3_T4_T5_mmT6_P12ihipStream_tbEUlT_E_NS1_11comp_targetILNS1_3genE10ELNS1_11target_archE1201ELNS1_3gpuE5ELNS1_3repE0EEENS1_30default_config_static_selectorELNS0_4arch9wavefront6targetE0EEEvS10_,comdat
.Lfunc_end285:
	.size	_ZN7rocprim17ROCPRIM_400000_NS6detail17trampoline_kernelINS0_14default_configENS1_21merge_config_selectorINS0_5tupleIJssEEENS0_10empty_typeEEEZNS1_10merge_implIS3_NS0_12zip_iteratorINS5_IJN6thrust23THRUST_200600_302600_NS6detail15normal_iteratorINSC_10device_ptrIKsEEEESI_EEEEESK_NSA_INS5_IJNSE_INSF_IsEEEESM_EEEEEPS7_SP_SP_NSC_11hip_rocprim7__merge17predicate_wrapperIssNSC_4lessIsEEEEEE10hipError_tPvRmT0_T1_T2_T3_T4_T5_mmT6_P12ihipStream_tbEUlT_E_NS1_11comp_targetILNS1_3genE10ELNS1_11target_archE1201ELNS1_3gpuE5ELNS1_3repE0EEENS1_30default_config_static_selectorELNS0_4arch9wavefront6targetE0EEEvS10_, .Lfunc_end285-_ZN7rocprim17ROCPRIM_400000_NS6detail17trampoline_kernelINS0_14default_configENS1_21merge_config_selectorINS0_5tupleIJssEEENS0_10empty_typeEEEZNS1_10merge_implIS3_NS0_12zip_iteratorINS5_IJN6thrust23THRUST_200600_302600_NS6detail15normal_iteratorINSC_10device_ptrIKsEEEESI_EEEEESK_NSA_INS5_IJNSE_INSF_IsEEEESM_EEEEEPS7_SP_SP_NSC_11hip_rocprim7__merge17predicate_wrapperIssNSC_4lessIsEEEEEE10hipError_tPvRmT0_T1_T2_T3_T4_T5_mmT6_P12ihipStream_tbEUlT_E_NS1_11comp_targetILNS1_3genE10ELNS1_11target_archE1201ELNS1_3gpuE5ELNS1_3repE0EEENS1_30default_config_static_selectorELNS0_4arch9wavefront6targetE0EEEvS10_
                                        ; -- End function
	.set _ZN7rocprim17ROCPRIM_400000_NS6detail17trampoline_kernelINS0_14default_configENS1_21merge_config_selectorINS0_5tupleIJssEEENS0_10empty_typeEEEZNS1_10merge_implIS3_NS0_12zip_iteratorINS5_IJN6thrust23THRUST_200600_302600_NS6detail15normal_iteratorINSC_10device_ptrIKsEEEESI_EEEEESK_NSA_INS5_IJNSE_INSF_IsEEEESM_EEEEEPS7_SP_SP_NSC_11hip_rocprim7__merge17predicate_wrapperIssNSC_4lessIsEEEEEE10hipError_tPvRmT0_T1_T2_T3_T4_T5_mmT6_P12ihipStream_tbEUlT_E_NS1_11comp_targetILNS1_3genE10ELNS1_11target_archE1201ELNS1_3gpuE5ELNS1_3repE0EEENS1_30default_config_static_selectorELNS0_4arch9wavefront6targetE0EEEvS10_.num_vgpr, 0
	.set _ZN7rocprim17ROCPRIM_400000_NS6detail17trampoline_kernelINS0_14default_configENS1_21merge_config_selectorINS0_5tupleIJssEEENS0_10empty_typeEEEZNS1_10merge_implIS3_NS0_12zip_iteratorINS5_IJN6thrust23THRUST_200600_302600_NS6detail15normal_iteratorINSC_10device_ptrIKsEEEESI_EEEEESK_NSA_INS5_IJNSE_INSF_IsEEEESM_EEEEEPS7_SP_SP_NSC_11hip_rocprim7__merge17predicate_wrapperIssNSC_4lessIsEEEEEE10hipError_tPvRmT0_T1_T2_T3_T4_T5_mmT6_P12ihipStream_tbEUlT_E_NS1_11comp_targetILNS1_3genE10ELNS1_11target_archE1201ELNS1_3gpuE5ELNS1_3repE0EEENS1_30default_config_static_selectorELNS0_4arch9wavefront6targetE0EEEvS10_.num_agpr, 0
	.set _ZN7rocprim17ROCPRIM_400000_NS6detail17trampoline_kernelINS0_14default_configENS1_21merge_config_selectorINS0_5tupleIJssEEENS0_10empty_typeEEEZNS1_10merge_implIS3_NS0_12zip_iteratorINS5_IJN6thrust23THRUST_200600_302600_NS6detail15normal_iteratorINSC_10device_ptrIKsEEEESI_EEEEESK_NSA_INS5_IJNSE_INSF_IsEEEESM_EEEEEPS7_SP_SP_NSC_11hip_rocprim7__merge17predicate_wrapperIssNSC_4lessIsEEEEEE10hipError_tPvRmT0_T1_T2_T3_T4_T5_mmT6_P12ihipStream_tbEUlT_E_NS1_11comp_targetILNS1_3genE10ELNS1_11target_archE1201ELNS1_3gpuE5ELNS1_3repE0EEENS1_30default_config_static_selectorELNS0_4arch9wavefront6targetE0EEEvS10_.numbered_sgpr, 0
	.set _ZN7rocprim17ROCPRIM_400000_NS6detail17trampoline_kernelINS0_14default_configENS1_21merge_config_selectorINS0_5tupleIJssEEENS0_10empty_typeEEEZNS1_10merge_implIS3_NS0_12zip_iteratorINS5_IJN6thrust23THRUST_200600_302600_NS6detail15normal_iteratorINSC_10device_ptrIKsEEEESI_EEEEESK_NSA_INS5_IJNSE_INSF_IsEEEESM_EEEEEPS7_SP_SP_NSC_11hip_rocprim7__merge17predicate_wrapperIssNSC_4lessIsEEEEEE10hipError_tPvRmT0_T1_T2_T3_T4_T5_mmT6_P12ihipStream_tbEUlT_E_NS1_11comp_targetILNS1_3genE10ELNS1_11target_archE1201ELNS1_3gpuE5ELNS1_3repE0EEENS1_30default_config_static_selectorELNS0_4arch9wavefront6targetE0EEEvS10_.num_named_barrier, 0
	.set _ZN7rocprim17ROCPRIM_400000_NS6detail17trampoline_kernelINS0_14default_configENS1_21merge_config_selectorINS0_5tupleIJssEEENS0_10empty_typeEEEZNS1_10merge_implIS3_NS0_12zip_iteratorINS5_IJN6thrust23THRUST_200600_302600_NS6detail15normal_iteratorINSC_10device_ptrIKsEEEESI_EEEEESK_NSA_INS5_IJNSE_INSF_IsEEEESM_EEEEEPS7_SP_SP_NSC_11hip_rocprim7__merge17predicate_wrapperIssNSC_4lessIsEEEEEE10hipError_tPvRmT0_T1_T2_T3_T4_T5_mmT6_P12ihipStream_tbEUlT_E_NS1_11comp_targetILNS1_3genE10ELNS1_11target_archE1201ELNS1_3gpuE5ELNS1_3repE0EEENS1_30default_config_static_selectorELNS0_4arch9wavefront6targetE0EEEvS10_.private_seg_size, 0
	.set _ZN7rocprim17ROCPRIM_400000_NS6detail17trampoline_kernelINS0_14default_configENS1_21merge_config_selectorINS0_5tupleIJssEEENS0_10empty_typeEEEZNS1_10merge_implIS3_NS0_12zip_iteratorINS5_IJN6thrust23THRUST_200600_302600_NS6detail15normal_iteratorINSC_10device_ptrIKsEEEESI_EEEEESK_NSA_INS5_IJNSE_INSF_IsEEEESM_EEEEEPS7_SP_SP_NSC_11hip_rocprim7__merge17predicate_wrapperIssNSC_4lessIsEEEEEE10hipError_tPvRmT0_T1_T2_T3_T4_T5_mmT6_P12ihipStream_tbEUlT_E_NS1_11comp_targetILNS1_3genE10ELNS1_11target_archE1201ELNS1_3gpuE5ELNS1_3repE0EEENS1_30default_config_static_selectorELNS0_4arch9wavefront6targetE0EEEvS10_.uses_vcc, 0
	.set _ZN7rocprim17ROCPRIM_400000_NS6detail17trampoline_kernelINS0_14default_configENS1_21merge_config_selectorINS0_5tupleIJssEEENS0_10empty_typeEEEZNS1_10merge_implIS3_NS0_12zip_iteratorINS5_IJN6thrust23THRUST_200600_302600_NS6detail15normal_iteratorINSC_10device_ptrIKsEEEESI_EEEEESK_NSA_INS5_IJNSE_INSF_IsEEEESM_EEEEEPS7_SP_SP_NSC_11hip_rocprim7__merge17predicate_wrapperIssNSC_4lessIsEEEEEE10hipError_tPvRmT0_T1_T2_T3_T4_T5_mmT6_P12ihipStream_tbEUlT_E_NS1_11comp_targetILNS1_3genE10ELNS1_11target_archE1201ELNS1_3gpuE5ELNS1_3repE0EEENS1_30default_config_static_selectorELNS0_4arch9wavefront6targetE0EEEvS10_.uses_flat_scratch, 0
	.set _ZN7rocprim17ROCPRIM_400000_NS6detail17trampoline_kernelINS0_14default_configENS1_21merge_config_selectorINS0_5tupleIJssEEENS0_10empty_typeEEEZNS1_10merge_implIS3_NS0_12zip_iteratorINS5_IJN6thrust23THRUST_200600_302600_NS6detail15normal_iteratorINSC_10device_ptrIKsEEEESI_EEEEESK_NSA_INS5_IJNSE_INSF_IsEEEESM_EEEEEPS7_SP_SP_NSC_11hip_rocprim7__merge17predicate_wrapperIssNSC_4lessIsEEEEEE10hipError_tPvRmT0_T1_T2_T3_T4_T5_mmT6_P12ihipStream_tbEUlT_E_NS1_11comp_targetILNS1_3genE10ELNS1_11target_archE1201ELNS1_3gpuE5ELNS1_3repE0EEENS1_30default_config_static_selectorELNS0_4arch9wavefront6targetE0EEEvS10_.has_dyn_sized_stack, 0
	.set _ZN7rocprim17ROCPRIM_400000_NS6detail17trampoline_kernelINS0_14default_configENS1_21merge_config_selectorINS0_5tupleIJssEEENS0_10empty_typeEEEZNS1_10merge_implIS3_NS0_12zip_iteratorINS5_IJN6thrust23THRUST_200600_302600_NS6detail15normal_iteratorINSC_10device_ptrIKsEEEESI_EEEEESK_NSA_INS5_IJNSE_INSF_IsEEEESM_EEEEEPS7_SP_SP_NSC_11hip_rocprim7__merge17predicate_wrapperIssNSC_4lessIsEEEEEE10hipError_tPvRmT0_T1_T2_T3_T4_T5_mmT6_P12ihipStream_tbEUlT_E_NS1_11comp_targetILNS1_3genE10ELNS1_11target_archE1201ELNS1_3gpuE5ELNS1_3repE0EEENS1_30default_config_static_selectorELNS0_4arch9wavefront6targetE0EEEvS10_.has_recursion, 0
	.set _ZN7rocprim17ROCPRIM_400000_NS6detail17trampoline_kernelINS0_14default_configENS1_21merge_config_selectorINS0_5tupleIJssEEENS0_10empty_typeEEEZNS1_10merge_implIS3_NS0_12zip_iteratorINS5_IJN6thrust23THRUST_200600_302600_NS6detail15normal_iteratorINSC_10device_ptrIKsEEEESI_EEEEESK_NSA_INS5_IJNSE_INSF_IsEEEESM_EEEEEPS7_SP_SP_NSC_11hip_rocprim7__merge17predicate_wrapperIssNSC_4lessIsEEEEEE10hipError_tPvRmT0_T1_T2_T3_T4_T5_mmT6_P12ihipStream_tbEUlT_E_NS1_11comp_targetILNS1_3genE10ELNS1_11target_archE1201ELNS1_3gpuE5ELNS1_3repE0EEENS1_30default_config_static_selectorELNS0_4arch9wavefront6targetE0EEEvS10_.has_indirect_call, 0
	.section	.AMDGPU.csdata,"",@progbits
; Kernel info:
; codeLenInByte = 0
; TotalNumSgprs: 0
; NumVgprs: 0
; ScratchSize: 0
; MemoryBound: 0
; FloatMode: 240
; IeeeMode: 1
; LDSByteSize: 0 bytes/workgroup (compile time only)
; SGPRBlocks: 0
; VGPRBlocks: 0
; NumSGPRsForWavesPerEU: 1
; NumVGPRsForWavesPerEU: 1
; Occupancy: 16
; WaveLimiterHint : 0
; COMPUTE_PGM_RSRC2:SCRATCH_EN: 0
; COMPUTE_PGM_RSRC2:USER_SGPR: 6
; COMPUTE_PGM_RSRC2:TRAP_HANDLER: 0
; COMPUTE_PGM_RSRC2:TGID_X_EN: 1
; COMPUTE_PGM_RSRC2:TGID_Y_EN: 0
; COMPUTE_PGM_RSRC2:TGID_Z_EN: 0
; COMPUTE_PGM_RSRC2:TIDIG_COMP_CNT: 0
	.section	.text._ZN7rocprim17ROCPRIM_400000_NS6detail17trampoline_kernelINS0_14default_configENS1_21merge_config_selectorINS0_5tupleIJssEEENS0_10empty_typeEEEZNS1_10merge_implIS3_NS0_12zip_iteratorINS5_IJN6thrust23THRUST_200600_302600_NS6detail15normal_iteratorINSC_10device_ptrIKsEEEESI_EEEEESK_NSA_INS5_IJNSE_INSF_IsEEEESM_EEEEEPS7_SP_SP_NSC_11hip_rocprim7__merge17predicate_wrapperIssNSC_4lessIsEEEEEE10hipError_tPvRmT0_T1_T2_T3_T4_T5_mmT6_P12ihipStream_tbEUlT_E_NS1_11comp_targetILNS1_3genE10ELNS1_11target_archE1200ELNS1_3gpuE4ELNS1_3repE0EEENS1_30default_config_static_selectorELNS0_4arch9wavefront6targetE0EEEvS10_,"axG",@progbits,_ZN7rocprim17ROCPRIM_400000_NS6detail17trampoline_kernelINS0_14default_configENS1_21merge_config_selectorINS0_5tupleIJssEEENS0_10empty_typeEEEZNS1_10merge_implIS3_NS0_12zip_iteratorINS5_IJN6thrust23THRUST_200600_302600_NS6detail15normal_iteratorINSC_10device_ptrIKsEEEESI_EEEEESK_NSA_INS5_IJNSE_INSF_IsEEEESM_EEEEEPS7_SP_SP_NSC_11hip_rocprim7__merge17predicate_wrapperIssNSC_4lessIsEEEEEE10hipError_tPvRmT0_T1_T2_T3_T4_T5_mmT6_P12ihipStream_tbEUlT_E_NS1_11comp_targetILNS1_3genE10ELNS1_11target_archE1200ELNS1_3gpuE4ELNS1_3repE0EEENS1_30default_config_static_selectorELNS0_4arch9wavefront6targetE0EEEvS10_,comdat
	.protected	_ZN7rocprim17ROCPRIM_400000_NS6detail17trampoline_kernelINS0_14default_configENS1_21merge_config_selectorINS0_5tupleIJssEEENS0_10empty_typeEEEZNS1_10merge_implIS3_NS0_12zip_iteratorINS5_IJN6thrust23THRUST_200600_302600_NS6detail15normal_iteratorINSC_10device_ptrIKsEEEESI_EEEEESK_NSA_INS5_IJNSE_INSF_IsEEEESM_EEEEEPS7_SP_SP_NSC_11hip_rocprim7__merge17predicate_wrapperIssNSC_4lessIsEEEEEE10hipError_tPvRmT0_T1_T2_T3_T4_T5_mmT6_P12ihipStream_tbEUlT_E_NS1_11comp_targetILNS1_3genE10ELNS1_11target_archE1200ELNS1_3gpuE4ELNS1_3repE0EEENS1_30default_config_static_selectorELNS0_4arch9wavefront6targetE0EEEvS10_ ; -- Begin function _ZN7rocprim17ROCPRIM_400000_NS6detail17trampoline_kernelINS0_14default_configENS1_21merge_config_selectorINS0_5tupleIJssEEENS0_10empty_typeEEEZNS1_10merge_implIS3_NS0_12zip_iteratorINS5_IJN6thrust23THRUST_200600_302600_NS6detail15normal_iteratorINSC_10device_ptrIKsEEEESI_EEEEESK_NSA_INS5_IJNSE_INSF_IsEEEESM_EEEEEPS7_SP_SP_NSC_11hip_rocprim7__merge17predicate_wrapperIssNSC_4lessIsEEEEEE10hipError_tPvRmT0_T1_T2_T3_T4_T5_mmT6_P12ihipStream_tbEUlT_E_NS1_11comp_targetILNS1_3genE10ELNS1_11target_archE1200ELNS1_3gpuE4ELNS1_3repE0EEENS1_30default_config_static_selectorELNS0_4arch9wavefront6targetE0EEEvS10_
	.globl	_ZN7rocprim17ROCPRIM_400000_NS6detail17trampoline_kernelINS0_14default_configENS1_21merge_config_selectorINS0_5tupleIJssEEENS0_10empty_typeEEEZNS1_10merge_implIS3_NS0_12zip_iteratorINS5_IJN6thrust23THRUST_200600_302600_NS6detail15normal_iteratorINSC_10device_ptrIKsEEEESI_EEEEESK_NSA_INS5_IJNSE_INSF_IsEEEESM_EEEEEPS7_SP_SP_NSC_11hip_rocprim7__merge17predicate_wrapperIssNSC_4lessIsEEEEEE10hipError_tPvRmT0_T1_T2_T3_T4_T5_mmT6_P12ihipStream_tbEUlT_E_NS1_11comp_targetILNS1_3genE10ELNS1_11target_archE1200ELNS1_3gpuE4ELNS1_3repE0EEENS1_30default_config_static_selectorELNS0_4arch9wavefront6targetE0EEEvS10_
	.p2align	8
	.type	_ZN7rocprim17ROCPRIM_400000_NS6detail17trampoline_kernelINS0_14default_configENS1_21merge_config_selectorINS0_5tupleIJssEEENS0_10empty_typeEEEZNS1_10merge_implIS3_NS0_12zip_iteratorINS5_IJN6thrust23THRUST_200600_302600_NS6detail15normal_iteratorINSC_10device_ptrIKsEEEESI_EEEEESK_NSA_INS5_IJNSE_INSF_IsEEEESM_EEEEEPS7_SP_SP_NSC_11hip_rocprim7__merge17predicate_wrapperIssNSC_4lessIsEEEEEE10hipError_tPvRmT0_T1_T2_T3_T4_T5_mmT6_P12ihipStream_tbEUlT_E_NS1_11comp_targetILNS1_3genE10ELNS1_11target_archE1200ELNS1_3gpuE4ELNS1_3repE0EEENS1_30default_config_static_selectorELNS0_4arch9wavefront6targetE0EEEvS10_,@function
_ZN7rocprim17ROCPRIM_400000_NS6detail17trampoline_kernelINS0_14default_configENS1_21merge_config_selectorINS0_5tupleIJssEEENS0_10empty_typeEEEZNS1_10merge_implIS3_NS0_12zip_iteratorINS5_IJN6thrust23THRUST_200600_302600_NS6detail15normal_iteratorINSC_10device_ptrIKsEEEESI_EEEEESK_NSA_INS5_IJNSE_INSF_IsEEEESM_EEEEEPS7_SP_SP_NSC_11hip_rocprim7__merge17predicate_wrapperIssNSC_4lessIsEEEEEE10hipError_tPvRmT0_T1_T2_T3_T4_T5_mmT6_P12ihipStream_tbEUlT_E_NS1_11comp_targetILNS1_3genE10ELNS1_11target_archE1200ELNS1_3gpuE4ELNS1_3repE0EEENS1_30default_config_static_selectorELNS0_4arch9wavefront6targetE0EEEvS10_: ; @_ZN7rocprim17ROCPRIM_400000_NS6detail17trampoline_kernelINS0_14default_configENS1_21merge_config_selectorINS0_5tupleIJssEEENS0_10empty_typeEEEZNS1_10merge_implIS3_NS0_12zip_iteratorINS5_IJN6thrust23THRUST_200600_302600_NS6detail15normal_iteratorINSC_10device_ptrIKsEEEESI_EEEEESK_NSA_INS5_IJNSE_INSF_IsEEEESM_EEEEEPS7_SP_SP_NSC_11hip_rocprim7__merge17predicate_wrapperIssNSC_4lessIsEEEEEE10hipError_tPvRmT0_T1_T2_T3_T4_T5_mmT6_P12ihipStream_tbEUlT_E_NS1_11comp_targetILNS1_3genE10ELNS1_11target_archE1200ELNS1_3gpuE4ELNS1_3repE0EEENS1_30default_config_static_selectorELNS0_4arch9wavefront6targetE0EEEvS10_
; %bb.0:
	.section	.rodata,"a",@progbits
	.p2align	6, 0x0
	.amdhsa_kernel _ZN7rocprim17ROCPRIM_400000_NS6detail17trampoline_kernelINS0_14default_configENS1_21merge_config_selectorINS0_5tupleIJssEEENS0_10empty_typeEEEZNS1_10merge_implIS3_NS0_12zip_iteratorINS5_IJN6thrust23THRUST_200600_302600_NS6detail15normal_iteratorINSC_10device_ptrIKsEEEESI_EEEEESK_NSA_INS5_IJNSE_INSF_IsEEEESM_EEEEEPS7_SP_SP_NSC_11hip_rocprim7__merge17predicate_wrapperIssNSC_4lessIsEEEEEE10hipError_tPvRmT0_T1_T2_T3_T4_T5_mmT6_P12ihipStream_tbEUlT_E_NS1_11comp_targetILNS1_3genE10ELNS1_11target_archE1200ELNS1_3gpuE4ELNS1_3repE0EEENS1_30default_config_static_selectorELNS0_4arch9wavefront6targetE0EEEvS10_
		.amdhsa_group_segment_fixed_size 0
		.amdhsa_private_segment_fixed_size 0
		.amdhsa_kernarg_size 64
		.amdhsa_user_sgpr_count 6
		.amdhsa_user_sgpr_private_segment_buffer 1
		.amdhsa_user_sgpr_dispatch_ptr 0
		.amdhsa_user_sgpr_queue_ptr 0
		.amdhsa_user_sgpr_kernarg_segment_ptr 1
		.amdhsa_user_sgpr_dispatch_id 0
		.amdhsa_user_sgpr_flat_scratch_init 0
		.amdhsa_user_sgpr_private_segment_size 0
		.amdhsa_wavefront_size32 1
		.amdhsa_uses_dynamic_stack 0
		.amdhsa_system_sgpr_private_segment_wavefront_offset 0
		.amdhsa_system_sgpr_workgroup_id_x 1
		.amdhsa_system_sgpr_workgroup_id_y 0
		.amdhsa_system_sgpr_workgroup_id_z 0
		.amdhsa_system_sgpr_workgroup_info 0
		.amdhsa_system_vgpr_workitem_id 0
		.amdhsa_next_free_vgpr 1
		.amdhsa_next_free_sgpr 1
		.amdhsa_reserve_vcc 0
		.amdhsa_reserve_flat_scratch 0
		.amdhsa_float_round_mode_32 0
		.amdhsa_float_round_mode_16_64 0
		.amdhsa_float_denorm_mode_32 3
		.amdhsa_float_denorm_mode_16_64 3
		.amdhsa_dx10_clamp 1
		.amdhsa_ieee_mode 1
		.amdhsa_fp16_overflow 0
		.amdhsa_workgroup_processor_mode 1
		.amdhsa_memory_ordered 1
		.amdhsa_forward_progress 1
		.amdhsa_shared_vgpr_count 0
		.amdhsa_exception_fp_ieee_invalid_op 0
		.amdhsa_exception_fp_denorm_src 0
		.amdhsa_exception_fp_ieee_div_zero 0
		.amdhsa_exception_fp_ieee_overflow 0
		.amdhsa_exception_fp_ieee_underflow 0
		.amdhsa_exception_fp_ieee_inexact 0
		.amdhsa_exception_int_div_zero 0
	.end_amdhsa_kernel
	.section	.text._ZN7rocprim17ROCPRIM_400000_NS6detail17trampoline_kernelINS0_14default_configENS1_21merge_config_selectorINS0_5tupleIJssEEENS0_10empty_typeEEEZNS1_10merge_implIS3_NS0_12zip_iteratorINS5_IJN6thrust23THRUST_200600_302600_NS6detail15normal_iteratorINSC_10device_ptrIKsEEEESI_EEEEESK_NSA_INS5_IJNSE_INSF_IsEEEESM_EEEEEPS7_SP_SP_NSC_11hip_rocprim7__merge17predicate_wrapperIssNSC_4lessIsEEEEEE10hipError_tPvRmT0_T1_T2_T3_T4_T5_mmT6_P12ihipStream_tbEUlT_E_NS1_11comp_targetILNS1_3genE10ELNS1_11target_archE1200ELNS1_3gpuE4ELNS1_3repE0EEENS1_30default_config_static_selectorELNS0_4arch9wavefront6targetE0EEEvS10_,"axG",@progbits,_ZN7rocprim17ROCPRIM_400000_NS6detail17trampoline_kernelINS0_14default_configENS1_21merge_config_selectorINS0_5tupleIJssEEENS0_10empty_typeEEEZNS1_10merge_implIS3_NS0_12zip_iteratorINS5_IJN6thrust23THRUST_200600_302600_NS6detail15normal_iteratorINSC_10device_ptrIKsEEEESI_EEEEESK_NSA_INS5_IJNSE_INSF_IsEEEESM_EEEEEPS7_SP_SP_NSC_11hip_rocprim7__merge17predicate_wrapperIssNSC_4lessIsEEEEEE10hipError_tPvRmT0_T1_T2_T3_T4_T5_mmT6_P12ihipStream_tbEUlT_E_NS1_11comp_targetILNS1_3genE10ELNS1_11target_archE1200ELNS1_3gpuE4ELNS1_3repE0EEENS1_30default_config_static_selectorELNS0_4arch9wavefront6targetE0EEEvS10_,comdat
.Lfunc_end286:
	.size	_ZN7rocprim17ROCPRIM_400000_NS6detail17trampoline_kernelINS0_14default_configENS1_21merge_config_selectorINS0_5tupleIJssEEENS0_10empty_typeEEEZNS1_10merge_implIS3_NS0_12zip_iteratorINS5_IJN6thrust23THRUST_200600_302600_NS6detail15normal_iteratorINSC_10device_ptrIKsEEEESI_EEEEESK_NSA_INS5_IJNSE_INSF_IsEEEESM_EEEEEPS7_SP_SP_NSC_11hip_rocprim7__merge17predicate_wrapperIssNSC_4lessIsEEEEEE10hipError_tPvRmT0_T1_T2_T3_T4_T5_mmT6_P12ihipStream_tbEUlT_E_NS1_11comp_targetILNS1_3genE10ELNS1_11target_archE1200ELNS1_3gpuE4ELNS1_3repE0EEENS1_30default_config_static_selectorELNS0_4arch9wavefront6targetE0EEEvS10_, .Lfunc_end286-_ZN7rocprim17ROCPRIM_400000_NS6detail17trampoline_kernelINS0_14default_configENS1_21merge_config_selectorINS0_5tupleIJssEEENS0_10empty_typeEEEZNS1_10merge_implIS3_NS0_12zip_iteratorINS5_IJN6thrust23THRUST_200600_302600_NS6detail15normal_iteratorINSC_10device_ptrIKsEEEESI_EEEEESK_NSA_INS5_IJNSE_INSF_IsEEEESM_EEEEEPS7_SP_SP_NSC_11hip_rocprim7__merge17predicate_wrapperIssNSC_4lessIsEEEEEE10hipError_tPvRmT0_T1_T2_T3_T4_T5_mmT6_P12ihipStream_tbEUlT_E_NS1_11comp_targetILNS1_3genE10ELNS1_11target_archE1200ELNS1_3gpuE4ELNS1_3repE0EEENS1_30default_config_static_selectorELNS0_4arch9wavefront6targetE0EEEvS10_
                                        ; -- End function
	.set _ZN7rocprim17ROCPRIM_400000_NS6detail17trampoline_kernelINS0_14default_configENS1_21merge_config_selectorINS0_5tupleIJssEEENS0_10empty_typeEEEZNS1_10merge_implIS3_NS0_12zip_iteratorINS5_IJN6thrust23THRUST_200600_302600_NS6detail15normal_iteratorINSC_10device_ptrIKsEEEESI_EEEEESK_NSA_INS5_IJNSE_INSF_IsEEEESM_EEEEEPS7_SP_SP_NSC_11hip_rocprim7__merge17predicate_wrapperIssNSC_4lessIsEEEEEE10hipError_tPvRmT0_T1_T2_T3_T4_T5_mmT6_P12ihipStream_tbEUlT_E_NS1_11comp_targetILNS1_3genE10ELNS1_11target_archE1200ELNS1_3gpuE4ELNS1_3repE0EEENS1_30default_config_static_selectorELNS0_4arch9wavefront6targetE0EEEvS10_.num_vgpr, 0
	.set _ZN7rocprim17ROCPRIM_400000_NS6detail17trampoline_kernelINS0_14default_configENS1_21merge_config_selectorINS0_5tupleIJssEEENS0_10empty_typeEEEZNS1_10merge_implIS3_NS0_12zip_iteratorINS5_IJN6thrust23THRUST_200600_302600_NS6detail15normal_iteratorINSC_10device_ptrIKsEEEESI_EEEEESK_NSA_INS5_IJNSE_INSF_IsEEEESM_EEEEEPS7_SP_SP_NSC_11hip_rocprim7__merge17predicate_wrapperIssNSC_4lessIsEEEEEE10hipError_tPvRmT0_T1_T2_T3_T4_T5_mmT6_P12ihipStream_tbEUlT_E_NS1_11comp_targetILNS1_3genE10ELNS1_11target_archE1200ELNS1_3gpuE4ELNS1_3repE0EEENS1_30default_config_static_selectorELNS0_4arch9wavefront6targetE0EEEvS10_.num_agpr, 0
	.set _ZN7rocprim17ROCPRIM_400000_NS6detail17trampoline_kernelINS0_14default_configENS1_21merge_config_selectorINS0_5tupleIJssEEENS0_10empty_typeEEEZNS1_10merge_implIS3_NS0_12zip_iteratorINS5_IJN6thrust23THRUST_200600_302600_NS6detail15normal_iteratorINSC_10device_ptrIKsEEEESI_EEEEESK_NSA_INS5_IJNSE_INSF_IsEEEESM_EEEEEPS7_SP_SP_NSC_11hip_rocprim7__merge17predicate_wrapperIssNSC_4lessIsEEEEEE10hipError_tPvRmT0_T1_T2_T3_T4_T5_mmT6_P12ihipStream_tbEUlT_E_NS1_11comp_targetILNS1_3genE10ELNS1_11target_archE1200ELNS1_3gpuE4ELNS1_3repE0EEENS1_30default_config_static_selectorELNS0_4arch9wavefront6targetE0EEEvS10_.numbered_sgpr, 0
	.set _ZN7rocprim17ROCPRIM_400000_NS6detail17trampoline_kernelINS0_14default_configENS1_21merge_config_selectorINS0_5tupleIJssEEENS0_10empty_typeEEEZNS1_10merge_implIS3_NS0_12zip_iteratorINS5_IJN6thrust23THRUST_200600_302600_NS6detail15normal_iteratorINSC_10device_ptrIKsEEEESI_EEEEESK_NSA_INS5_IJNSE_INSF_IsEEEESM_EEEEEPS7_SP_SP_NSC_11hip_rocprim7__merge17predicate_wrapperIssNSC_4lessIsEEEEEE10hipError_tPvRmT0_T1_T2_T3_T4_T5_mmT6_P12ihipStream_tbEUlT_E_NS1_11comp_targetILNS1_3genE10ELNS1_11target_archE1200ELNS1_3gpuE4ELNS1_3repE0EEENS1_30default_config_static_selectorELNS0_4arch9wavefront6targetE0EEEvS10_.num_named_barrier, 0
	.set _ZN7rocprim17ROCPRIM_400000_NS6detail17trampoline_kernelINS0_14default_configENS1_21merge_config_selectorINS0_5tupleIJssEEENS0_10empty_typeEEEZNS1_10merge_implIS3_NS0_12zip_iteratorINS5_IJN6thrust23THRUST_200600_302600_NS6detail15normal_iteratorINSC_10device_ptrIKsEEEESI_EEEEESK_NSA_INS5_IJNSE_INSF_IsEEEESM_EEEEEPS7_SP_SP_NSC_11hip_rocprim7__merge17predicate_wrapperIssNSC_4lessIsEEEEEE10hipError_tPvRmT0_T1_T2_T3_T4_T5_mmT6_P12ihipStream_tbEUlT_E_NS1_11comp_targetILNS1_3genE10ELNS1_11target_archE1200ELNS1_3gpuE4ELNS1_3repE0EEENS1_30default_config_static_selectorELNS0_4arch9wavefront6targetE0EEEvS10_.private_seg_size, 0
	.set _ZN7rocprim17ROCPRIM_400000_NS6detail17trampoline_kernelINS0_14default_configENS1_21merge_config_selectorINS0_5tupleIJssEEENS0_10empty_typeEEEZNS1_10merge_implIS3_NS0_12zip_iteratorINS5_IJN6thrust23THRUST_200600_302600_NS6detail15normal_iteratorINSC_10device_ptrIKsEEEESI_EEEEESK_NSA_INS5_IJNSE_INSF_IsEEEESM_EEEEEPS7_SP_SP_NSC_11hip_rocprim7__merge17predicate_wrapperIssNSC_4lessIsEEEEEE10hipError_tPvRmT0_T1_T2_T3_T4_T5_mmT6_P12ihipStream_tbEUlT_E_NS1_11comp_targetILNS1_3genE10ELNS1_11target_archE1200ELNS1_3gpuE4ELNS1_3repE0EEENS1_30default_config_static_selectorELNS0_4arch9wavefront6targetE0EEEvS10_.uses_vcc, 0
	.set _ZN7rocprim17ROCPRIM_400000_NS6detail17trampoline_kernelINS0_14default_configENS1_21merge_config_selectorINS0_5tupleIJssEEENS0_10empty_typeEEEZNS1_10merge_implIS3_NS0_12zip_iteratorINS5_IJN6thrust23THRUST_200600_302600_NS6detail15normal_iteratorINSC_10device_ptrIKsEEEESI_EEEEESK_NSA_INS5_IJNSE_INSF_IsEEEESM_EEEEEPS7_SP_SP_NSC_11hip_rocprim7__merge17predicate_wrapperIssNSC_4lessIsEEEEEE10hipError_tPvRmT0_T1_T2_T3_T4_T5_mmT6_P12ihipStream_tbEUlT_E_NS1_11comp_targetILNS1_3genE10ELNS1_11target_archE1200ELNS1_3gpuE4ELNS1_3repE0EEENS1_30default_config_static_selectorELNS0_4arch9wavefront6targetE0EEEvS10_.uses_flat_scratch, 0
	.set _ZN7rocprim17ROCPRIM_400000_NS6detail17trampoline_kernelINS0_14default_configENS1_21merge_config_selectorINS0_5tupleIJssEEENS0_10empty_typeEEEZNS1_10merge_implIS3_NS0_12zip_iteratorINS5_IJN6thrust23THRUST_200600_302600_NS6detail15normal_iteratorINSC_10device_ptrIKsEEEESI_EEEEESK_NSA_INS5_IJNSE_INSF_IsEEEESM_EEEEEPS7_SP_SP_NSC_11hip_rocprim7__merge17predicate_wrapperIssNSC_4lessIsEEEEEE10hipError_tPvRmT0_T1_T2_T3_T4_T5_mmT6_P12ihipStream_tbEUlT_E_NS1_11comp_targetILNS1_3genE10ELNS1_11target_archE1200ELNS1_3gpuE4ELNS1_3repE0EEENS1_30default_config_static_selectorELNS0_4arch9wavefront6targetE0EEEvS10_.has_dyn_sized_stack, 0
	.set _ZN7rocprim17ROCPRIM_400000_NS6detail17trampoline_kernelINS0_14default_configENS1_21merge_config_selectorINS0_5tupleIJssEEENS0_10empty_typeEEEZNS1_10merge_implIS3_NS0_12zip_iteratorINS5_IJN6thrust23THRUST_200600_302600_NS6detail15normal_iteratorINSC_10device_ptrIKsEEEESI_EEEEESK_NSA_INS5_IJNSE_INSF_IsEEEESM_EEEEEPS7_SP_SP_NSC_11hip_rocprim7__merge17predicate_wrapperIssNSC_4lessIsEEEEEE10hipError_tPvRmT0_T1_T2_T3_T4_T5_mmT6_P12ihipStream_tbEUlT_E_NS1_11comp_targetILNS1_3genE10ELNS1_11target_archE1200ELNS1_3gpuE4ELNS1_3repE0EEENS1_30default_config_static_selectorELNS0_4arch9wavefront6targetE0EEEvS10_.has_recursion, 0
	.set _ZN7rocprim17ROCPRIM_400000_NS6detail17trampoline_kernelINS0_14default_configENS1_21merge_config_selectorINS0_5tupleIJssEEENS0_10empty_typeEEEZNS1_10merge_implIS3_NS0_12zip_iteratorINS5_IJN6thrust23THRUST_200600_302600_NS6detail15normal_iteratorINSC_10device_ptrIKsEEEESI_EEEEESK_NSA_INS5_IJNSE_INSF_IsEEEESM_EEEEEPS7_SP_SP_NSC_11hip_rocprim7__merge17predicate_wrapperIssNSC_4lessIsEEEEEE10hipError_tPvRmT0_T1_T2_T3_T4_T5_mmT6_P12ihipStream_tbEUlT_E_NS1_11comp_targetILNS1_3genE10ELNS1_11target_archE1200ELNS1_3gpuE4ELNS1_3repE0EEENS1_30default_config_static_selectorELNS0_4arch9wavefront6targetE0EEEvS10_.has_indirect_call, 0
	.section	.AMDGPU.csdata,"",@progbits
; Kernel info:
; codeLenInByte = 0
; TotalNumSgprs: 0
; NumVgprs: 0
; ScratchSize: 0
; MemoryBound: 0
; FloatMode: 240
; IeeeMode: 1
; LDSByteSize: 0 bytes/workgroup (compile time only)
; SGPRBlocks: 0
; VGPRBlocks: 0
; NumSGPRsForWavesPerEU: 1
; NumVGPRsForWavesPerEU: 1
; Occupancy: 16
; WaveLimiterHint : 0
; COMPUTE_PGM_RSRC2:SCRATCH_EN: 0
; COMPUTE_PGM_RSRC2:USER_SGPR: 6
; COMPUTE_PGM_RSRC2:TRAP_HANDLER: 0
; COMPUTE_PGM_RSRC2:TGID_X_EN: 1
; COMPUTE_PGM_RSRC2:TGID_Y_EN: 0
; COMPUTE_PGM_RSRC2:TGID_Z_EN: 0
; COMPUTE_PGM_RSRC2:TIDIG_COMP_CNT: 0
	.section	.text._ZN7rocprim17ROCPRIM_400000_NS6detail17trampoline_kernelINS0_14default_configENS1_21merge_config_selectorINS0_5tupleIJssEEENS0_10empty_typeEEEZNS1_10merge_implIS3_NS0_12zip_iteratorINS5_IJN6thrust23THRUST_200600_302600_NS6detail15normal_iteratorINSC_10device_ptrIKsEEEESI_EEEEESK_NSA_INS5_IJNSE_INSF_IsEEEESM_EEEEEPS7_SP_SP_NSC_11hip_rocprim7__merge17predicate_wrapperIssNSC_4lessIsEEEEEE10hipError_tPvRmT0_T1_T2_T3_T4_T5_mmT6_P12ihipStream_tbEUlT_E_NS1_11comp_targetILNS1_3genE9ELNS1_11target_archE1100ELNS1_3gpuE3ELNS1_3repE0EEENS1_30default_config_static_selectorELNS0_4arch9wavefront6targetE0EEEvS10_,"axG",@progbits,_ZN7rocprim17ROCPRIM_400000_NS6detail17trampoline_kernelINS0_14default_configENS1_21merge_config_selectorINS0_5tupleIJssEEENS0_10empty_typeEEEZNS1_10merge_implIS3_NS0_12zip_iteratorINS5_IJN6thrust23THRUST_200600_302600_NS6detail15normal_iteratorINSC_10device_ptrIKsEEEESI_EEEEESK_NSA_INS5_IJNSE_INSF_IsEEEESM_EEEEEPS7_SP_SP_NSC_11hip_rocprim7__merge17predicate_wrapperIssNSC_4lessIsEEEEEE10hipError_tPvRmT0_T1_T2_T3_T4_T5_mmT6_P12ihipStream_tbEUlT_E_NS1_11comp_targetILNS1_3genE9ELNS1_11target_archE1100ELNS1_3gpuE3ELNS1_3repE0EEENS1_30default_config_static_selectorELNS0_4arch9wavefront6targetE0EEEvS10_,comdat
	.protected	_ZN7rocprim17ROCPRIM_400000_NS6detail17trampoline_kernelINS0_14default_configENS1_21merge_config_selectorINS0_5tupleIJssEEENS0_10empty_typeEEEZNS1_10merge_implIS3_NS0_12zip_iteratorINS5_IJN6thrust23THRUST_200600_302600_NS6detail15normal_iteratorINSC_10device_ptrIKsEEEESI_EEEEESK_NSA_INS5_IJNSE_INSF_IsEEEESM_EEEEEPS7_SP_SP_NSC_11hip_rocprim7__merge17predicate_wrapperIssNSC_4lessIsEEEEEE10hipError_tPvRmT0_T1_T2_T3_T4_T5_mmT6_P12ihipStream_tbEUlT_E_NS1_11comp_targetILNS1_3genE9ELNS1_11target_archE1100ELNS1_3gpuE3ELNS1_3repE0EEENS1_30default_config_static_selectorELNS0_4arch9wavefront6targetE0EEEvS10_ ; -- Begin function _ZN7rocprim17ROCPRIM_400000_NS6detail17trampoline_kernelINS0_14default_configENS1_21merge_config_selectorINS0_5tupleIJssEEENS0_10empty_typeEEEZNS1_10merge_implIS3_NS0_12zip_iteratorINS5_IJN6thrust23THRUST_200600_302600_NS6detail15normal_iteratorINSC_10device_ptrIKsEEEESI_EEEEESK_NSA_INS5_IJNSE_INSF_IsEEEESM_EEEEEPS7_SP_SP_NSC_11hip_rocprim7__merge17predicate_wrapperIssNSC_4lessIsEEEEEE10hipError_tPvRmT0_T1_T2_T3_T4_T5_mmT6_P12ihipStream_tbEUlT_E_NS1_11comp_targetILNS1_3genE9ELNS1_11target_archE1100ELNS1_3gpuE3ELNS1_3repE0EEENS1_30default_config_static_selectorELNS0_4arch9wavefront6targetE0EEEvS10_
	.globl	_ZN7rocprim17ROCPRIM_400000_NS6detail17trampoline_kernelINS0_14default_configENS1_21merge_config_selectorINS0_5tupleIJssEEENS0_10empty_typeEEEZNS1_10merge_implIS3_NS0_12zip_iteratorINS5_IJN6thrust23THRUST_200600_302600_NS6detail15normal_iteratorINSC_10device_ptrIKsEEEESI_EEEEESK_NSA_INS5_IJNSE_INSF_IsEEEESM_EEEEEPS7_SP_SP_NSC_11hip_rocprim7__merge17predicate_wrapperIssNSC_4lessIsEEEEEE10hipError_tPvRmT0_T1_T2_T3_T4_T5_mmT6_P12ihipStream_tbEUlT_E_NS1_11comp_targetILNS1_3genE9ELNS1_11target_archE1100ELNS1_3gpuE3ELNS1_3repE0EEENS1_30default_config_static_selectorELNS0_4arch9wavefront6targetE0EEEvS10_
	.p2align	8
	.type	_ZN7rocprim17ROCPRIM_400000_NS6detail17trampoline_kernelINS0_14default_configENS1_21merge_config_selectorINS0_5tupleIJssEEENS0_10empty_typeEEEZNS1_10merge_implIS3_NS0_12zip_iteratorINS5_IJN6thrust23THRUST_200600_302600_NS6detail15normal_iteratorINSC_10device_ptrIKsEEEESI_EEEEESK_NSA_INS5_IJNSE_INSF_IsEEEESM_EEEEEPS7_SP_SP_NSC_11hip_rocprim7__merge17predicate_wrapperIssNSC_4lessIsEEEEEE10hipError_tPvRmT0_T1_T2_T3_T4_T5_mmT6_P12ihipStream_tbEUlT_E_NS1_11comp_targetILNS1_3genE9ELNS1_11target_archE1100ELNS1_3gpuE3ELNS1_3repE0EEENS1_30default_config_static_selectorELNS0_4arch9wavefront6targetE0EEEvS10_,@function
_ZN7rocprim17ROCPRIM_400000_NS6detail17trampoline_kernelINS0_14default_configENS1_21merge_config_selectorINS0_5tupleIJssEEENS0_10empty_typeEEEZNS1_10merge_implIS3_NS0_12zip_iteratorINS5_IJN6thrust23THRUST_200600_302600_NS6detail15normal_iteratorINSC_10device_ptrIKsEEEESI_EEEEESK_NSA_INS5_IJNSE_INSF_IsEEEESM_EEEEEPS7_SP_SP_NSC_11hip_rocprim7__merge17predicate_wrapperIssNSC_4lessIsEEEEEE10hipError_tPvRmT0_T1_T2_T3_T4_T5_mmT6_P12ihipStream_tbEUlT_E_NS1_11comp_targetILNS1_3genE9ELNS1_11target_archE1100ELNS1_3gpuE3ELNS1_3repE0EEENS1_30default_config_static_selectorELNS0_4arch9wavefront6targetE0EEEvS10_: ; @_ZN7rocprim17ROCPRIM_400000_NS6detail17trampoline_kernelINS0_14default_configENS1_21merge_config_selectorINS0_5tupleIJssEEENS0_10empty_typeEEEZNS1_10merge_implIS3_NS0_12zip_iteratorINS5_IJN6thrust23THRUST_200600_302600_NS6detail15normal_iteratorINSC_10device_ptrIKsEEEESI_EEEEESK_NSA_INS5_IJNSE_INSF_IsEEEESM_EEEEEPS7_SP_SP_NSC_11hip_rocprim7__merge17predicate_wrapperIssNSC_4lessIsEEEEEE10hipError_tPvRmT0_T1_T2_T3_T4_T5_mmT6_P12ihipStream_tbEUlT_E_NS1_11comp_targetILNS1_3genE9ELNS1_11target_archE1100ELNS1_3gpuE3ELNS1_3repE0EEENS1_30default_config_static_selectorELNS0_4arch9wavefront6targetE0EEEvS10_
; %bb.0:
	.section	.rodata,"a",@progbits
	.p2align	6, 0x0
	.amdhsa_kernel _ZN7rocprim17ROCPRIM_400000_NS6detail17trampoline_kernelINS0_14default_configENS1_21merge_config_selectorINS0_5tupleIJssEEENS0_10empty_typeEEEZNS1_10merge_implIS3_NS0_12zip_iteratorINS5_IJN6thrust23THRUST_200600_302600_NS6detail15normal_iteratorINSC_10device_ptrIKsEEEESI_EEEEESK_NSA_INS5_IJNSE_INSF_IsEEEESM_EEEEEPS7_SP_SP_NSC_11hip_rocprim7__merge17predicate_wrapperIssNSC_4lessIsEEEEEE10hipError_tPvRmT0_T1_T2_T3_T4_T5_mmT6_P12ihipStream_tbEUlT_E_NS1_11comp_targetILNS1_3genE9ELNS1_11target_archE1100ELNS1_3gpuE3ELNS1_3repE0EEENS1_30default_config_static_selectorELNS0_4arch9wavefront6targetE0EEEvS10_
		.amdhsa_group_segment_fixed_size 0
		.amdhsa_private_segment_fixed_size 0
		.amdhsa_kernarg_size 64
		.amdhsa_user_sgpr_count 6
		.amdhsa_user_sgpr_private_segment_buffer 1
		.amdhsa_user_sgpr_dispatch_ptr 0
		.amdhsa_user_sgpr_queue_ptr 0
		.amdhsa_user_sgpr_kernarg_segment_ptr 1
		.amdhsa_user_sgpr_dispatch_id 0
		.amdhsa_user_sgpr_flat_scratch_init 0
		.amdhsa_user_sgpr_private_segment_size 0
		.amdhsa_wavefront_size32 1
		.amdhsa_uses_dynamic_stack 0
		.amdhsa_system_sgpr_private_segment_wavefront_offset 0
		.amdhsa_system_sgpr_workgroup_id_x 1
		.amdhsa_system_sgpr_workgroup_id_y 0
		.amdhsa_system_sgpr_workgroup_id_z 0
		.amdhsa_system_sgpr_workgroup_info 0
		.amdhsa_system_vgpr_workitem_id 0
		.amdhsa_next_free_vgpr 1
		.amdhsa_next_free_sgpr 1
		.amdhsa_reserve_vcc 0
		.amdhsa_reserve_flat_scratch 0
		.amdhsa_float_round_mode_32 0
		.amdhsa_float_round_mode_16_64 0
		.amdhsa_float_denorm_mode_32 3
		.amdhsa_float_denorm_mode_16_64 3
		.amdhsa_dx10_clamp 1
		.amdhsa_ieee_mode 1
		.amdhsa_fp16_overflow 0
		.amdhsa_workgroup_processor_mode 1
		.amdhsa_memory_ordered 1
		.amdhsa_forward_progress 1
		.amdhsa_shared_vgpr_count 0
		.amdhsa_exception_fp_ieee_invalid_op 0
		.amdhsa_exception_fp_denorm_src 0
		.amdhsa_exception_fp_ieee_div_zero 0
		.amdhsa_exception_fp_ieee_overflow 0
		.amdhsa_exception_fp_ieee_underflow 0
		.amdhsa_exception_fp_ieee_inexact 0
		.amdhsa_exception_int_div_zero 0
	.end_amdhsa_kernel
	.section	.text._ZN7rocprim17ROCPRIM_400000_NS6detail17trampoline_kernelINS0_14default_configENS1_21merge_config_selectorINS0_5tupleIJssEEENS0_10empty_typeEEEZNS1_10merge_implIS3_NS0_12zip_iteratorINS5_IJN6thrust23THRUST_200600_302600_NS6detail15normal_iteratorINSC_10device_ptrIKsEEEESI_EEEEESK_NSA_INS5_IJNSE_INSF_IsEEEESM_EEEEEPS7_SP_SP_NSC_11hip_rocprim7__merge17predicate_wrapperIssNSC_4lessIsEEEEEE10hipError_tPvRmT0_T1_T2_T3_T4_T5_mmT6_P12ihipStream_tbEUlT_E_NS1_11comp_targetILNS1_3genE9ELNS1_11target_archE1100ELNS1_3gpuE3ELNS1_3repE0EEENS1_30default_config_static_selectorELNS0_4arch9wavefront6targetE0EEEvS10_,"axG",@progbits,_ZN7rocprim17ROCPRIM_400000_NS6detail17trampoline_kernelINS0_14default_configENS1_21merge_config_selectorINS0_5tupleIJssEEENS0_10empty_typeEEEZNS1_10merge_implIS3_NS0_12zip_iteratorINS5_IJN6thrust23THRUST_200600_302600_NS6detail15normal_iteratorINSC_10device_ptrIKsEEEESI_EEEEESK_NSA_INS5_IJNSE_INSF_IsEEEESM_EEEEEPS7_SP_SP_NSC_11hip_rocprim7__merge17predicate_wrapperIssNSC_4lessIsEEEEEE10hipError_tPvRmT0_T1_T2_T3_T4_T5_mmT6_P12ihipStream_tbEUlT_E_NS1_11comp_targetILNS1_3genE9ELNS1_11target_archE1100ELNS1_3gpuE3ELNS1_3repE0EEENS1_30default_config_static_selectorELNS0_4arch9wavefront6targetE0EEEvS10_,comdat
.Lfunc_end287:
	.size	_ZN7rocprim17ROCPRIM_400000_NS6detail17trampoline_kernelINS0_14default_configENS1_21merge_config_selectorINS0_5tupleIJssEEENS0_10empty_typeEEEZNS1_10merge_implIS3_NS0_12zip_iteratorINS5_IJN6thrust23THRUST_200600_302600_NS6detail15normal_iteratorINSC_10device_ptrIKsEEEESI_EEEEESK_NSA_INS5_IJNSE_INSF_IsEEEESM_EEEEEPS7_SP_SP_NSC_11hip_rocprim7__merge17predicate_wrapperIssNSC_4lessIsEEEEEE10hipError_tPvRmT0_T1_T2_T3_T4_T5_mmT6_P12ihipStream_tbEUlT_E_NS1_11comp_targetILNS1_3genE9ELNS1_11target_archE1100ELNS1_3gpuE3ELNS1_3repE0EEENS1_30default_config_static_selectorELNS0_4arch9wavefront6targetE0EEEvS10_, .Lfunc_end287-_ZN7rocprim17ROCPRIM_400000_NS6detail17trampoline_kernelINS0_14default_configENS1_21merge_config_selectorINS0_5tupleIJssEEENS0_10empty_typeEEEZNS1_10merge_implIS3_NS0_12zip_iteratorINS5_IJN6thrust23THRUST_200600_302600_NS6detail15normal_iteratorINSC_10device_ptrIKsEEEESI_EEEEESK_NSA_INS5_IJNSE_INSF_IsEEEESM_EEEEEPS7_SP_SP_NSC_11hip_rocprim7__merge17predicate_wrapperIssNSC_4lessIsEEEEEE10hipError_tPvRmT0_T1_T2_T3_T4_T5_mmT6_P12ihipStream_tbEUlT_E_NS1_11comp_targetILNS1_3genE9ELNS1_11target_archE1100ELNS1_3gpuE3ELNS1_3repE0EEENS1_30default_config_static_selectorELNS0_4arch9wavefront6targetE0EEEvS10_
                                        ; -- End function
	.set _ZN7rocprim17ROCPRIM_400000_NS6detail17trampoline_kernelINS0_14default_configENS1_21merge_config_selectorINS0_5tupleIJssEEENS0_10empty_typeEEEZNS1_10merge_implIS3_NS0_12zip_iteratorINS5_IJN6thrust23THRUST_200600_302600_NS6detail15normal_iteratorINSC_10device_ptrIKsEEEESI_EEEEESK_NSA_INS5_IJNSE_INSF_IsEEEESM_EEEEEPS7_SP_SP_NSC_11hip_rocprim7__merge17predicate_wrapperIssNSC_4lessIsEEEEEE10hipError_tPvRmT0_T1_T2_T3_T4_T5_mmT6_P12ihipStream_tbEUlT_E_NS1_11comp_targetILNS1_3genE9ELNS1_11target_archE1100ELNS1_3gpuE3ELNS1_3repE0EEENS1_30default_config_static_selectorELNS0_4arch9wavefront6targetE0EEEvS10_.num_vgpr, 0
	.set _ZN7rocprim17ROCPRIM_400000_NS6detail17trampoline_kernelINS0_14default_configENS1_21merge_config_selectorINS0_5tupleIJssEEENS0_10empty_typeEEEZNS1_10merge_implIS3_NS0_12zip_iteratorINS5_IJN6thrust23THRUST_200600_302600_NS6detail15normal_iteratorINSC_10device_ptrIKsEEEESI_EEEEESK_NSA_INS5_IJNSE_INSF_IsEEEESM_EEEEEPS7_SP_SP_NSC_11hip_rocprim7__merge17predicate_wrapperIssNSC_4lessIsEEEEEE10hipError_tPvRmT0_T1_T2_T3_T4_T5_mmT6_P12ihipStream_tbEUlT_E_NS1_11comp_targetILNS1_3genE9ELNS1_11target_archE1100ELNS1_3gpuE3ELNS1_3repE0EEENS1_30default_config_static_selectorELNS0_4arch9wavefront6targetE0EEEvS10_.num_agpr, 0
	.set _ZN7rocprim17ROCPRIM_400000_NS6detail17trampoline_kernelINS0_14default_configENS1_21merge_config_selectorINS0_5tupleIJssEEENS0_10empty_typeEEEZNS1_10merge_implIS3_NS0_12zip_iteratorINS5_IJN6thrust23THRUST_200600_302600_NS6detail15normal_iteratorINSC_10device_ptrIKsEEEESI_EEEEESK_NSA_INS5_IJNSE_INSF_IsEEEESM_EEEEEPS7_SP_SP_NSC_11hip_rocprim7__merge17predicate_wrapperIssNSC_4lessIsEEEEEE10hipError_tPvRmT0_T1_T2_T3_T4_T5_mmT6_P12ihipStream_tbEUlT_E_NS1_11comp_targetILNS1_3genE9ELNS1_11target_archE1100ELNS1_3gpuE3ELNS1_3repE0EEENS1_30default_config_static_selectorELNS0_4arch9wavefront6targetE0EEEvS10_.numbered_sgpr, 0
	.set _ZN7rocprim17ROCPRIM_400000_NS6detail17trampoline_kernelINS0_14default_configENS1_21merge_config_selectorINS0_5tupleIJssEEENS0_10empty_typeEEEZNS1_10merge_implIS3_NS0_12zip_iteratorINS5_IJN6thrust23THRUST_200600_302600_NS6detail15normal_iteratorINSC_10device_ptrIKsEEEESI_EEEEESK_NSA_INS5_IJNSE_INSF_IsEEEESM_EEEEEPS7_SP_SP_NSC_11hip_rocprim7__merge17predicate_wrapperIssNSC_4lessIsEEEEEE10hipError_tPvRmT0_T1_T2_T3_T4_T5_mmT6_P12ihipStream_tbEUlT_E_NS1_11comp_targetILNS1_3genE9ELNS1_11target_archE1100ELNS1_3gpuE3ELNS1_3repE0EEENS1_30default_config_static_selectorELNS0_4arch9wavefront6targetE0EEEvS10_.num_named_barrier, 0
	.set _ZN7rocprim17ROCPRIM_400000_NS6detail17trampoline_kernelINS0_14default_configENS1_21merge_config_selectorINS0_5tupleIJssEEENS0_10empty_typeEEEZNS1_10merge_implIS3_NS0_12zip_iteratorINS5_IJN6thrust23THRUST_200600_302600_NS6detail15normal_iteratorINSC_10device_ptrIKsEEEESI_EEEEESK_NSA_INS5_IJNSE_INSF_IsEEEESM_EEEEEPS7_SP_SP_NSC_11hip_rocprim7__merge17predicate_wrapperIssNSC_4lessIsEEEEEE10hipError_tPvRmT0_T1_T2_T3_T4_T5_mmT6_P12ihipStream_tbEUlT_E_NS1_11comp_targetILNS1_3genE9ELNS1_11target_archE1100ELNS1_3gpuE3ELNS1_3repE0EEENS1_30default_config_static_selectorELNS0_4arch9wavefront6targetE0EEEvS10_.private_seg_size, 0
	.set _ZN7rocprim17ROCPRIM_400000_NS6detail17trampoline_kernelINS0_14default_configENS1_21merge_config_selectorINS0_5tupleIJssEEENS0_10empty_typeEEEZNS1_10merge_implIS3_NS0_12zip_iteratorINS5_IJN6thrust23THRUST_200600_302600_NS6detail15normal_iteratorINSC_10device_ptrIKsEEEESI_EEEEESK_NSA_INS5_IJNSE_INSF_IsEEEESM_EEEEEPS7_SP_SP_NSC_11hip_rocprim7__merge17predicate_wrapperIssNSC_4lessIsEEEEEE10hipError_tPvRmT0_T1_T2_T3_T4_T5_mmT6_P12ihipStream_tbEUlT_E_NS1_11comp_targetILNS1_3genE9ELNS1_11target_archE1100ELNS1_3gpuE3ELNS1_3repE0EEENS1_30default_config_static_selectorELNS0_4arch9wavefront6targetE0EEEvS10_.uses_vcc, 0
	.set _ZN7rocprim17ROCPRIM_400000_NS6detail17trampoline_kernelINS0_14default_configENS1_21merge_config_selectorINS0_5tupleIJssEEENS0_10empty_typeEEEZNS1_10merge_implIS3_NS0_12zip_iteratorINS5_IJN6thrust23THRUST_200600_302600_NS6detail15normal_iteratorINSC_10device_ptrIKsEEEESI_EEEEESK_NSA_INS5_IJNSE_INSF_IsEEEESM_EEEEEPS7_SP_SP_NSC_11hip_rocprim7__merge17predicate_wrapperIssNSC_4lessIsEEEEEE10hipError_tPvRmT0_T1_T2_T3_T4_T5_mmT6_P12ihipStream_tbEUlT_E_NS1_11comp_targetILNS1_3genE9ELNS1_11target_archE1100ELNS1_3gpuE3ELNS1_3repE0EEENS1_30default_config_static_selectorELNS0_4arch9wavefront6targetE0EEEvS10_.uses_flat_scratch, 0
	.set _ZN7rocprim17ROCPRIM_400000_NS6detail17trampoline_kernelINS0_14default_configENS1_21merge_config_selectorINS0_5tupleIJssEEENS0_10empty_typeEEEZNS1_10merge_implIS3_NS0_12zip_iteratorINS5_IJN6thrust23THRUST_200600_302600_NS6detail15normal_iteratorINSC_10device_ptrIKsEEEESI_EEEEESK_NSA_INS5_IJNSE_INSF_IsEEEESM_EEEEEPS7_SP_SP_NSC_11hip_rocprim7__merge17predicate_wrapperIssNSC_4lessIsEEEEEE10hipError_tPvRmT0_T1_T2_T3_T4_T5_mmT6_P12ihipStream_tbEUlT_E_NS1_11comp_targetILNS1_3genE9ELNS1_11target_archE1100ELNS1_3gpuE3ELNS1_3repE0EEENS1_30default_config_static_selectorELNS0_4arch9wavefront6targetE0EEEvS10_.has_dyn_sized_stack, 0
	.set _ZN7rocprim17ROCPRIM_400000_NS6detail17trampoline_kernelINS0_14default_configENS1_21merge_config_selectorINS0_5tupleIJssEEENS0_10empty_typeEEEZNS1_10merge_implIS3_NS0_12zip_iteratorINS5_IJN6thrust23THRUST_200600_302600_NS6detail15normal_iteratorINSC_10device_ptrIKsEEEESI_EEEEESK_NSA_INS5_IJNSE_INSF_IsEEEESM_EEEEEPS7_SP_SP_NSC_11hip_rocprim7__merge17predicate_wrapperIssNSC_4lessIsEEEEEE10hipError_tPvRmT0_T1_T2_T3_T4_T5_mmT6_P12ihipStream_tbEUlT_E_NS1_11comp_targetILNS1_3genE9ELNS1_11target_archE1100ELNS1_3gpuE3ELNS1_3repE0EEENS1_30default_config_static_selectorELNS0_4arch9wavefront6targetE0EEEvS10_.has_recursion, 0
	.set _ZN7rocprim17ROCPRIM_400000_NS6detail17trampoline_kernelINS0_14default_configENS1_21merge_config_selectorINS0_5tupleIJssEEENS0_10empty_typeEEEZNS1_10merge_implIS3_NS0_12zip_iteratorINS5_IJN6thrust23THRUST_200600_302600_NS6detail15normal_iteratorINSC_10device_ptrIKsEEEESI_EEEEESK_NSA_INS5_IJNSE_INSF_IsEEEESM_EEEEEPS7_SP_SP_NSC_11hip_rocprim7__merge17predicate_wrapperIssNSC_4lessIsEEEEEE10hipError_tPvRmT0_T1_T2_T3_T4_T5_mmT6_P12ihipStream_tbEUlT_E_NS1_11comp_targetILNS1_3genE9ELNS1_11target_archE1100ELNS1_3gpuE3ELNS1_3repE0EEENS1_30default_config_static_selectorELNS0_4arch9wavefront6targetE0EEEvS10_.has_indirect_call, 0
	.section	.AMDGPU.csdata,"",@progbits
; Kernel info:
; codeLenInByte = 0
; TotalNumSgprs: 0
; NumVgprs: 0
; ScratchSize: 0
; MemoryBound: 0
; FloatMode: 240
; IeeeMode: 1
; LDSByteSize: 0 bytes/workgroup (compile time only)
; SGPRBlocks: 0
; VGPRBlocks: 0
; NumSGPRsForWavesPerEU: 1
; NumVGPRsForWavesPerEU: 1
; Occupancy: 16
; WaveLimiterHint : 0
; COMPUTE_PGM_RSRC2:SCRATCH_EN: 0
; COMPUTE_PGM_RSRC2:USER_SGPR: 6
; COMPUTE_PGM_RSRC2:TRAP_HANDLER: 0
; COMPUTE_PGM_RSRC2:TGID_X_EN: 1
; COMPUTE_PGM_RSRC2:TGID_Y_EN: 0
; COMPUTE_PGM_RSRC2:TGID_Z_EN: 0
; COMPUTE_PGM_RSRC2:TIDIG_COMP_CNT: 0
	.section	.text._ZN7rocprim17ROCPRIM_400000_NS6detail17trampoline_kernelINS0_14default_configENS1_21merge_config_selectorINS0_5tupleIJssEEENS0_10empty_typeEEEZNS1_10merge_implIS3_NS0_12zip_iteratorINS5_IJN6thrust23THRUST_200600_302600_NS6detail15normal_iteratorINSC_10device_ptrIKsEEEESI_EEEEESK_NSA_INS5_IJNSE_INSF_IsEEEESM_EEEEEPS7_SP_SP_NSC_11hip_rocprim7__merge17predicate_wrapperIssNSC_4lessIsEEEEEE10hipError_tPvRmT0_T1_T2_T3_T4_T5_mmT6_P12ihipStream_tbEUlT_E_NS1_11comp_targetILNS1_3genE8ELNS1_11target_archE1030ELNS1_3gpuE2ELNS1_3repE0EEENS1_30default_config_static_selectorELNS0_4arch9wavefront6targetE0EEEvS10_,"axG",@progbits,_ZN7rocprim17ROCPRIM_400000_NS6detail17trampoline_kernelINS0_14default_configENS1_21merge_config_selectorINS0_5tupleIJssEEENS0_10empty_typeEEEZNS1_10merge_implIS3_NS0_12zip_iteratorINS5_IJN6thrust23THRUST_200600_302600_NS6detail15normal_iteratorINSC_10device_ptrIKsEEEESI_EEEEESK_NSA_INS5_IJNSE_INSF_IsEEEESM_EEEEEPS7_SP_SP_NSC_11hip_rocprim7__merge17predicate_wrapperIssNSC_4lessIsEEEEEE10hipError_tPvRmT0_T1_T2_T3_T4_T5_mmT6_P12ihipStream_tbEUlT_E_NS1_11comp_targetILNS1_3genE8ELNS1_11target_archE1030ELNS1_3gpuE2ELNS1_3repE0EEENS1_30default_config_static_selectorELNS0_4arch9wavefront6targetE0EEEvS10_,comdat
	.protected	_ZN7rocprim17ROCPRIM_400000_NS6detail17trampoline_kernelINS0_14default_configENS1_21merge_config_selectorINS0_5tupleIJssEEENS0_10empty_typeEEEZNS1_10merge_implIS3_NS0_12zip_iteratorINS5_IJN6thrust23THRUST_200600_302600_NS6detail15normal_iteratorINSC_10device_ptrIKsEEEESI_EEEEESK_NSA_INS5_IJNSE_INSF_IsEEEESM_EEEEEPS7_SP_SP_NSC_11hip_rocprim7__merge17predicate_wrapperIssNSC_4lessIsEEEEEE10hipError_tPvRmT0_T1_T2_T3_T4_T5_mmT6_P12ihipStream_tbEUlT_E_NS1_11comp_targetILNS1_3genE8ELNS1_11target_archE1030ELNS1_3gpuE2ELNS1_3repE0EEENS1_30default_config_static_selectorELNS0_4arch9wavefront6targetE0EEEvS10_ ; -- Begin function _ZN7rocprim17ROCPRIM_400000_NS6detail17trampoline_kernelINS0_14default_configENS1_21merge_config_selectorINS0_5tupleIJssEEENS0_10empty_typeEEEZNS1_10merge_implIS3_NS0_12zip_iteratorINS5_IJN6thrust23THRUST_200600_302600_NS6detail15normal_iteratorINSC_10device_ptrIKsEEEESI_EEEEESK_NSA_INS5_IJNSE_INSF_IsEEEESM_EEEEEPS7_SP_SP_NSC_11hip_rocprim7__merge17predicate_wrapperIssNSC_4lessIsEEEEEE10hipError_tPvRmT0_T1_T2_T3_T4_T5_mmT6_P12ihipStream_tbEUlT_E_NS1_11comp_targetILNS1_3genE8ELNS1_11target_archE1030ELNS1_3gpuE2ELNS1_3repE0EEENS1_30default_config_static_selectorELNS0_4arch9wavefront6targetE0EEEvS10_
	.globl	_ZN7rocprim17ROCPRIM_400000_NS6detail17trampoline_kernelINS0_14default_configENS1_21merge_config_selectorINS0_5tupleIJssEEENS0_10empty_typeEEEZNS1_10merge_implIS3_NS0_12zip_iteratorINS5_IJN6thrust23THRUST_200600_302600_NS6detail15normal_iteratorINSC_10device_ptrIKsEEEESI_EEEEESK_NSA_INS5_IJNSE_INSF_IsEEEESM_EEEEEPS7_SP_SP_NSC_11hip_rocprim7__merge17predicate_wrapperIssNSC_4lessIsEEEEEE10hipError_tPvRmT0_T1_T2_T3_T4_T5_mmT6_P12ihipStream_tbEUlT_E_NS1_11comp_targetILNS1_3genE8ELNS1_11target_archE1030ELNS1_3gpuE2ELNS1_3repE0EEENS1_30default_config_static_selectorELNS0_4arch9wavefront6targetE0EEEvS10_
	.p2align	8
	.type	_ZN7rocprim17ROCPRIM_400000_NS6detail17trampoline_kernelINS0_14default_configENS1_21merge_config_selectorINS0_5tupleIJssEEENS0_10empty_typeEEEZNS1_10merge_implIS3_NS0_12zip_iteratorINS5_IJN6thrust23THRUST_200600_302600_NS6detail15normal_iteratorINSC_10device_ptrIKsEEEESI_EEEEESK_NSA_INS5_IJNSE_INSF_IsEEEESM_EEEEEPS7_SP_SP_NSC_11hip_rocprim7__merge17predicate_wrapperIssNSC_4lessIsEEEEEE10hipError_tPvRmT0_T1_T2_T3_T4_T5_mmT6_P12ihipStream_tbEUlT_E_NS1_11comp_targetILNS1_3genE8ELNS1_11target_archE1030ELNS1_3gpuE2ELNS1_3repE0EEENS1_30default_config_static_selectorELNS0_4arch9wavefront6targetE0EEEvS10_,@function
_ZN7rocprim17ROCPRIM_400000_NS6detail17trampoline_kernelINS0_14default_configENS1_21merge_config_selectorINS0_5tupleIJssEEENS0_10empty_typeEEEZNS1_10merge_implIS3_NS0_12zip_iteratorINS5_IJN6thrust23THRUST_200600_302600_NS6detail15normal_iteratorINSC_10device_ptrIKsEEEESI_EEEEESK_NSA_INS5_IJNSE_INSF_IsEEEESM_EEEEEPS7_SP_SP_NSC_11hip_rocprim7__merge17predicate_wrapperIssNSC_4lessIsEEEEEE10hipError_tPvRmT0_T1_T2_T3_T4_T5_mmT6_P12ihipStream_tbEUlT_E_NS1_11comp_targetILNS1_3genE8ELNS1_11target_archE1030ELNS1_3gpuE2ELNS1_3repE0EEENS1_30default_config_static_selectorELNS0_4arch9wavefront6targetE0EEEvS10_: ; @_ZN7rocprim17ROCPRIM_400000_NS6detail17trampoline_kernelINS0_14default_configENS1_21merge_config_selectorINS0_5tupleIJssEEENS0_10empty_typeEEEZNS1_10merge_implIS3_NS0_12zip_iteratorINS5_IJN6thrust23THRUST_200600_302600_NS6detail15normal_iteratorINSC_10device_ptrIKsEEEESI_EEEEESK_NSA_INS5_IJNSE_INSF_IsEEEESM_EEEEEPS7_SP_SP_NSC_11hip_rocprim7__merge17predicate_wrapperIssNSC_4lessIsEEEEEE10hipError_tPvRmT0_T1_T2_T3_T4_T5_mmT6_P12ihipStream_tbEUlT_E_NS1_11comp_targetILNS1_3genE8ELNS1_11target_archE1030ELNS1_3gpuE2ELNS1_3repE0EEENS1_30default_config_static_selectorELNS0_4arch9wavefront6targetE0EEEvS10_
; %bb.0:
	s_clause 0x2
	s_load_dword s2, s[4:5], 0x38
	s_load_dword s0, s[4:5], 0x4c
	s_load_dwordx4 s[12:15], s[4:5], 0x28
	s_waitcnt lgkmcnt(0)
	v_cvt_f32_u32_e32 v1, s2
	s_and_b32 s3, s0, 0xffff
	s_add_u32 s0, s14, s12
	s_addc_u32 s1, s15, s13
	s_sub_i32 s8, 0, s2
	v_rcp_iflag_f32_e32 v1, v1
	s_add_i32 s9, s2, s0
	s_add_i32 s9, s9, -1
	v_mul_f32_e32 v1, 0x4f7ffffe, v1
	v_cvt_u32_f32_e32 v1, v1
	v_readfirstlane_b32 s7, v1
	v_mad_u64_u32 v[0:1], null, s6, s3, v[0:1]
	s_mul_i32 s8, s8, s7
	s_mul_hi_u32 s8, s7, s8
	s_add_i32 s7, s7, s8
	s_mul_hi_u32 s7, s9, s7
	s_mul_i32 s8, s7, s2
	s_sub_i32 s8, s9, s8
	s_add_i32 s9, s7, 1
	s_sub_i32 s10, s8, s2
	s_cmp_ge_u32 s8, s2
	s_cselect_b32 s3, s9, s7
	s_cselect_b32 s6, s10, s8
	s_add_i32 s7, s3, 1
	s_cmp_ge_u32 s6, s2
	s_cselect_b32 s3, s7, s3
	v_cmp_ge_u32_e32 vcc_lo, s3, v0
	s_and_saveexec_b32 s3, vcc_lo
	s_cbranch_execz .LBB288_6
; %bb.1:
	v_mul_lo_u32 v1, v0, s2
	v_mov_b32_e32 v2, 0
	s_load_dwordx4 s[8:11], s[4:5], 0x0
	v_cmp_gt_u64_e32 vcc_lo, s[0:1], v[1:2]
	v_cndmask_b32_e32 v6, s0, v1, vcc_lo
	v_cndmask_b32_e64 v7, s1, 0, vcc_lo
	v_sub_co_u32 v1, vcc_lo, v6, s14
	v_subrev_co_ci_u32_e64 v2, null, s15, v7, vcc_lo
	v_cmp_gt_u64_e64 s0, s[12:13], v[6:7]
	v_cmp_gt_u64_e32 vcc_lo, v[1:2], v[6:7]
	v_cndmask_b32_e64 v5, s13, v7, s0
	v_cndmask_b32_e64 v4, s12, v6, s0
	s_mov_b32 s0, exec_lo
	v_cndmask_b32_e64 v3, v2, 0, vcc_lo
	v_cndmask_b32_e64 v2, v1, 0, vcc_lo
	v_cmpx_lt_u64_e64 v[2:3], v[4:5]
	s_cbranch_execz .LBB288_5
; %bb.2:
	s_load_dwordx2 s[2:3], s[4:5], 0x18
	v_lshlrev_b64 v[6:7], 1, v[6:7]
	s_mov_b32 s1, 0
	s_waitcnt lgkmcnt(0)
	v_add_co_u32 v1, vcc_lo, s2, v6
	v_add_co_ci_u32_e64 v6, null, s3, v7, vcc_lo
	s_inst_prefetch 0x1
	.p2align	6
.LBB288_3:                              ; =>This Inner Loop Header: Depth=1
	v_add_co_u32 v7, vcc_lo, v4, v2
	v_add_co_ci_u32_e64 v8, null, v5, v3, vcc_lo
	v_and_b32_e32 v9, -2, v7
	v_xor_b32_e32 v12, -1, v8
	v_xor_b32_e32 v11, -2, v9
	v_add_co_u32 v9, vcc_lo, s10, v9
	v_add_co_ci_u32_e64 v10, null, s11, v8, vcc_lo
	v_add_co_u32 v11, vcc_lo, v1, v11
	v_add_co_ci_u32_e64 v12, null, v6, v12, vcc_lo
	v_lshrrev_b64 v[7:8], 1, v[7:8]
	global_load_ushort v9, v[9:10], off
	global_load_ushort v10, v[11:12], off
	v_add_co_u32 v11, vcc_lo, v7, 1
	v_add_co_ci_u32_e64 v12, null, 0, v8, vcc_lo
	s_waitcnt vmcnt(0)
	v_cmp_lt_i16_e32 vcc_lo, v10, v9
	v_cndmask_b32_e32 v5, v5, v8, vcc_lo
	v_cndmask_b32_e32 v4, v4, v7, vcc_lo
	;; [unrolled: 1-line block ×4, first 2 shown]
	v_cmp_ge_u64_e32 vcc_lo, v[2:3], v[4:5]
	s_or_b32 s1, vcc_lo, s1
	s_andn2_b32 exec_lo, exec_lo, s1
	s_cbranch_execnz .LBB288_3
; %bb.4:
	s_inst_prefetch 0x2
	s_or_b32 exec_lo, exec_lo, s1
.LBB288_5:
	s_or_b32 exec_lo, exec_lo, s0
	v_mov_b32_e32 v1, 0
	v_lshlrev_b64 v[0:1], 2, v[0:1]
	s_waitcnt lgkmcnt(0)
	v_add_co_u32 v0, vcc_lo, s8, v0
	v_add_co_ci_u32_e64 v1, null, s9, v1, vcc_lo
	global_store_dword v[0:1], v2, off
.LBB288_6:
	s_endpgm
	.section	.rodata,"a",@progbits
	.p2align	6, 0x0
	.amdhsa_kernel _ZN7rocprim17ROCPRIM_400000_NS6detail17trampoline_kernelINS0_14default_configENS1_21merge_config_selectorINS0_5tupleIJssEEENS0_10empty_typeEEEZNS1_10merge_implIS3_NS0_12zip_iteratorINS5_IJN6thrust23THRUST_200600_302600_NS6detail15normal_iteratorINSC_10device_ptrIKsEEEESI_EEEEESK_NSA_INS5_IJNSE_INSF_IsEEEESM_EEEEEPS7_SP_SP_NSC_11hip_rocprim7__merge17predicate_wrapperIssNSC_4lessIsEEEEEE10hipError_tPvRmT0_T1_T2_T3_T4_T5_mmT6_P12ihipStream_tbEUlT_E_NS1_11comp_targetILNS1_3genE8ELNS1_11target_archE1030ELNS1_3gpuE2ELNS1_3repE0EEENS1_30default_config_static_selectorELNS0_4arch9wavefront6targetE0EEEvS10_
		.amdhsa_group_segment_fixed_size 0
		.amdhsa_private_segment_fixed_size 0
		.amdhsa_kernarg_size 320
		.amdhsa_user_sgpr_count 6
		.amdhsa_user_sgpr_private_segment_buffer 1
		.amdhsa_user_sgpr_dispatch_ptr 0
		.amdhsa_user_sgpr_queue_ptr 0
		.amdhsa_user_sgpr_kernarg_segment_ptr 1
		.amdhsa_user_sgpr_dispatch_id 0
		.amdhsa_user_sgpr_flat_scratch_init 0
		.amdhsa_user_sgpr_private_segment_size 0
		.amdhsa_wavefront_size32 1
		.amdhsa_uses_dynamic_stack 0
		.amdhsa_system_sgpr_private_segment_wavefront_offset 0
		.amdhsa_system_sgpr_workgroup_id_x 1
		.amdhsa_system_sgpr_workgroup_id_y 0
		.amdhsa_system_sgpr_workgroup_id_z 0
		.amdhsa_system_sgpr_workgroup_info 0
		.amdhsa_system_vgpr_workitem_id 0
		.amdhsa_next_free_vgpr 13
		.amdhsa_next_free_sgpr 16
		.amdhsa_reserve_vcc 1
		.amdhsa_reserve_flat_scratch 0
		.amdhsa_float_round_mode_32 0
		.amdhsa_float_round_mode_16_64 0
		.amdhsa_float_denorm_mode_32 3
		.amdhsa_float_denorm_mode_16_64 3
		.amdhsa_dx10_clamp 1
		.amdhsa_ieee_mode 1
		.amdhsa_fp16_overflow 0
		.amdhsa_workgroup_processor_mode 1
		.amdhsa_memory_ordered 1
		.amdhsa_forward_progress 1
		.amdhsa_shared_vgpr_count 0
		.amdhsa_exception_fp_ieee_invalid_op 0
		.amdhsa_exception_fp_denorm_src 0
		.amdhsa_exception_fp_ieee_div_zero 0
		.amdhsa_exception_fp_ieee_overflow 0
		.amdhsa_exception_fp_ieee_underflow 0
		.amdhsa_exception_fp_ieee_inexact 0
		.amdhsa_exception_int_div_zero 0
	.end_amdhsa_kernel
	.section	.text._ZN7rocprim17ROCPRIM_400000_NS6detail17trampoline_kernelINS0_14default_configENS1_21merge_config_selectorINS0_5tupleIJssEEENS0_10empty_typeEEEZNS1_10merge_implIS3_NS0_12zip_iteratorINS5_IJN6thrust23THRUST_200600_302600_NS6detail15normal_iteratorINSC_10device_ptrIKsEEEESI_EEEEESK_NSA_INS5_IJNSE_INSF_IsEEEESM_EEEEEPS7_SP_SP_NSC_11hip_rocprim7__merge17predicate_wrapperIssNSC_4lessIsEEEEEE10hipError_tPvRmT0_T1_T2_T3_T4_T5_mmT6_P12ihipStream_tbEUlT_E_NS1_11comp_targetILNS1_3genE8ELNS1_11target_archE1030ELNS1_3gpuE2ELNS1_3repE0EEENS1_30default_config_static_selectorELNS0_4arch9wavefront6targetE0EEEvS10_,"axG",@progbits,_ZN7rocprim17ROCPRIM_400000_NS6detail17trampoline_kernelINS0_14default_configENS1_21merge_config_selectorINS0_5tupleIJssEEENS0_10empty_typeEEEZNS1_10merge_implIS3_NS0_12zip_iteratorINS5_IJN6thrust23THRUST_200600_302600_NS6detail15normal_iteratorINSC_10device_ptrIKsEEEESI_EEEEESK_NSA_INS5_IJNSE_INSF_IsEEEESM_EEEEEPS7_SP_SP_NSC_11hip_rocprim7__merge17predicate_wrapperIssNSC_4lessIsEEEEEE10hipError_tPvRmT0_T1_T2_T3_T4_T5_mmT6_P12ihipStream_tbEUlT_E_NS1_11comp_targetILNS1_3genE8ELNS1_11target_archE1030ELNS1_3gpuE2ELNS1_3repE0EEENS1_30default_config_static_selectorELNS0_4arch9wavefront6targetE0EEEvS10_,comdat
.Lfunc_end288:
	.size	_ZN7rocprim17ROCPRIM_400000_NS6detail17trampoline_kernelINS0_14default_configENS1_21merge_config_selectorINS0_5tupleIJssEEENS0_10empty_typeEEEZNS1_10merge_implIS3_NS0_12zip_iteratorINS5_IJN6thrust23THRUST_200600_302600_NS6detail15normal_iteratorINSC_10device_ptrIKsEEEESI_EEEEESK_NSA_INS5_IJNSE_INSF_IsEEEESM_EEEEEPS7_SP_SP_NSC_11hip_rocprim7__merge17predicate_wrapperIssNSC_4lessIsEEEEEE10hipError_tPvRmT0_T1_T2_T3_T4_T5_mmT6_P12ihipStream_tbEUlT_E_NS1_11comp_targetILNS1_3genE8ELNS1_11target_archE1030ELNS1_3gpuE2ELNS1_3repE0EEENS1_30default_config_static_selectorELNS0_4arch9wavefront6targetE0EEEvS10_, .Lfunc_end288-_ZN7rocprim17ROCPRIM_400000_NS6detail17trampoline_kernelINS0_14default_configENS1_21merge_config_selectorINS0_5tupleIJssEEENS0_10empty_typeEEEZNS1_10merge_implIS3_NS0_12zip_iteratorINS5_IJN6thrust23THRUST_200600_302600_NS6detail15normal_iteratorINSC_10device_ptrIKsEEEESI_EEEEESK_NSA_INS5_IJNSE_INSF_IsEEEESM_EEEEEPS7_SP_SP_NSC_11hip_rocprim7__merge17predicate_wrapperIssNSC_4lessIsEEEEEE10hipError_tPvRmT0_T1_T2_T3_T4_T5_mmT6_P12ihipStream_tbEUlT_E_NS1_11comp_targetILNS1_3genE8ELNS1_11target_archE1030ELNS1_3gpuE2ELNS1_3repE0EEENS1_30default_config_static_selectorELNS0_4arch9wavefront6targetE0EEEvS10_
                                        ; -- End function
	.set _ZN7rocprim17ROCPRIM_400000_NS6detail17trampoline_kernelINS0_14default_configENS1_21merge_config_selectorINS0_5tupleIJssEEENS0_10empty_typeEEEZNS1_10merge_implIS3_NS0_12zip_iteratorINS5_IJN6thrust23THRUST_200600_302600_NS6detail15normal_iteratorINSC_10device_ptrIKsEEEESI_EEEEESK_NSA_INS5_IJNSE_INSF_IsEEEESM_EEEEEPS7_SP_SP_NSC_11hip_rocprim7__merge17predicate_wrapperIssNSC_4lessIsEEEEEE10hipError_tPvRmT0_T1_T2_T3_T4_T5_mmT6_P12ihipStream_tbEUlT_E_NS1_11comp_targetILNS1_3genE8ELNS1_11target_archE1030ELNS1_3gpuE2ELNS1_3repE0EEENS1_30default_config_static_selectorELNS0_4arch9wavefront6targetE0EEEvS10_.num_vgpr, 13
	.set _ZN7rocprim17ROCPRIM_400000_NS6detail17trampoline_kernelINS0_14default_configENS1_21merge_config_selectorINS0_5tupleIJssEEENS0_10empty_typeEEEZNS1_10merge_implIS3_NS0_12zip_iteratorINS5_IJN6thrust23THRUST_200600_302600_NS6detail15normal_iteratorINSC_10device_ptrIKsEEEESI_EEEEESK_NSA_INS5_IJNSE_INSF_IsEEEESM_EEEEEPS7_SP_SP_NSC_11hip_rocprim7__merge17predicate_wrapperIssNSC_4lessIsEEEEEE10hipError_tPvRmT0_T1_T2_T3_T4_T5_mmT6_P12ihipStream_tbEUlT_E_NS1_11comp_targetILNS1_3genE8ELNS1_11target_archE1030ELNS1_3gpuE2ELNS1_3repE0EEENS1_30default_config_static_selectorELNS0_4arch9wavefront6targetE0EEEvS10_.num_agpr, 0
	.set _ZN7rocprim17ROCPRIM_400000_NS6detail17trampoline_kernelINS0_14default_configENS1_21merge_config_selectorINS0_5tupleIJssEEENS0_10empty_typeEEEZNS1_10merge_implIS3_NS0_12zip_iteratorINS5_IJN6thrust23THRUST_200600_302600_NS6detail15normal_iteratorINSC_10device_ptrIKsEEEESI_EEEEESK_NSA_INS5_IJNSE_INSF_IsEEEESM_EEEEEPS7_SP_SP_NSC_11hip_rocprim7__merge17predicate_wrapperIssNSC_4lessIsEEEEEE10hipError_tPvRmT0_T1_T2_T3_T4_T5_mmT6_P12ihipStream_tbEUlT_E_NS1_11comp_targetILNS1_3genE8ELNS1_11target_archE1030ELNS1_3gpuE2ELNS1_3repE0EEENS1_30default_config_static_selectorELNS0_4arch9wavefront6targetE0EEEvS10_.numbered_sgpr, 16
	.set _ZN7rocprim17ROCPRIM_400000_NS6detail17trampoline_kernelINS0_14default_configENS1_21merge_config_selectorINS0_5tupleIJssEEENS0_10empty_typeEEEZNS1_10merge_implIS3_NS0_12zip_iteratorINS5_IJN6thrust23THRUST_200600_302600_NS6detail15normal_iteratorINSC_10device_ptrIKsEEEESI_EEEEESK_NSA_INS5_IJNSE_INSF_IsEEEESM_EEEEEPS7_SP_SP_NSC_11hip_rocprim7__merge17predicate_wrapperIssNSC_4lessIsEEEEEE10hipError_tPvRmT0_T1_T2_T3_T4_T5_mmT6_P12ihipStream_tbEUlT_E_NS1_11comp_targetILNS1_3genE8ELNS1_11target_archE1030ELNS1_3gpuE2ELNS1_3repE0EEENS1_30default_config_static_selectorELNS0_4arch9wavefront6targetE0EEEvS10_.num_named_barrier, 0
	.set _ZN7rocprim17ROCPRIM_400000_NS6detail17trampoline_kernelINS0_14default_configENS1_21merge_config_selectorINS0_5tupleIJssEEENS0_10empty_typeEEEZNS1_10merge_implIS3_NS0_12zip_iteratorINS5_IJN6thrust23THRUST_200600_302600_NS6detail15normal_iteratorINSC_10device_ptrIKsEEEESI_EEEEESK_NSA_INS5_IJNSE_INSF_IsEEEESM_EEEEEPS7_SP_SP_NSC_11hip_rocprim7__merge17predicate_wrapperIssNSC_4lessIsEEEEEE10hipError_tPvRmT0_T1_T2_T3_T4_T5_mmT6_P12ihipStream_tbEUlT_E_NS1_11comp_targetILNS1_3genE8ELNS1_11target_archE1030ELNS1_3gpuE2ELNS1_3repE0EEENS1_30default_config_static_selectorELNS0_4arch9wavefront6targetE0EEEvS10_.private_seg_size, 0
	.set _ZN7rocprim17ROCPRIM_400000_NS6detail17trampoline_kernelINS0_14default_configENS1_21merge_config_selectorINS0_5tupleIJssEEENS0_10empty_typeEEEZNS1_10merge_implIS3_NS0_12zip_iteratorINS5_IJN6thrust23THRUST_200600_302600_NS6detail15normal_iteratorINSC_10device_ptrIKsEEEESI_EEEEESK_NSA_INS5_IJNSE_INSF_IsEEEESM_EEEEEPS7_SP_SP_NSC_11hip_rocprim7__merge17predicate_wrapperIssNSC_4lessIsEEEEEE10hipError_tPvRmT0_T1_T2_T3_T4_T5_mmT6_P12ihipStream_tbEUlT_E_NS1_11comp_targetILNS1_3genE8ELNS1_11target_archE1030ELNS1_3gpuE2ELNS1_3repE0EEENS1_30default_config_static_selectorELNS0_4arch9wavefront6targetE0EEEvS10_.uses_vcc, 1
	.set _ZN7rocprim17ROCPRIM_400000_NS6detail17trampoline_kernelINS0_14default_configENS1_21merge_config_selectorINS0_5tupleIJssEEENS0_10empty_typeEEEZNS1_10merge_implIS3_NS0_12zip_iteratorINS5_IJN6thrust23THRUST_200600_302600_NS6detail15normal_iteratorINSC_10device_ptrIKsEEEESI_EEEEESK_NSA_INS5_IJNSE_INSF_IsEEEESM_EEEEEPS7_SP_SP_NSC_11hip_rocprim7__merge17predicate_wrapperIssNSC_4lessIsEEEEEE10hipError_tPvRmT0_T1_T2_T3_T4_T5_mmT6_P12ihipStream_tbEUlT_E_NS1_11comp_targetILNS1_3genE8ELNS1_11target_archE1030ELNS1_3gpuE2ELNS1_3repE0EEENS1_30default_config_static_selectorELNS0_4arch9wavefront6targetE0EEEvS10_.uses_flat_scratch, 0
	.set _ZN7rocprim17ROCPRIM_400000_NS6detail17trampoline_kernelINS0_14default_configENS1_21merge_config_selectorINS0_5tupleIJssEEENS0_10empty_typeEEEZNS1_10merge_implIS3_NS0_12zip_iteratorINS5_IJN6thrust23THRUST_200600_302600_NS6detail15normal_iteratorINSC_10device_ptrIKsEEEESI_EEEEESK_NSA_INS5_IJNSE_INSF_IsEEEESM_EEEEEPS7_SP_SP_NSC_11hip_rocprim7__merge17predicate_wrapperIssNSC_4lessIsEEEEEE10hipError_tPvRmT0_T1_T2_T3_T4_T5_mmT6_P12ihipStream_tbEUlT_E_NS1_11comp_targetILNS1_3genE8ELNS1_11target_archE1030ELNS1_3gpuE2ELNS1_3repE0EEENS1_30default_config_static_selectorELNS0_4arch9wavefront6targetE0EEEvS10_.has_dyn_sized_stack, 0
	.set _ZN7rocprim17ROCPRIM_400000_NS6detail17trampoline_kernelINS0_14default_configENS1_21merge_config_selectorINS0_5tupleIJssEEENS0_10empty_typeEEEZNS1_10merge_implIS3_NS0_12zip_iteratorINS5_IJN6thrust23THRUST_200600_302600_NS6detail15normal_iteratorINSC_10device_ptrIKsEEEESI_EEEEESK_NSA_INS5_IJNSE_INSF_IsEEEESM_EEEEEPS7_SP_SP_NSC_11hip_rocprim7__merge17predicate_wrapperIssNSC_4lessIsEEEEEE10hipError_tPvRmT0_T1_T2_T3_T4_T5_mmT6_P12ihipStream_tbEUlT_E_NS1_11comp_targetILNS1_3genE8ELNS1_11target_archE1030ELNS1_3gpuE2ELNS1_3repE0EEENS1_30default_config_static_selectorELNS0_4arch9wavefront6targetE0EEEvS10_.has_recursion, 0
	.set _ZN7rocprim17ROCPRIM_400000_NS6detail17trampoline_kernelINS0_14default_configENS1_21merge_config_selectorINS0_5tupleIJssEEENS0_10empty_typeEEEZNS1_10merge_implIS3_NS0_12zip_iteratorINS5_IJN6thrust23THRUST_200600_302600_NS6detail15normal_iteratorINSC_10device_ptrIKsEEEESI_EEEEESK_NSA_INS5_IJNSE_INSF_IsEEEESM_EEEEEPS7_SP_SP_NSC_11hip_rocprim7__merge17predicate_wrapperIssNSC_4lessIsEEEEEE10hipError_tPvRmT0_T1_T2_T3_T4_T5_mmT6_P12ihipStream_tbEUlT_E_NS1_11comp_targetILNS1_3genE8ELNS1_11target_archE1030ELNS1_3gpuE2ELNS1_3repE0EEENS1_30default_config_static_selectorELNS0_4arch9wavefront6targetE0EEEvS10_.has_indirect_call, 0
	.section	.AMDGPU.csdata,"",@progbits
; Kernel info:
; codeLenInByte = 516
; TotalNumSgprs: 18
; NumVgprs: 13
; ScratchSize: 0
; MemoryBound: 0
; FloatMode: 240
; IeeeMode: 1
; LDSByteSize: 0 bytes/workgroup (compile time only)
; SGPRBlocks: 0
; VGPRBlocks: 1
; NumSGPRsForWavesPerEU: 18
; NumVGPRsForWavesPerEU: 13
; Occupancy: 16
; WaveLimiterHint : 0
; COMPUTE_PGM_RSRC2:SCRATCH_EN: 0
; COMPUTE_PGM_RSRC2:USER_SGPR: 6
; COMPUTE_PGM_RSRC2:TRAP_HANDLER: 0
; COMPUTE_PGM_RSRC2:TGID_X_EN: 1
; COMPUTE_PGM_RSRC2:TGID_Y_EN: 0
; COMPUTE_PGM_RSRC2:TGID_Z_EN: 0
; COMPUTE_PGM_RSRC2:TIDIG_COMP_CNT: 0
	.section	.text._ZN7rocprim17ROCPRIM_400000_NS6detail17trampoline_kernelINS0_14default_configENS1_21merge_config_selectorINS0_5tupleIJssEEENS0_10empty_typeEEEZNS1_10merge_implIS3_NS0_12zip_iteratorINS5_IJN6thrust23THRUST_200600_302600_NS6detail15normal_iteratorINSC_10device_ptrIKsEEEESI_EEEEESK_NSA_INS5_IJNSE_INSF_IsEEEESM_EEEEEPS7_SP_SP_NSC_11hip_rocprim7__merge17predicate_wrapperIssNSC_4lessIsEEEEEE10hipError_tPvRmT0_T1_T2_T3_T4_T5_mmT6_P12ihipStream_tbEUlT_E0_NS1_11comp_targetILNS1_3genE0ELNS1_11target_archE4294967295ELNS1_3gpuE0ELNS1_3repE0EEENS1_30default_config_static_selectorELNS0_4arch9wavefront6targetE0EEEvS10_,"axG",@progbits,_ZN7rocprim17ROCPRIM_400000_NS6detail17trampoline_kernelINS0_14default_configENS1_21merge_config_selectorINS0_5tupleIJssEEENS0_10empty_typeEEEZNS1_10merge_implIS3_NS0_12zip_iteratorINS5_IJN6thrust23THRUST_200600_302600_NS6detail15normal_iteratorINSC_10device_ptrIKsEEEESI_EEEEESK_NSA_INS5_IJNSE_INSF_IsEEEESM_EEEEEPS7_SP_SP_NSC_11hip_rocprim7__merge17predicate_wrapperIssNSC_4lessIsEEEEEE10hipError_tPvRmT0_T1_T2_T3_T4_T5_mmT6_P12ihipStream_tbEUlT_E0_NS1_11comp_targetILNS1_3genE0ELNS1_11target_archE4294967295ELNS1_3gpuE0ELNS1_3repE0EEENS1_30default_config_static_selectorELNS0_4arch9wavefront6targetE0EEEvS10_,comdat
	.protected	_ZN7rocprim17ROCPRIM_400000_NS6detail17trampoline_kernelINS0_14default_configENS1_21merge_config_selectorINS0_5tupleIJssEEENS0_10empty_typeEEEZNS1_10merge_implIS3_NS0_12zip_iteratorINS5_IJN6thrust23THRUST_200600_302600_NS6detail15normal_iteratorINSC_10device_ptrIKsEEEESI_EEEEESK_NSA_INS5_IJNSE_INSF_IsEEEESM_EEEEEPS7_SP_SP_NSC_11hip_rocprim7__merge17predicate_wrapperIssNSC_4lessIsEEEEEE10hipError_tPvRmT0_T1_T2_T3_T4_T5_mmT6_P12ihipStream_tbEUlT_E0_NS1_11comp_targetILNS1_3genE0ELNS1_11target_archE4294967295ELNS1_3gpuE0ELNS1_3repE0EEENS1_30default_config_static_selectorELNS0_4arch9wavefront6targetE0EEEvS10_ ; -- Begin function _ZN7rocprim17ROCPRIM_400000_NS6detail17trampoline_kernelINS0_14default_configENS1_21merge_config_selectorINS0_5tupleIJssEEENS0_10empty_typeEEEZNS1_10merge_implIS3_NS0_12zip_iteratorINS5_IJN6thrust23THRUST_200600_302600_NS6detail15normal_iteratorINSC_10device_ptrIKsEEEESI_EEEEESK_NSA_INS5_IJNSE_INSF_IsEEEESM_EEEEEPS7_SP_SP_NSC_11hip_rocprim7__merge17predicate_wrapperIssNSC_4lessIsEEEEEE10hipError_tPvRmT0_T1_T2_T3_T4_T5_mmT6_P12ihipStream_tbEUlT_E0_NS1_11comp_targetILNS1_3genE0ELNS1_11target_archE4294967295ELNS1_3gpuE0ELNS1_3repE0EEENS1_30default_config_static_selectorELNS0_4arch9wavefront6targetE0EEEvS10_
	.globl	_ZN7rocprim17ROCPRIM_400000_NS6detail17trampoline_kernelINS0_14default_configENS1_21merge_config_selectorINS0_5tupleIJssEEENS0_10empty_typeEEEZNS1_10merge_implIS3_NS0_12zip_iteratorINS5_IJN6thrust23THRUST_200600_302600_NS6detail15normal_iteratorINSC_10device_ptrIKsEEEESI_EEEEESK_NSA_INS5_IJNSE_INSF_IsEEEESM_EEEEEPS7_SP_SP_NSC_11hip_rocprim7__merge17predicate_wrapperIssNSC_4lessIsEEEEEE10hipError_tPvRmT0_T1_T2_T3_T4_T5_mmT6_P12ihipStream_tbEUlT_E0_NS1_11comp_targetILNS1_3genE0ELNS1_11target_archE4294967295ELNS1_3gpuE0ELNS1_3repE0EEENS1_30default_config_static_selectorELNS0_4arch9wavefront6targetE0EEEvS10_
	.p2align	8
	.type	_ZN7rocprim17ROCPRIM_400000_NS6detail17trampoline_kernelINS0_14default_configENS1_21merge_config_selectorINS0_5tupleIJssEEENS0_10empty_typeEEEZNS1_10merge_implIS3_NS0_12zip_iteratorINS5_IJN6thrust23THRUST_200600_302600_NS6detail15normal_iteratorINSC_10device_ptrIKsEEEESI_EEEEESK_NSA_INS5_IJNSE_INSF_IsEEEESM_EEEEEPS7_SP_SP_NSC_11hip_rocprim7__merge17predicate_wrapperIssNSC_4lessIsEEEEEE10hipError_tPvRmT0_T1_T2_T3_T4_T5_mmT6_P12ihipStream_tbEUlT_E0_NS1_11comp_targetILNS1_3genE0ELNS1_11target_archE4294967295ELNS1_3gpuE0ELNS1_3repE0EEENS1_30default_config_static_selectorELNS0_4arch9wavefront6targetE0EEEvS10_,@function
_ZN7rocprim17ROCPRIM_400000_NS6detail17trampoline_kernelINS0_14default_configENS1_21merge_config_selectorINS0_5tupleIJssEEENS0_10empty_typeEEEZNS1_10merge_implIS3_NS0_12zip_iteratorINS5_IJN6thrust23THRUST_200600_302600_NS6detail15normal_iteratorINSC_10device_ptrIKsEEEESI_EEEEESK_NSA_INS5_IJNSE_INSF_IsEEEESM_EEEEEPS7_SP_SP_NSC_11hip_rocprim7__merge17predicate_wrapperIssNSC_4lessIsEEEEEE10hipError_tPvRmT0_T1_T2_T3_T4_T5_mmT6_P12ihipStream_tbEUlT_E0_NS1_11comp_targetILNS1_3genE0ELNS1_11target_archE4294967295ELNS1_3gpuE0ELNS1_3repE0EEENS1_30default_config_static_selectorELNS0_4arch9wavefront6targetE0EEEvS10_: ; @_ZN7rocprim17ROCPRIM_400000_NS6detail17trampoline_kernelINS0_14default_configENS1_21merge_config_selectorINS0_5tupleIJssEEENS0_10empty_typeEEEZNS1_10merge_implIS3_NS0_12zip_iteratorINS5_IJN6thrust23THRUST_200600_302600_NS6detail15normal_iteratorINSC_10device_ptrIKsEEEESI_EEEEESK_NSA_INS5_IJNSE_INSF_IsEEEESM_EEEEEPS7_SP_SP_NSC_11hip_rocprim7__merge17predicate_wrapperIssNSC_4lessIsEEEEEE10hipError_tPvRmT0_T1_T2_T3_T4_T5_mmT6_P12ihipStream_tbEUlT_E0_NS1_11comp_targetILNS1_3genE0ELNS1_11target_archE4294967295ELNS1_3gpuE0ELNS1_3repE0EEENS1_30default_config_static_selectorELNS0_4arch9wavefront6targetE0EEEvS10_
; %bb.0:
	.section	.rodata,"a",@progbits
	.p2align	6, 0x0
	.amdhsa_kernel _ZN7rocprim17ROCPRIM_400000_NS6detail17trampoline_kernelINS0_14default_configENS1_21merge_config_selectorINS0_5tupleIJssEEENS0_10empty_typeEEEZNS1_10merge_implIS3_NS0_12zip_iteratorINS5_IJN6thrust23THRUST_200600_302600_NS6detail15normal_iteratorINSC_10device_ptrIKsEEEESI_EEEEESK_NSA_INS5_IJNSE_INSF_IsEEEESM_EEEEEPS7_SP_SP_NSC_11hip_rocprim7__merge17predicate_wrapperIssNSC_4lessIsEEEEEE10hipError_tPvRmT0_T1_T2_T3_T4_T5_mmT6_P12ihipStream_tbEUlT_E0_NS1_11comp_targetILNS1_3genE0ELNS1_11target_archE4294967295ELNS1_3gpuE0ELNS1_3repE0EEENS1_30default_config_static_selectorELNS0_4arch9wavefront6targetE0EEEvS10_
		.amdhsa_group_segment_fixed_size 0
		.amdhsa_private_segment_fixed_size 0
		.amdhsa_kernarg_size 112
		.amdhsa_user_sgpr_count 6
		.amdhsa_user_sgpr_private_segment_buffer 1
		.amdhsa_user_sgpr_dispatch_ptr 0
		.amdhsa_user_sgpr_queue_ptr 0
		.amdhsa_user_sgpr_kernarg_segment_ptr 1
		.amdhsa_user_sgpr_dispatch_id 0
		.amdhsa_user_sgpr_flat_scratch_init 0
		.amdhsa_user_sgpr_private_segment_size 0
		.amdhsa_wavefront_size32 1
		.amdhsa_uses_dynamic_stack 0
		.amdhsa_system_sgpr_private_segment_wavefront_offset 0
		.amdhsa_system_sgpr_workgroup_id_x 1
		.amdhsa_system_sgpr_workgroup_id_y 0
		.amdhsa_system_sgpr_workgroup_id_z 0
		.amdhsa_system_sgpr_workgroup_info 0
		.amdhsa_system_vgpr_workitem_id 0
		.amdhsa_next_free_vgpr 1
		.amdhsa_next_free_sgpr 1
		.amdhsa_reserve_vcc 0
		.amdhsa_reserve_flat_scratch 0
		.amdhsa_float_round_mode_32 0
		.amdhsa_float_round_mode_16_64 0
		.amdhsa_float_denorm_mode_32 3
		.amdhsa_float_denorm_mode_16_64 3
		.amdhsa_dx10_clamp 1
		.amdhsa_ieee_mode 1
		.amdhsa_fp16_overflow 0
		.amdhsa_workgroup_processor_mode 1
		.amdhsa_memory_ordered 1
		.amdhsa_forward_progress 1
		.amdhsa_shared_vgpr_count 0
		.amdhsa_exception_fp_ieee_invalid_op 0
		.amdhsa_exception_fp_denorm_src 0
		.amdhsa_exception_fp_ieee_div_zero 0
		.amdhsa_exception_fp_ieee_overflow 0
		.amdhsa_exception_fp_ieee_underflow 0
		.amdhsa_exception_fp_ieee_inexact 0
		.amdhsa_exception_int_div_zero 0
	.end_amdhsa_kernel
	.section	.text._ZN7rocprim17ROCPRIM_400000_NS6detail17trampoline_kernelINS0_14default_configENS1_21merge_config_selectorINS0_5tupleIJssEEENS0_10empty_typeEEEZNS1_10merge_implIS3_NS0_12zip_iteratorINS5_IJN6thrust23THRUST_200600_302600_NS6detail15normal_iteratorINSC_10device_ptrIKsEEEESI_EEEEESK_NSA_INS5_IJNSE_INSF_IsEEEESM_EEEEEPS7_SP_SP_NSC_11hip_rocprim7__merge17predicate_wrapperIssNSC_4lessIsEEEEEE10hipError_tPvRmT0_T1_T2_T3_T4_T5_mmT6_P12ihipStream_tbEUlT_E0_NS1_11comp_targetILNS1_3genE0ELNS1_11target_archE4294967295ELNS1_3gpuE0ELNS1_3repE0EEENS1_30default_config_static_selectorELNS0_4arch9wavefront6targetE0EEEvS10_,"axG",@progbits,_ZN7rocprim17ROCPRIM_400000_NS6detail17trampoline_kernelINS0_14default_configENS1_21merge_config_selectorINS0_5tupleIJssEEENS0_10empty_typeEEEZNS1_10merge_implIS3_NS0_12zip_iteratorINS5_IJN6thrust23THRUST_200600_302600_NS6detail15normal_iteratorINSC_10device_ptrIKsEEEESI_EEEEESK_NSA_INS5_IJNSE_INSF_IsEEEESM_EEEEEPS7_SP_SP_NSC_11hip_rocprim7__merge17predicate_wrapperIssNSC_4lessIsEEEEEE10hipError_tPvRmT0_T1_T2_T3_T4_T5_mmT6_P12ihipStream_tbEUlT_E0_NS1_11comp_targetILNS1_3genE0ELNS1_11target_archE4294967295ELNS1_3gpuE0ELNS1_3repE0EEENS1_30default_config_static_selectorELNS0_4arch9wavefront6targetE0EEEvS10_,comdat
.Lfunc_end289:
	.size	_ZN7rocprim17ROCPRIM_400000_NS6detail17trampoline_kernelINS0_14default_configENS1_21merge_config_selectorINS0_5tupleIJssEEENS0_10empty_typeEEEZNS1_10merge_implIS3_NS0_12zip_iteratorINS5_IJN6thrust23THRUST_200600_302600_NS6detail15normal_iteratorINSC_10device_ptrIKsEEEESI_EEEEESK_NSA_INS5_IJNSE_INSF_IsEEEESM_EEEEEPS7_SP_SP_NSC_11hip_rocprim7__merge17predicate_wrapperIssNSC_4lessIsEEEEEE10hipError_tPvRmT0_T1_T2_T3_T4_T5_mmT6_P12ihipStream_tbEUlT_E0_NS1_11comp_targetILNS1_3genE0ELNS1_11target_archE4294967295ELNS1_3gpuE0ELNS1_3repE0EEENS1_30default_config_static_selectorELNS0_4arch9wavefront6targetE0EEEvS10_, .Lfunc_end289-_ZN7rocprim17ROCPRIM_400000_NS6detail17trampoline_kernelINS0_14default_configENS1_21merge_config_selectorINS0_5tupleIJssEEENS0_10empty_typeEEEZNS1_10merge_implIS3_NS0_12zip_iteratorINS5_IJN6thrust23THRUST_200600_302600_NS6detail15normal_iteratorINSC_10device_ptrIKsEEEESI_EEEEESK_NSA_INS5_IJNSE_INSF_IsEEEESM_EEEEEPS7_SP_SP_NSC_11hip_rocprim7__merge17predicate_wrapperIssNSC_4lessIsEEEEEE10hipError_tPvRmT0_T1_T2_T3_T4_T5_mmT6_P12ihipStream_tbEUlT_E0_NS1_11comp_targetILNS1_3genE0ELNS1_11target_archE4294967295ELNS1_3gpuE0ELNS1_3repE0EEENS1_30default_config_static_selectorELNS0_4arch9wavefront6targetE0EEEvS10_
                                        ; -- End function
	.set _ZN7rocprim17ROCPRIM_400000_NS6detail17trampoline_kernelINS0_14default_configENS1_21merge_config_selectorINS0_5tupleIJssEEENS0_10empty_typeEEEZNS1_10merge_implIS3_NS0_12zip_iteratorINS5_IJN6thrust23THRUST_200600_302600_NS6detail15normal_iteratorINSC_10device_ptrIKsEEEESI_EEEEESK_NSA_INS5_IJNSE_INSF_IsEEEESM_EEEEEPS7_SP_SP_NSC_11hip_rocprim7__merge17predicate_wrapperIssNSC_4lessIsEEEEEE10hipError_tPvRmT0_T1_T2_T3_T4_T5_mmT6_P12ihipStream_tbEUlT_E0_NS1_11comp_targetILNS1_3genE0ELNS1_11target_archE4294967295ELNS1_3gpuE0ELNS1_3repE0EEENS1_30default_config_static_selectorELNS0_4arch9wavefront6targetE0EEEvS10_.num_vgpr, 0
	.set _ZN7rocprim17ROCPRIM_400000_NS6detail17trampoline_kernelINS0_14default_configENS1_21merge_config_selectorINS0_5tupleIJssEEENS0_10empty_typeEEEZNS1_10merge_implIS3_NS0_12zip_iteratorINS5_IJN6thrust23THRUST_200600_302600_NS6detail15normal_iteratorINSC_10device_ptrIKsEEEESI_EEEEESK_NSA_INS5_IJNSE_INSF_IsEEEESM_EEEEEPS7_SP_SP_NSC_11hip_rocprim7__merge17predicate_wrapperIssNSC_4lessIsEEEEEE10hipError_tPvRmT0_T1_T2_T3_T4_T5_mmT6_P12ihipStream_tbEUlT_E0_NS1_11comp_targetILNS1_3genE0ELNS1_11target_archE4294967295ELNS1_3gpuE0ELNS1_3repE0EEENS1_30default_config_static_selectorELNS0_4arch9wavefront6targetE0EEEvS10_.num_agpr, 0
	.set _ZN7rocprim17ROCPRIM_400000_NS6detail17trampoline_kernelINS0_14default_configENS1_21merge_config_selectorINS0_5tupleIJssEEENS0_10empty_typeEEEZNS1_10merge_implIS3_NS0_12zip_iteratorINS5_IJN6thrust23THRUST_200600_302600_NS6detail15normal_iteratorINSC_10device_ptrIKsEEEESI_EEEEESK_NSA_INS5_IJNSE_INSF_IsEEEESM_EEEEEPS7_SP_SP_NSC_11hip_rocprim7__merge17predicate_wrapperIssNSC_4lessIsEEEEEE10hipError_tPvRmT0_T1_T2_T3_T4_T5_mmT6_P12ihipStream_tbEUlT_E0_NS1_11comp_targetILNS1_3genE0ELNS1_11target_archE4294967295ELNS1_3gpuE0ELNS1_3repE0EEENS1_30default_config_static_selectorELNS0_4arch9wavefront6targetE0EEEvS10_.numbered_sgpr, 0
	.set _ZN7rocprim17ROCPRIM_400000_NS6detail17trampoline_kernelINS0_14default_configENS1_21merge_config_selectorINS0_5tupleIJssEEENS0_10empty_typeEEEZNS1_10merge_implIS3_NS0_12zip_iteratorINS5_IJN6thrust23THRUST_200600_302600_NS6detail15normal_iteratorINSC_10device_ptrIKsEEEESI_EEEEESK_NSA_INS5_IJNSE_INSF_IsEEEESM_EEEEEPS7_SP_SP_NSC_11hip_rocprim7__merge17predicate_wrapperIssNSC_4lessIsEEEEEE10hipError_tPvRmT0_T1_T2_T3_T4_T5_mmT6_P12ihipStream_tbEUlT_E0_NS1_11comp_targetILNS1_3genE0ELNS1_11target_archE4294967295ELNS1_3gpuE0ELNS1_3repE0EEENS1_30default_config_static_selectorELNS0_4arch9wavefront6targetE0EEEvS10_.num_named_barrier, 0
	.set _ZN7rocprim17ROCPRIM_400000_NS6detail17trampoline_kernelINS0_14default_configENS1_21merge_config_selectorINS0_5tupleIJssEEENS0_10empty_typeEEEZNS1_10merge_implIS3_NS0_12zip_iteratorINS5_IJN6thrust23THRUST_200600_302600_NS6detail15normal_iteratorINSC_10device_ptrIKsEEEESI_EEEEESK_NSA_INS5_IJNSE_INSF_IsEEEESM_EEEEEPS7_SP_SP_NSC_11hip_rocprim7__merge17predicate_wrapperIssNSC_4lessIsEEEEEE10hipError_tPvRmT0_T1_T2_T3_T4_T5_mmT6_P12ihipStream_tbEUlT_E0_NS1_11comp_targetILNS1_3genE0ELNS1_11target_archE4294967295ELNS1_3gpuE0ELNS1_3repE0EEENS1_30default_config_static_selectorELNS0_4arch9wavefront6targetE0EEEvS10_.private_seg_size, 0
	.set _ZN7rocprim17ROCPRIM_400000_NS6detail17trampoline_kernelINS0_14default_configENS1_21merge_config_selectorINS0_5tupleIJssEEENS0_10empty_typeEEEZNS1_10merge_implIS3_NS0_12zip_iteratorINS5_IJN6thrust23THRUST_200600_302600_NS6detail15normal_iteratorINSC_10device_ptrIKsEEEESI_EEEEESK_NSA_INS5_IJNSE_INSF_IsEEEESM_EEEEEPS7_SP_SP_NSC_11hip_rocprim7__merge17predicate_wrapperIssNSC_4lessIsEEEEEE10hipError_tPvRmT0_T1_T2_T3_T4_T5_mmT6_P12ihipStream_tbEUlT_E0_NS1_11comp_targetILNS1_3genE0ELNS1_11target_archE4294967295ELNS1_3gpuE0ELNS1_3repE0EEENS1_30default_config_static_selectorELNS0_4arch9wavefront6targetE0EEEvS10_.uses_vcc, 0
	.set _ZN7rocprim17ROCPRIM_400000_NS6detail17trampoline_kernelINS0_14default_configENS1_21merge_config_selectorINS0_5tupleIJssEEENS0_10empty_typeEEEZNS1_10merge_implIS3_NS0_12zip_iteratorINS5_IJN6thrust23THRUST_200600_302600_NS6detail15normal_iteratorINSC_10device_ptrIKsEEEESI_EEEEESK_NSA_INS5_IJNSE_INSF_IsEEEESM_EEEEEPS7_SP_SP_NSC_11hip_rocprim7__merge17predicate_wrapperIssNSC_4lessIsEEEEEE10hipError_tPvRmT0_T1_T2_T3_T4_T5_mmT6_P12ihipStream_tbEUlT_E0_NS1_11comp_targetILNS1_3genE0ELNS1_11target_archE4294967295ELNS1_3gpuE0ELNS1_3repE0EEENS1_30default_config_static_selectorELNS0_4arch9wavefront6targetE0EEEvS10_.uses_flat_scratch, 0
	.set _ZN7rocprim17ROCPRIM_400000_NS6detail17trampoline_kernelINS0_14default_configENS1_21merge_config_selectorINS0_5tupleIJssEEENS0_10empty_typeEEEZNS1_10merge_implIS3_NS0_12zip_iteratorINS5_IJN6thrust23THRUST_200600_302600_NS6detail15normal_iteratorINSC_10device_ptrIKsEEEESI_EEEEESK_NSA_INS5_IJNSE_INSF_IsEEEESM_EEEEEPS7_SP_SP_NSC_11hip_rocprim7__merge17predicate_wrapperIssNSC_4lessIsEEEEEE10hipError_tPvRmT0_T1_T2_T3_T4_T5_mmT6_P12ihipStream_tbEUlT_E0_NS1_11comp_targetILNS1_3genE0ELNS1_11target_archE4294967295ELNS1_3gpuE0ELNS1_3repE0EEENS1_30default_config_static_selectorELNS0_4arch9wavefront6targetE0EEEvS10_.has_dyn_sized_stack, 0
	.set _ZN7rocprim17ROCPRIM_400000_NS6detail17trampoline_kernelINS0_14default_configENS1_21merge_config_selectorINS0_5tupleIJssEEENS0_10empty_typeEEEZNS1_10merge_implIS3_NS0_12zip_iteratorINS5_IJN6thrust23THRUST_200600_302600_NS6detail15normal_iteratorINSC_10device_ptrIKsEEEESI_EEEEESK_NSA_INS5_IJNSE_INSF_IsEEEESM_EEEEEPS7_SP_SP_NSC_11hip_rocprim7__merge17predicate_wrapperIssNSC_4lessIsEEEEEE10hipError_tPvRmT0_T1_T2_T3_T4_T5_mmT6_P12ihipStream_tbEUlT_E0_NS1_11comp_targetILNS1_3genE0ELNS1_11target_archE4294967295ELNS1_3gpuE0ELNS1_3repE0EEENS1_30default_config_static_selectorELNS0_4arch9wavefront6targetE0EEEvS10_.has_recursion, 0
	.set _ZN7rocprim17ROCPRIM_400000_NS6detail17trampoline_kernelINS0_14default_configENS1_21merge_config_selectorINS0_5tupleIJssEEENS0_10empty_typeEEEZNS1_10merge_implIS3_NS0_12zip_iteratorINS5_IJN6thrust23THRUST_200600_302600_NS6detail15normal_iteratorINSC_10device_ptrIKsEEEESI_EEEEESK_NSA_INS5_IJNSE_INSF_IsEEEESM_EEEEEPS7_SP_SP_NSC_11hip_rocprim7__merge17predicate_wrapperIssNSC_4lessIsEEEEEE10hipError_tPvRmT0_T1_T2_T3_T4_T5_mmT6_P12ihipStream_tbEUlT_E0_NS1_11comp_targetILNS1_3genE0ELNS1_11target_archE4294967295ELNS1_3gpuE0ELNS1_3repE0EEENS1_30default_config_static_selectorELNS0_4arch9wavefront6targetE0EEEvS10_.has_indirect_call, 0
	.section	.AMDGPU.csdata,"",@progbits
; Kernel info:
; codeLenInByte = 0
; TotalNumSgprs: 0
; NumVgprs: 0
; ScratchSize: 0
; MemoryBound: 0
; FloatMode: 240
; IeeeMode: 1
; LDSByteSize: 0 bytes/workgroup (compile time only)
; SGPRBlocks: 0
; VGPRBlocks: 0
; NumSGPRsForWavesPerEU: 1
; NumVGPRsForWavesPerEU: 1
; Occupancy: 16
; WaveLimiterHint : 0
; COMPUTE_PGM_RSRC2:SCRATCH_EN: 0
; COMPUTE_PGM_RSRC2:USER_SGPR: 6
; COMPUTE_PGM_RSRC2:TRAP_HANDLER: 0
; COMPUTE_PGM_RSRC2:TGID_X_EN: 1
; COMPUTE_PGM_RSRC2:TGID_Y_EN: 0
; COMPUTE_PGM_RSRC2:TGID_Z_EN: 0
; COMPUTE_PGM_RSRC2:TIDIG_COMP_CNT: 0
	.section	.text._ZN7rocprim17ROCPRIM_400000_NS6detail17trampoline_kernelINS0_14default_configENS1_21merge_config_selectorINS0_5tupleIJssEEENS0_10empty_typeEEEZNS1_10merge_implIS3_NS0_12zip_iteratorINS5_IJN6thrust23THRUST_200600_302600_NS6detail15normal_iteratorINSC_10device_ptrIKsEEEESI_EEEEESK_NSA_INS5_IJNSE_INSF_IsEEEESM_EEEEEPS7_SP_SP_NSC_11hip_rocprim7__merge17predicate_wrapperIssNSC_4lessIsEEEEEE10hipError_tPvRmT0_T1_T2_T3_T4_T5_mmT6_P12ihipStream_tbEUlT_E0_NS1_11comp_targetILNS1_3genE5ELNS1_11target_archE942ELNS1_3gpuE9ELNS1_3repE0EEENS1_30default_config_static_selectorELNS0_4arch9wavefront6targetE0EEEvS10_,"axG",@progbits,_ZN7rocprim17ROCPRIM_400000_NS6detail17trampoline_kernelINS0_14default_configENS1_21merge_config_selectorINS0_5tupleIJssEEENS0_10empty_typeEEEZNS1_10merge_implIS3_NS0_12zip_iteratorINS5_IJN6thrust23THRUST_200600_302600_NS6detail15normal_iteratorINSC_10device_ptrIKsEEEESI_EEEEESK_NSA_INS5_IJNSE_INSF_IsEEEESM_EEEEEPS7_SP_SP_NSC_11hip_rocprim7__merge17predicate_wrapperIssNSC_4lessIsEEEEEE10hipError_tPvRmT0_T1_T2_T3_T4_T5_mmT6_P12ihipStream_tbEUlT_E0_NS1_11comp_targetILNS1_3genE5ELNS1_11target_archE942ELNS1_3gpuE9ELNS1_3repE0EEENS1_30default_config_static_selectorELNS0_4arch9wavefront6targetE0EEEvS10_,comdat
	.protected	_ZN7rocprim17ROCPRIM_400000_NS6detail17trampoline_kernelINS0_14default_configENS1_21merge_config_selectorINS0_5tupleIJssEEENS0_10empty_typeEEEZNS1_10merge_implIS3_NS0_12zip_iteratorINS5_IJN6thrust23THRUST_200600_302600_NS6detail15normal_iteratorINSC_10device_ptrIKsEEEESI_EEEEESK_NSA_INS5_IJNSE_INSF_IsEEEESM_EEEEEPS7_SP_SP_NSC_11hip_rocprim7__merge17predicate_wrapperIssNSC_4lessIsEEEEEE10hipError_tPvRmT0_T1_T2_T3_T4_T5_mmT6_P12ihipStream_tbEUlT_E0_NS1_11comp_targetILNS1_3genE5ELNS1_11target_archE942ELNS1_3gpuE9ELNS1_3repE0EEENS1_30default_config_static_selectorELNS0_4arch9wavefront6targetE0EEEvS10_ ; -- Begin function _ZN7rocprim17ROCPRIM_400000_NS6detail17trampoline_kernelINS0_14default_configENS1_21merge_config_selectorINS0_5tupleIJssEEENS0_10empty_typeEEEZNS1_10merge_implIS3_NS0_12zip_iteratorINS5_IJN6thrust23THRUST_200600_302600_NS6detail15normal_iteratorINSC_10device_ptrIKsEEEESI_EEEEESK_NSA_INS5_IJNSE_INSF_IsEEEESM_EEEEEPS7_SP_SP_NSC_11hip_rocprim7__merge17predicate_wrapperIssNSC_4lessIsEEEEEE10hipError_tPvRmT0_T1_T2_T3_T4_T5_mmT6_P12ihipStream_tbEUlT_E0_NS1_11comp_targetILNS1_3genE5ELNS1_11target_archE942ELNS1_3gpuE9ELNS1_3repE0EEENS1_30default_config_static_selectorELNS0_4arch9wavefront6targetE0EEEvS10_
	.globl	_ZN7rocprim17ROCPRIM_400000_NS6detail17trampoline_kernelINS0_14default_configENS1_21merge_config_selectorINS0_5tupleIJssEEENS0_10empty_typeEEEZNS1_10merge_implIS3_NS0_12zip_iteratorINS5_IJN6thrust23THRUST_200600_302600_NS6detail15normal_iteratorINSC_10device_ptrIKsEEEESI_EEEEESK_NSA_INS5_IJNSE_INSF_IsEEEESM_EEEEEPS7_SP_SP_NSC_11hip_rocprim7__merge17predicate_wrapperIssNSC_4lessIsEEEEEE10hipError_tPvRmT0_T1_T2_T3_T4_T5_mmT6_P12ihipStream_tbEUlT_E0_NS1_11comp_targetILNS1_3genE5ELNS1_11target_archE942ELNS1_3gpuE9ELNS1_3repE0EEENS1_30default_config_static_selectorELNS0_4arch9wavefront6targetE0EEEvS10_
	.p2align	8
	.type	_ZN7rocprim17ROCPRIM_400000_NS6detail17trampoline_kernelINS0_14default_configENS1_21merge_config_selectorINS0_5tupleIJssEEENS0_10empty_typeEEEZNS1_10merge_implIS3_NS0_12zip_iteratorINS5_IJN6thrust23THRUST_200600_302600_NS6detail15normal_iteratorINSC_10device_ptrIKsEEEESI_EEEEESK_NSA_INS5_IJNSE_INSF_IsEEEESM_EEEEEPS7_SP_SP_NSC_11hip_rocprim7__merge17predicate_wrapperIssNSC_4lessIsEEEEEE10hipError_tPvRmT0_T1_T2_T3_T4_T5_mmT6_P12ihipStream_tbEUlT_E0_NS1_11comp_targetILNS1_3genE5ELNS1_11target_archE942ELNS1_3gpuE9ELNS1_3repE0EEENS1_30default_config_static_selectorELNS0_4arch9wavefront6targetE0EEEvS10_,@function
_ZN7rocprim17ROCPRIM_400000_NS6detail17trampoline_kernelINS0_14default_configENS1_21merge_config_selectorINS0_5tupleIJssEEENS0_10empty_typeEEEZNS1_10merge_implIS3_NS0_12zip_iteratorINS5_IJN6thrust23THRUST_200600_302600_NS6detail15normal_iteratorINSC_10device_ptrIKsEEEESI_EEEEESK_NSA_INS5_IJNSE_INSF_IsEEEESM_EEEEEPS7_SP_SP_NSC_11hip_rocprim7__merge17predicate_wrapperIssNSC_4lessIsEEEEEE10hipError_tPvRmT0_T1_T2_T3_T4_T5_mmT6_P12ihipStream_tbEUlT_E0_NS1_11comp_targetILNS1_3genE5ELNS1_11target_archE942ELNS1_3gpuE9ELNS1_3repE0EEENS1_30default_config_static_selectorELNS0_4arch9wavefront6targetE0EEEvS10_: ; @_ZN7rocprim17ROCPRIM_400000_NS6detail17trampoline_kernelINS0_14default_configENS1_21merge_config_selectorINS0_5tupleIJssEEENS0_10empty_typeEEEZNS1_10merge_implIS3_NS0_12zip_iteratorINS5_IJN6thrust23THRUST_200600_302600_NS6detail15normal_iteratorINSC_10device_ptrIKsEEEESI_EEEEESK_NSA_INS5_IJNSE_INSF_IsEEEESM_EEEEEPS7_SP_SP_NSC_11hip_rocprim7__merge17predicate_wrapperIssNSC_4lessIsEEEEEE10hipError_tPvRmT0_T1_T2_T3_T4_T5_mmT6_P12ihipStream_tbEUlT_E0_NS1_11comp_targetILNS1_3genE5ELNS1_11target_archE942ELNS1_3gpuE9ELNS1_3repE0EEENS1_30default_config_static_selectorELNS0_4arch9wavefront6targetE0EEEvS10_
; %bb.0:
	.section	.rodata,"a",@progbits
	.p2align	6, 0x0
	.amdhsa_kernel _ZN7rocprim17ROCPRIM_400000_NS6detail17trampoline_kernelINS0_14default_configENS1_21merge_config_selectorINS0_5tupleIJssEEENS0_10empty_typeEEEZNS1_10merge_implIS3_NS0_12zip_iteratorINS5_IJN6thrust23THRUST_200600_302600_NS6detail15normal_iteratorINSC_10device_ptrIKsEEEESI_EEEEESK_NSA_INS5_IJNSE_INSF_IsEEEESM_EEEEEPS7_SP_SP_NSC_11hip_rocprim7__merge17predicate_wrapperIssNSC_4lessIsEEEEEE10hipError_tPvRmT0_T1_T2_T3_T4_T5_mmT6_P12ihipStream_tbEUlT_E0_NS1_11comp_targetILNS1_3genE5ELNS1_11target_archE942ELNS1_3gpuE9ELNS1_3repE0EEENS1_30default_config_static_selectorELNS0_4arch9wavefront6targetE0EEEvS10_
		.amdhsa_group_segment_fixed_size 0
		.amdhsa_private_segment_fixed_size 0
		.amdhsa_kernarg_size 112
		.amdhsa_user_sgpr_count 6
		.amdhsa_user_sgpr_private_segment_buffer 1
		.amdhsa_user_sgpr_dispatch_ptr 0
		.amdhsa_user_sgpr_queue_ptr 0
		.amdhsa_user_sgpr_kernarg_segment_ptr 1
		.amdhsa_user_sgpr_dispatch_id 0
		.amdhsa_user_sgpr_flat_scratch_init 0
		.amdhsa_user_sgpr_private_segment_size 0
		.amdhsa_wavefront_size32 1
		.amdhsa_uses_dynamic_stack 0
		.amdhsa_system_sgpr_private_segment_wavefront_offset 0
		.amdhsa_system_sgpr_workgroup_id_x 1
		.amdhsa_system_sgpr_workgroup_id_y 0
		.amdhsa_system_sgpr_workgroup_id_z 0
		.amdhsa_system_sgpr_workgroup_info 0
		.amdhsa_system_vgpr_workitem_id 0
		.amdhsa_next_free_vgpr 1
		.amdhsa_next_free_sgpr 1
		.amdhsa_reserve_vcc 0
		.amdhsa_reserve_flat_scratch 0
		.amdhsa_float_round_mode_32 0
		.amdhsa_float_round_mode_16_64 0
		.amdhsa_float_denorm_mode_32 3
		.amdhsa_float_denorm_mode_16_64 3
		.amdhsa_dx10_clamp 1
		.amdhsa_ieee_mode 1
		.amdhsa_fp16_overflow 0
		.amdhsa_workgroup_processor_mode 1
		.amdhsa_memory_ordered 1
		.amdhsa_forward_progress 1
		.amdhsa_shared_vgpr_count 0
		.amdhsa_exception_fp_ieee_invalid_op 0
		.amdhsa_exception_fp_denorm_src 0
		.amdhsa_exception_fp_ieee_div_zero 0
		.amdhsa_exception_fp_ieee_overflow 0
		.amdhsa_exception_fp_ieee_underflow 0
		.amdhsa_exception_fp_ieee_inexact 0
		.amdhsa_exception_int_div_zero 0
	.end_amdhsa_kernel
	.section	.text._ZN7rocprim17ROCPRIM_400000_NS6detail17trampoline_kernelINS0_14default_configENS1_21merge_config_selectorINS0_5tupleIJssEEENS0_10empty_typeEEEZNS1_10merge_implIS3_NS0_12zip_iteratorINS5_IJN6thrust23THRUST_200600_302600_NS6detail15normal_iteratorINSC_10device_ptrIKsEEEESI_EEEEESK_NSA_INS5_IJNSE_INSF_IsEEEESM_EEEEEPS7_SP_SP_NSC_11hip_rocprim7__merge17predicate_wrapperIssNSC_4lessIsEEEEEE10hipError_tPvRmT0_T1_T2_T3_T4_T5_mmT6_P12ihipStream_tbEUlT_E0_NS1_11comp_targetILNS1_3genE5ELNS1_11target_archE942ELNS1_3gpuE9ELNS1_3repE0EEENS1_30default_config_static_selectorELNS0_4arch9wavefront6targetE0EEEvS10_,"axG",@progbits,_ZN7rocprim17ROCPRIM_400000_NS6detail17trampoline_kernelINS0_14default_configENS1_21merge_config_selectorINS0_5tupleIJssEEENS0_10empty_typeEEEZNS1_10merge_implIS3_NS0_12zip_iteratorINS5_IJN6thrust23THRUST_200600_302600_NS6detail15normal_iteratorINSC_10device_ptrIKsEEEESI_EEEEESK_NSA_INS5_IJNSE_INSF_IsEEEESM_EEEEEPS7_SP_SP_NSC_11hip_rocprim7__merge17predicate_wrapperIssNSC_4lessIsEEEEEE10hipError_tPvRmT0_T1_T2_T3_T4_T5_mmT6_P12ihipStream_tbEUlT_E0_NS1_11comp_targetILNS1_3genE5ELNS1_11target_archE942ELNS1_3gpuE9ELNS1_3repE0EEENS1_30default_config_static_selectorELNS0_4arch9wavefront6targetE0EEEvS10_,comdat
.Lfunc_end290:
	.size	_ZN7rocprim17ROCPRIM_400000_NS6detail17trampoline_kernelINS0_14default_configENS1_21merge_config_selectorINS0_5tupleIJssEEENS0_10empty_typeEEEZNS1_10merge_implIS3_NS0_12zip_iteratorINS5_IJN6thrust23THRUST_200600_302600_NS6detail15normal_iteratorINSC_10device_ptrIKsEEEESI_EEEEESK_NSA_INS5_IJNSE_INSF_IsEEEESM_EEEEEPS7_SP_SP_NSC_11hip_rocprim7__merge17predicate_wrapperIssNSC_4lessIsEEEEEE10hipError_tPvRmT0_T1_T2_T3_T4_T5_mmT6_P12ihipStream_tbEUlT_E0_NS1_11comp_targetILNS1_3genE5ELNS1_11target_archE942ELNS1_3gpuE9ELNS1_3repE0EEENS1_30default_config_static_selectorELNS0_4arch9wavefront6targetE0EEEvS10_, .Lfunc_end290-_ZN7rocprim17ROCPRIM_400000_NS6detail17trampoline_kernelINS0_14default_configENS1_21merge_config_selectorINS0_5tupleIJssEEENS0_10empty_typeEEEZNS1_10merge_implIS3_NS0_12zip_iteratorINS5_IJN6thrust23THRUST_200600_302600_NS6detail15normal_iteratorINSC_10device_ptrIKsEEEESI_EEEEESK_NSA_INS5_IJNSE_INSF_IsEEEESM_EEEEEPS7_SP_SP_NSC_11hip_rocprim7__merge17predicate_wrapperIssNSC_4lessIsEEEEEE10hipError_tPvRmT0_T1_T2_T3_T4_T5_mmT6_P12ihipStream_tbEUlT_E0_NS1_11comp_targetILNS1_3genE5ELNS1_11target_archE942ELNS1_3gpuE9ELNS1_3repE0EEENS1_30default_config_static_selectorELNS0_4arch9wavefront6targetE0EEEvS10_
                                        ; -- End function
	.set _ZN7rocprim17ROCPRIM_400000_NS6detail17trampoline_kernelINS0_14default_configENS1_21merge_config_selectorINS0_5tupleIJssEEENS0_10empty_typeEEEZNS1_10merge_implIS3_NS0_12zip_iteratorINS5_IJN6thrust23THRUST_200600_302600_NS6detail15normal_iteratorINSC_10device_ptrIKsEEEESI_EEEEESK_NSA_INS5_IJNSE_INSF_IsEEEESM_EEEEEPS7_SP_SP_NSC_11hip_rocprim7__merge17predicate_wrapperIssNSC_4lessIsEEEEEE10hipError_tPvRmT0_T1_T2_T3_T4_T5_mmT6_P12ihipStream_tbEUlT_E0_NS1_11comp_targetILNS1_3genE5ELNS1_11target_archE942ELNS1_3gpuE9ELNS1_3repE0EEENS1_30default_config_static_selectorELNS0_4arch9wavefront6targetE0EEEvS10_.num_vgpr, 0
	.set _ZN7rocprim17ROCPRIM_400000_NS6detail17trampoline_kernelINS0_14default_configENS1_21merge_config_selectorINS0_5tupleIJssEEENS0_10empty_typeEEEZNS1_10merge_implIS3_NS0_12zip_iteratorINS5_IJN6thrust23THRUST_200600_302600_NS6detail15normal_iteratorINSC_10device_ptrIKsEEEESI_EEEEESK_NSA_INS5_IJNSE_INSF_IsEEEESM_EEEEEPS7_SP_SP_NSC_11hip_rocprim7__merge17predicate_wrapperIssNSC_4lessIsEEEEEE10hipError_tPvRmT0_T1_T2_T3_T4_T5_mmT6_P12ihipStream_tbEUlT_E0_NS1_11comp_targetILNS1_3genE5ELNS1_11target_archE942ELNS1_3gpuE9ELNS1_3repE0EEENS1_30default_config_static_selectorELNS0_4arch9wavefront6targetE0EEEvS10_.num_agpr, 0
	.set _ZN7rocprim17ROCPRIM_400000_NS6detail17trampoline_kernelINS0_14default_configENS1_21merge_config_selectorINS0_5tupleIJssEEENS0_10empty_typeEEEZNS1_10merge_implIS3_NS0_12zip_iteratorINS5_IJN6thrust23THRUST_200600_302600_NS6detail15normal_iteratorINSC_10device_ptrIKsEEEESI_EEEEESK_NSA_INS5_IJNSE_INSF_IsEEEESM_EEEEEPS7_SP_SP_NSC_11hip_rocprim7__merge17predicate_wrapperIssNSC_4lessIsEEEEEE10hipError_tPvRmT0_T1_T2_T3_T4_T5_mmT6_P12ihipStream_tbEUlT_E0_NS1_11comp_targetILNS1_3genE5ELNS1_11target_archE942ELNS1_3gpuE9ELNS1_3repE0EEENS1_30default_config_static_selectorELNS0_4arch9wavefront6targetE0EEEvS10_.numbered_sgpr, 0
	.set _ZN7rocprim17ROCPRIM_400000_NS6detail17trampoline_kernelINS0_14default_configENS1_21merge_config_selectorINS0_5tupleIJssEEENS0_10empty_typeEEEZNS1_10merge_implIS3_NS0_12zip_iteratorINS5_IJN6thrust23THRUST_200600_302600_NS6detail15normal_iteratorINSC_10device_ptrIKsEEEESI_EEEEESK_NSA_INS5_IJNSE_INSF_IsEEEESM_EEEEEPS7_SP_SP_NSC_11hip_rocprim7__merge17predicate_wrapperIssNSC_4lessIsEEEEEE10hipError_tPvRmT0_T1_T2_T3_T4_T5_mmT6_P12ihipStream_tbEUlT_E0_NS1_11comp_targetILNS1_3genE5ELNS1_11target_archE942ELNS1_3gpuE9ELNS1_3repE0EEENS1_30default_config_static_selectorELNS0_4arch9wavefront6targetE0EEEvS10_.num_named_barrier, 0
	.set _ZN7rocprim17ROCPRIM_400000_NS6detail17trampoline_kernelINS0_14default_configENS1_21merge_config_selectorINS0_5tupleIJssEEENS0_10empty_typeEEEZNS1_10merge_implIS3_NS0_12zip_iteratorINS5_IJN6thrust23THRUST_200600_302600_NS6detail15normal_iteratorINSC_10device_ptrIKsEEEESI_EEEEESK_NSA_INS5_IJNSE_INSF_IsEEEESM_EEEEEPS7_SP_SP_NSC_11hip_rocprim7__merge17predicate_wrapperIssNSC_4lessIsEEEEEE10hipError_tPvRmT0_T1_T2_T3_T4_T5_mmT6_P12ihipStream_tbEUlT_E0_NS1_11comp_targetILNS1_3genE5ELNS1_11target_archE942ELNS1_3gpuE9ELNS1_3repE0EEENS1_30default_config_static_selectorELNS0_4arch9wavefront6targetE0EEEvS10_.private_seg_size, 0
	.set _ZN7rocprim17ROCPRIM_400000_NS6detail17trampoline_kernelINS0_14default_configENS1_21merge_config_selectorINS0_5tupleIJssEEENS0_10empty_typeEEEZNS1_10merge_implIS3_NS0_12zip_iteratorINS5_IJN6thrust23THRUST_200600_302600_NS6detail15normal_iteratorINSC_10device_ptrIKsEEEESI_EEEEESK_NSA_INS5_IJNSE_INSF_IsEEEESM_EEEEEPS7_SP_SP_NSC_11hip_rocprim7__merge17predicate_wrapperIssNSC_4lessIsEEEEEE10hipError_tPvRmT0_T1_T2_T3_T4_T5_mmT6_P12ihipStream_tbEUlT_E0_NS1_11comp_targetILNS1_3genE5ELNS1_11target_archE942ELNS1_3gpuE9ELNS1_3repE0EEENS1_30default_config_static_selectorELNS0_4arch9wavefront6targetE0EEEvS10_.uses_vcc, 0
	.set _ZN7rocprim17ROCPRIM_400000_NS6detail17trampoline_kernelINS0_14default_configENS1_21merge_config_selectorINS0_5tupleIJssEEENS0_10empty_typeEEEZNS1_10merge_implIS3_NS0_12zip_iteratorINS5_IJN6thrust23THRUST_200600_302600_NS6detail15normal_iteratorINSC_10device_ptrIKsEEEESI_EEEEESK_NSA_INS5_IJNSE_INSF_IsEEEESM_EEEEEPS7_SP_SP_NSC_11hip_rocprim7__merge17predicate_wrapperIssNSC_4lessIsEEEEEE10hipError_tPvRmT0_T1_T2_T3_T4_T5_mmT6_P12ihipStream_tbEUlT_E0_NS1_11comp_targetILNS1_3genE5ELNS1_11target_archE942ELNS1_3gpuE9ELNS1_3repE0EEENS1_30default_config_static_selectorELNS0_4arch9wavefront6targetE0EEEvS10_.uses_flat_scratch, 0
	.set _ZN7rocprim17ROCPRIM_400000_NS6detail17trampoline_kernelINS0_14default_configENS1_21merge_config_selectorINS0_5tupleIJssEEENS0_10empty_typeEEEZNS1_10merge_implIS3_NS0_12zip_iteratorINS5_IJN6thrust23THRUST_200600_302600_NS6detail15normal_iteratorINSC_10device_ptrIKsEEEESI_EEEEESK_NSA_INS5_IJNSE_INSF_IsEEEESM_EEEEEPS7_SP_SP_NSC_11hip_rocprim7__merge17predicate_wrapperIssNSC_4lessIsEEEEEE10hipError_tPvRmT0_T1_T2_T3_T4_T5_mmT6_P12ihipStream_tbEUlT_E0_NS1_11comp_targetILNS1_3genE5ELNS1_11target_archE942ELNS1_3gpuE9ELNS1_3repE0EEENS1_30default_config_static_selectorELNS0_4arch9wavefront6targetE0EEEvS10_.has_dyn_sized_stack, 0
	.set _ZN7rocprim17ROCPRIM_400000_NS6detail17trampoline_kernelINS0_14default_configENS1_21merge_config_selectorINS0_5tupleIJssEEENS0_10empty_typeEEEZNS1_10merge_implIS3_NS0_12zip_iteratorINS5_IJN6thrust23THRUST_200600_302600_NS6detail15normal_iteratorINSC_10device_ptrIKsEEEESI_EEEEESK_NSA_INS5_IJNSE_INSF_IsEEEESM_EEEEEPS7_SP_SP_NSC_11hip_rocprim7__merge17predicate_wrapperIssNSC_4lessIsEEEEEE10hipError_tPvRmT0_T1_T2_T3_T4_T5_mmT6_P12ihipStream_tbEUlT_E0_NS1_11comp_targetILNS1_3genE5ELNS1_11target_archE942ELNS1_3gpuE9ELNS1_3repE0EEENS1_30default_config_static_selectorELNS0_4arch9wavefront6targetE0EEEvS10_.has_recursion, 0
	.set _ZN7rocprim17ROCPRIM_400000_NS6detail17trampoline_kernelINS0_14default_configENS1_21merge_config_selectorINS0_5tupleIJssEEENS0_10empty_typeEEEZNS1_10merge_implIS3_NS0_12zip_iteratorINS5_IJN6thrust23THRUST_200600_302600_NS6detail15normal_iteratorINSC_10device_ptrIKsEEEESI_EEEEESK_NSA_INS5_IJNSE_INSF_IsEEEESM_EEEEEPS7_SP_SP_NSC_11hip_rocprim7__merge17predicate_wrapperIssNSC_4lessIsEEEEEE10hipError_tPvRmT0_T1_T2_T3_T4_T5_mmT6_P12ihipStream_tbEUlT_E0_NS1_11comp_targetILNS1_3genE5ELNS1_11target_archE942ELNS1_3gpuE9ELNS1_3repE0EEENS1_30default_config_static_selectorELNS0_4arch9wavefront6targetE0EEEvS10_.has_indirect_call, 0
	.section	.AMDGPU.csdata,"",@progbits
; Kernel info:
; codeLenInByte = 0
; TotalNumSgprs: 0
; NumVgprs: 0
; ScratchSize: 0
; MemoryBound: 0
; FloatMode: 240
; IeeeMode: 1
; LDSByteSize: 0 bytes/workgroup (compile time only)
; SGPRBlocks: 0
; VGPRBlocks: 0
; NumSGPRsForWavesPerEU: 1
; NumVGPRsForWavesPerEU: 1
; Occupancy: 16
; WaveLimiterHint : 0
; COMPUTE_PGM_RSRC2:SCRATCH_EN: 0
; COMPUTE_PGM_RSRC2:USER_SGPR: 6
; COMPUTE_PGM_RSRC2:TRAP_HANDLER: 0
; COMPUTE_PGM_RSRC2:TGID_X_EN: 1
; COMPUTE_PGM_RSRC2:TGID_Y_EN: 0
; COMPUTE_PGM_RSRC2:TGID_Z_EN: 0
; COMPUTE_PGM_RSRC2:TIDIG_COMP_CNT: 0
	.section	.text._ZN7rocprim17ROCPRIM_400000_NS6detail17trampoline_kernelINS0_14default_configENS1_21merge_config_selectorINS0_5tupleIJssEEENS0_10empty_typeEEEZNS1_10merge_implIS3_NS0_12zip_iteratorINS5_IJN6thrust23THRUST_200600_302600_NS6detail15normal_iteratorINSC_10device_ptrIKsEEEESI_EEEEESK_NSA_INS5_IJNSE_INSF_IsEEEESM_EEEEEPS7_SP_SP_NSC_11hip_rocprim7__merge17predicate_wrapperIssNSC_4lessIsEEEEEE10hipError_tPvRmT0_T1_T2_T3_T4_T5_mmT6_P12ihipStream_tbEUlT_E0_NS1_11comp_targetILNS1_3genE4ELNS1_11target_archE910ELNS1_3gpuE8ELNS1_3repE0EEENS1_30default_config_static_selectorELNS0_4arch9wavefront6targetE0EEEvS10_,"axG",@progbits,_ZN7rocprim17ROCPRIM_400000_NS6detail17trampoline_kernelINS0_14default_configENS1_21merge_config_selectorINS0_5tupleIJssEEENS0_10empty_typeEEEZNS1_10merge_implIS3_NS0_12zip_iteratorINS5_IJN6thrust23THRUST_200600_302600_NS6detail15normal_iteratorINSC_10device_ptrIKsEEEESI_EEEEESK_NSA_INS5_IJNSE_INSF_IsEEEESM_EEEEEPS7_SP_SP_NSC_11hip_rocprim7__merge17predicate_wrapperIssNSC_4lessIsEEEEEE10hipError_tPvRmT0_T1_T2_T3_T4_T5_mmT6_P12ihipStream_tbEUlT_E0_NS1_11comp_targetILNS1_3genE4ELNS1_11target_archE910ELNS1_3gpuE8ELNS1_3repE0EEENS1_30default_config_static_selectorELNS0_4arch9wavefront6targetE0EEEvS10_,comdat
	.protected	_ZN7rocprim17ROCPRIM_400000_NS6detail17trampoline_kernelINS0_14default_configENS1_21merge_config_selectorINS0_5tupleIJssEEENS0_10empty_typeEEEZNS1_10merge_implIS3_NS0_12zip_iteratorINS5_IJN6thrust23THRUST_200600_302600_NS6detail15normal_iteratorINSC_10device_ptrIKsEEEESI_EEEEESK_NSA_INS5_IJNSE_INSF_IsEEEESM_EEEEEPS7_SP_SP_NSC_11hip_rocprim7__merge17predicate_wrapperIssNSC_4lessIsEEEEEE10hipError_tPvRmT0_T1_T2_T3_T4_T5_mmT6_P12ihipStream_tbEUlT_E0_NS1_11comp_targetILNS1_3genE4ELNS1_11target_archE910ELNS1_3gpuE8ELNS1_3repE0EEENS1_30default_config_static_selectorELNS0_4arch9wavefront6targetE0EEEvS10_ ; -- Begin function _ZN7rocprim17ROCPRIM_400000_NS6detail17trampoline_kernelINS0_14default_configENS1_21merge_config_selectorINS0_5tupleIJssEEENS0_10empty_typeEEEZNS1_10merge_implIS3_NS0_12zip_iteratorINS5_IJN6thrust23THRUST_200600_302600_NS6detail15normal_iteratorINSC_10device_ptrIKsEEEESI_EEEEESK_NSA_INS5_IJNSE_INSF_IsEEEESM_EEEEEPS7_SP_SP_NSC_11hip_rocprim7__merge17predicate_wrapperIssNSC_4lessIsEEEEEE10hipError_tPvRmT0_T1_T2_T3_T4_T5_mmT6_P12ihipStream_tbEUlT_E0_NS1_11comp_targetILNS1_3genE4ELNS1_11target_archE910ELNS1_3gpuE8ELNS1_3repE0EEENS1_30default_config_static_selectorELNS0_4arch9wavefront6targetE0EEEvS10_
	.globl	_ZN7rocprim17ROCPRIM_400000_NS6detail17trampoline_kernelINS0_14default_configENS1_21merge_config_selectorINS0_5tupleIJssEEENS0_10empty_typeEEEZNS1_10merge_implIS3_NS0_12zip_iteratorINS5_IJN6thrust23THRUST_200600_302600_NS6detail15normal_iteratorINSC_10device_ptrIKsEEEESI_EEEEESK_NSA_INS5_IJNSE_INSF_IsEEEESM_EEEEEPS7_SP_SP_NSC_11hip_rocprim7__merge17predicate_wrapperIssNSC_4lessIsEEEEEE10hipError_tPvRmT0_T1_T2_T3_T4_T5_mmT6_P12ihipStream_tbEUlT_E0_NS1_11comp_targetILNS1_3genE4ELNS1_11target_archE910ELNS1_3gpuE8ELNS1_3repE0EEENS1_30default_config_static_selectorELNS0_4arch9wavefront6targetE0EEEvS10_
	.p2align	8
	.type	_ZN7rocprim17ROCPRIM_400000_NS6detail17trampoline_kernelINS0_14default_configENS1_21merge_config_selectorINS0_5tupleIJssEEENS0_10empty_typeEEEZNS1_10merge_implIS3_NS0_12zip_iteratorINS5_IJN6thrust23THRUST_200600_302600_NS6detail15normal_iteratorINSC_10device_ptrIKsEEEESI_EEEEESK_NSA_INS5_IJNSE_INSF_IsEEEESM_EEEEEPS7_SP_SP_NSC_11hip_rocprim7__merge17predicate_wrapperIssNSC_4lessIsEEEEEE10hipError_tPvRmT0_T1_T2_T3_T4_T5_mmT6_P12ihipStream_tbEUlT_E0_NS1_11comp_targetILNS1_3genE4ELNS1_11target_archE910ELNS1_3gpuE8ELNS1_3repE0EEENS1_30default_config_static_selectorELNS0_4arch9wavefront6targetE0EEEvS10_,@function
_ZN7rocprim17ROCPRIM_400000_NS6detail17trampoline_kernelINS0_14default_configENS1_21merge_config_selectorINS0_5tupleIJssEEENS0_10empty_typeEEEZNS1_10merge_implIS3_NS0_12zip_iteratorINS5_IJN6thrust23THRUST_200600_302600_NS6detail15normal_iteratorINSC_10device_ptrIKsEEEESI_EEEEESK_NSA_INS5_IJNSE_INSF_IsEEEESM_EEEEEPS7_SP_SP_NSC_11hip_rocprim7__merge17predicate_wrapperIssNSC_4lessIsEEEEEE10hipError_tPvRmT0_T1_T2_T3_T4_T5_mmT6_P12ihipStream_tbEUlT_E0_NS1_11comp_targetILNS1_3genE4ELNS1_11target_archE910ELNS1_3gpuE8ELNS1_3repE0EEENS1_30default_config_static_selectorELNS0_4arch9wavefront6targetE0EEEvS10_: ; @_ZN7rocprim17ROCPRIM_400000_NS6detail17trampoline_kernelINS0_14default_configENS1_21merge_config_selectorINS0_5tupleIJssEEENS0_10empty_typeEEEZNS1_10merge_implIS3_NS0_12zip_iteratorINS5_IJN6thrust23THRUST_200600_302600_NS6detail15normal_iteratorINSC_10device_ptrIKsEEEESI_EEEEESK_NSA_INS5_IJNSE_INSF_IsEEEESM_EEEEEPS7_SP_SP_NSC_11hip_rocprim7__merge17predicate_wrapperIssNSC_4lessIsEEEEEE10hipError_tPvRmT0_T1_T2_T3_T4_T5_mmT6_P12ihipStream_tbEUlT_E0_NS1_11comp_targetILNS1_3genE4ELNS1_11target_archE910ELNS1_3gpuE8ELNS1_3repE0EEENS1_30default_config_static_selectorELNS0_4arch9wavefront6targetE0EEEvS10_
; %bb.0:
	.section	.rodata,"a",@progbits
	.p2align	6, 0x0
	.amdhsa_kernel _ZN7rocprim17ROCPRIM_400000_NS6detail17trampoline_kernelINS0_14default_configENS1_21merge_config_selectorINS0_5tupleIJssEEENS0_10empty_typeEEEZNS1_10merge_implIS3_NS0_12zip_iteratorINS5_IJN6thrust23THRUST_200600_302600_NS6detail15normal_iteratorINSC_10device_ptrIKsEEEESI_EEEEESK_NSA_INS5_IJNSE_INSF_IsEEEESM_EEEEEPS7_SP_SP_NSC_11hip_rocprim7__merge17predicate_wrapperIssNSC_4lessIsEEEEEE10hipError_tPvRmT0_T1_T2_T3_T4_T5_mmT6_P12ihipStream_tbEUlT_E0_NS1_11comp_targetILNS1_3genE4ELNS1_11target_archE910ELNS1_3gpuE8ELNS1_3repE0EEENS1_30default_config_static_selectorELNS0_4arch9wavefront6targetE0EEEvS10_
		.amdhsa_group_segment_fixed_size 0
		.amdhsa_private_segment_fixed_size 0
		.amdhsa_kernarg_size 112
		.amdhsa_user_sgpr_count 6
		.amdhsa_user_sgpr_private_segment_buffer 1
		.amdhsa_user_sgpr_dispatch_ptr 0
		.amdhsa_user_sgpr_queue_ptr 0
		.amdhsa_user_sgpr_kernarg_segment_ptr 1
		.amdhsa_user_sgpr_dispatch_id 0
		.amdhsa_user_sgpr_flat_scratch_init 0
		.amdhsa_user_sgpr_private_segment_size 0
		.amdhsa_wavefront_size32 1
		.amdhsa_uses_dynamic_stack 0
		.amdhsa_system_sgpr_private_segment_wavefront_offset 0
		.amdhsa_system_sgpr_workgroup_id_x 1
		.amdhsa_system_sgpr_workgroup_id_y 0
		.amdhsa_system_sgpr_workgroup_id_z 0
		.amdhsa_system_sgpr_workgroup_info 0
		.amdhsa_system_vgpr_workitem_id 0
		.amdhsa_next_free_vgpr 1
		.amdhsa_next_free_sgpr 1
		.amdhsa_reserve_vcc 0
		.amdhsa_reserve_flat_scratch 0
		.amdhsa_float_round_mode_32 0
		.amdhsa_float_round_mode_16_64 0
		.amdhsa_float_denorm_mode_32 3
		.amdhsa_float_denorm_mode_16_64 3
		.amdhsa_dx10_clamp 1
		.amdhsa_ieee_mode 1
		.amdhsa_fp16_overflow 0
		.amdhsa_workgroup_processor_mode 1
		.amdhsa_memory_ordered 1
		.amdhsa_forward_progress 1
		.amdhsa_shared_vgpr_count 0
		.amdhsa_exception_fp_ieee_invalid_op 0
		.amdhsa_exception_fp_denorm_src 0
		.amdhsa_exception_fp_ieee_div_zero 0
		.amdhsa_exception_fp_ieee_overflow 0
		.amdhsa_exception_fp_ieee_underflow 0
		.amdhsa_exception_fp_ieee_inexact 0
		.amdhsa_exception_int_div_zero 0
	.end_amdhsa_kernel
	.section	.text._ZN7rocprim17ROCPRIM_400000_NS6detail17trampoline_kernelINS0_14default_configENS1_21merge_config_selectorINS0_5tupleIJssEEENS0_10empty_typeEEEZNS1_10merge_implIS3_NS0_12zip_iteratorINS5_IJN6thrust23THRUST_200600_302600_NS6detail15normal_iteratorINSC_10device_ptrIKsEEEESI_EEEEESK_NSA_INS5_IJNSE_INSF_IsEEEESM_EEEEEPS7_SP_SP_NSC_11hip_rocprim7__merge17predicate_wrapperIssNSC_4lessIsEEEEEE10hipError_tPvRmT0_T1_T2_T3_T4_T5_mmT6_P12ihipStream_tbEUlT_E0_NS1_11comp_targetILNS1_3genE4ELNS1_11target_archE910ELNS1_3gpuE8ELNS1_3repE0EEENS1_30default_config_static_selectorELNS0_4arch9wavefront6targetE0EEEvS10_,"axG",@progbits,_ZN7rocprim17ROCPRIM_400000_NS6detail17trampoline_kernelINS0_14default_configENS1_21merge_config_selectorINS0_5tupleIJssEEENS0_10empty_typeEEEZNS1_10merge_implIS3_NS0_12zip_iteratorINS5_IJN6thrust23THRUST_200600_302600_NS6detail15normal_iteratorINSC_10device_ptrIKsEEEESI_EEEEESK_NSA_INS5_IJNSE_INSF_IsEEEESM_EEEEEPS7_SP_SP_NSC_11hip_rocprim7__merge17predicate_wrapperIssNSC_4lessIsEEEEEE10hipError_tPvRmT0_T1_T2_T3_T4_T5_mmT6_P12ihipStream_tbEUlT_E0_NS1_11comp_targetILNS1_3genE4ELNS1_11target_archE910ELNS1_3gpuE8ELNS1_3repE0EEENS1_30default_config_static_selectorELNS0_4arch9wavefront6targetE0EEEvS10_,comdat
.Lfunc_end291:
	.size	_ZN7rocprim17ROCPRIM_400000_NS6detail17trampoline_kernelINS0_14default_configENS1_21merge_config_selectorINS0_5tupleIJssEEENS0_10empty_typeEEEZNS1_10merge_implIS3_NS0_12zip_iteratorINS5_IJN6thrust23THRUST_200600_302600_NS6detail15normal_iteratorINSC_10device_ptrIKsEEEESI_EEEEESK_NSA_INS5_IJNSE_INSF_IsEEEESM_EEEEEPS7_SP_SP_NSC_11hip_rocprim7__merge17predicate_wrapperIssNSC_4lessIsEEEEEE10hipError_tPvRmT0_T1_T2_T3_T4_T5_mmT6_P12ihipStream_tbEUlT_E0_NS1_11comp_targetILNS1_3genE4ELNS1_11target_archE910ELNS1_3gpuE8ELNS1_3repE0EEENS1_30default_config_static_selectorELNS0_4arch9wavefront6targetE0EEEvS10_, .Lfunc_end291-_ZN7rocprim17ROCPRIM_400000_NS6detail17trampoline_kernelINS0_14default_configENS1_21merge_config_selectorINS0_5tupleIJssEEENS0_10empty_typeEEEZNS1_10merge_implIS3_NS0_12zip_iteratorINS5_IJN6thrust23THRUST_200600_302600_NS6detail15normal_iteratorINSC_10device_ptrIKsEEEESI_EEEEESK_NSA_INS5_IJNSE_INSF_IsEEEESM_EEEEEPS7_SP_SP_NSC_11hip_rocprim7__merge17predicate_wrapperIssNSC_4lessIsEEEEEE10hipError_tPvRmT0_T1_T2_T3_T4_T5_mmT6_P12ihipStream_tbEUlT_E0_NS1_11comp_targetILNS1_3genE4ELNS1_11target_archE910ELNS1_3gpuE8ELNS1_3repE0EEENS1_30default_config_static_selectorELNS0_4arch9wavefront6targetE0EEEvS10_
                                        ; -- End function
	.set _ZN7rocprim17ROCPRIM_400000_NS6detail17trampoline_kernelINS0_14default_configENS1_21merge_config_selectorINS0_5tupleIJssEEENS0_10empty_typeEEEZNS1_10merge_implIS3_NS0_12zip_iteratorINS5_IJN6thrust23THRUST_200600_302600_NS6detail15normal_iteratorINSC_10device_ptrIKsEEEESI_EEEEESK_NSA_INS5_IJNSE_INSF_IsEEEESM_EEEEEPS7_SP_SP_NSC_11hip_rocprim7__merge17predicate_wrapperIssNSC_4lessIsEEEEEE10hipError_tPvRmT0_T1_T2_T3_T4_T5_mmT6_P12ihipStream_tbEUlT_E0_NS1_11comp_targetILNS1_3genE4ELNS1_11target_archE910ELNS1_3gpuE8ELNS1_3repE0EEENS1_30default_config_static_selectorELNS0_4arch9wavefront6targetE0EEEvS10_.num_vgpr, 0
	.set _ZN7rocprim17ROCPRIM_400000_NS6detail17trampoline_kernelINS0_14default_configENS1_21merge_config_selectorINS0_5tupleIJssEEENS0_10empty_typeEEEZNS1_10merge_implIS3_NS0_12zip_iteratorINS5_IJN6thrust23THRUST_200600_302600_NS6detail15normal_iteratorINSC_10device_ptrIKsEEEESI_EEEEESK_NSA_INS5_IJNSE_INSF_IsEEEESM_EEEEEPS7_SP_SP_NSC_11hip_rocprim7__merge17predicate_wrapperIssNSC_4lessIsEEEEEE10hipError_tPvRmT0_T1_T2_T3_T4_T5_mmT6_P12ihipStream_tbEUlT_E0_NS1_11comp_targetILNS1_3genE4ELNS1_11target_archE910ELNS1_3gpuE8ELNS1_3repE0EEENS1_30default_config_static_selectorELNS0_4arch9wavefront6targetE0EEEvS10_.num_agpr, 0
	.set _ZN7rocprim17ROCPRIM_400000_NS6detail17trampoline_kernelINS0_14default_configENS1_21merge_config_selectorINS0_5tupleIJssEEENS0_10empty_typeEEEZNS1_10merge_implIS3_NS0_12zip_iteratorINS5_IJN6thrust23THRUST_200600_302600_NS6detail15normal_iteratorINSC_10device_ptrIKsEEEESI_EEEEESK_NSA_INS5_IJNSE_INSF_IsEEEESM_EEEEEPS7_SP_SP_NSC_11hip_rocprim7__merge17predicate_wrapperIssNSC_4lessIsEEEEEE10hipError_tPvRmT0_T1_T2_T3_T4_T5_mmT6_P12ihipStream_tbEUlT_E0_NS1_11comp_targetILNS1_3genE4ELNS1_11target_archE910ELNS1_3gpuE8ELNS1_3repE0EEENS1_30default_config_static_selectorELNS0_4arch9wavefront6targetE0EEEvS10_.numbered_sgpr, 0
	.set _ZN7rocprim17ROCPRIM_400000_NS6detail17trampoline_kernelINS0_14default_configENS1_21merge_config_selectorINS0_5tupleIJssEEENS0_10empty_typeEEEZNS1_10merge_implIS3_NS0_12zip_iteratorINS5_IJN6thrust23THRUST_200600_302600_NS6detail15normal_iteratorINSC_10device_ptrIKsEEEESI_EEEEESK_NSA_INS5_IJNSE_INSF_IsEEEESM_EEEEEPS7_SP_SP_NSC_11hip_rocprim7__merge17predicate_wrapperIssNSC_4lessIsEEEEEE10hipError_tPvRmT0_T1_T2_T3_T4_T5_mmT6_P12ihipStream_tbEUlT_E0_NS1_11comp_targetILNS1_3genE4ELNS1_11target_archE910ELNS1_3gpuE8ELNS1_3repE0EEENS1_30default_config_static_selectorELNS0_4arch9wavefront6targetE0EEEvS10_.num_named_barrier, 0
	.set _ZN7rocprim17ROCPRIM_400000_NS6detail17trampoline_kernelINS0_14default_configENS1_21merge_config_selectorINS0_5tupleIJssEEENS0_10empty_typeEEEZNS1_10merge_implIS3_NS0_12zip_iteratorINS5_IJN6thrust23THRUST_200600_302600_NS6detail15normal_iteratorINSC_10device_ptrIKsEEEESI_EEEEESK_NSA_INS5_IJNSE_INSF_IsEEEESM_EEEEEPS7_SP_SP_NSC_11hip_rocprim7__merge17predicate_wrapperIssNSC_4lessIsEEEEEE10hipError_tPvRmT0_T1_T2_T3_T4_T5_mmT6_P12ihipStream_tbEUlT_E0_NS1_11comp_targetILNS1_3genE4ELNS1_11target_archE910ELNS1_3gpuE8ELNS1_3repE0EEENS1_30default_config_static_selectorELNS0_4arch9wavefront6targetE0EEEvS10_.private_seg_size, 0
	.set _ZN7rocprim17ROCPRIM_400000_NS6detail17trampoline_kernelINS0_14default_configENS1_21merge_config_selectorINS0_5tupleIJssEEENS0_10empty_typeEEEZNS1_10merge_implIS3_NS0_12zip_iteratorINS5_IJN6thrust23THRUST_200600_302600_NS6detail15normal_iteratorINSC_10device_ptrIKsEEEESI_EEEEESK_NSA_INS5_IJNSE_INSF_IsEEEESM_EEEEEPS7_SP_SP_NSC_11hip_rocprim7__merge17predicate_wrapperIssNSC_4lessIsEEEEEE10hipError_tPvRmT0_T1_T2_T3_T4_T5_mmT6_P12ihipStream_tbEUlT_E0_NS1_11comp_targetILNS1_3genE4ELNS1_11target_archE910ELNS1_3gpuE8ELNS1_3repE0EEENS1_30default_config_static_selectorELNS0_4arch9wavefront6targetE0EEEvS10_.uses_vcc, 0
	.set _ZN7rocprim17ROCPRIM_400000_NS6detail17trampoline_kernelINS0_14default_configENS1_21merge_config_selectorINS0_5tupleIJssEEENS0_10empty_typeEEEZNS1_10merge_implIS3_NS0_12zip_iteratorINS5_IJN6thrust23THRUST_200600_302600_NS6detail15normal_iteratorINSC_10device_ptrIKsEEEESI_EEEEESK_NSA_INS5_IJNSE_INSF_IsEEEESM_EEEEEPS7_SP_SP_NSC_11hip_rocprim7__merge17predicate_wrapperIssNSC_4lessIsEEEEEE10hipError_tPvRmT0_T1_T2_T3_T4_T5_mmT6_P12ihipStream_tbEUlT_E0_NS1_11comp_targetILNS1_3genE4ELNS1_11target_archE910ELNS1_3gpuE8ELNS1_3repE0EEENS1_30default_config_static_selectorELNS0_4arch9wavefront6targetE0EEEvS10_.uses_flat_scratch, 0
	.set _ZN7rocprim17ROCPRIM_400000_NS6detail17trampoline_kernelINS0_14default_configENS1_21merge_config_selectorINS0_5tupleIJssEEENS0_10empty_typeEEEZNS1_10merge_implIS3_NS0_12zip_iteratorINS5_IJN6thrust23THRUST_200600_302600_NS6detail15normal_iteratorINSC_10device_ptrIKsEEEESI_EEEEESK_NSA_INS5_IJNSE_INSF_IsEEEESM_EEEEEPS7_SP_SP_NSC_11hip_rocprim7__merge17predicate_wrapperIssNSC_4lessIsEEEEEE10hipError_tPvRmT0_T1_T2_T3_T4_T5_mmT6_P12ihipStream_tbEUlT_E0_NS1_11comp_targetILNS1_3genE4ELNS1_11target_archE910ELNS1_3gpuE8ELNS1_3repE0EEENS1_30default_config_static_selectorELNS0_4arch9wavefront6targetE0EEEvS10_.has_dyn_sized_stack, 0
	.set _ZN7rocprim17ROCPRIM_400000_NS6detail17trampoline_kernelINS0_14default_configENS1_21merge_config_selectorINS0_5tupleIJssEEENS0_10empty_typeEEEZNS1_10merge_implIS3_NS0_12zip_iteratorINS5_IJN6thrust23THRUST_200600_302600_NS6detail15normal_iteratorINSC_10device_ptrIKsEEEESI_EEEEESK_NSA_INS5_IJNSE_INSF_IsEEEESM_EEEEEPS7_SP_SP_NSC_11hip_rocprim7__merge17predicate_wrapperIssNSC_4lessIsEEEEEE10hipError_tPvRmT0_T1_T2_T3_T4_T5_mmT6_P12ihipStream_tbEUlT_E0_NS1_11comp_targetILNS1_3genE4ELNS1_11target_archE910ELNS1_3gpuE8ELNS1_3repE0EEENS1_30default_config_static_selectorELNS0_4arch9wavefront6targetE0EEEvS10_.has_recursion, 0
	.set _ZN7rocprim17ROCPRIM_400000_NS6detail17trampoline_kernelINS0_14default_configENS1_21merge_config_selectorINS0_5tupleIJssEEENS0_10empty_typeEEEZNS1_10merge_implIS3_NS0_12zip_iteratorINS5_IJN6thrust23THRUST_200600_302600_NS6detail15normal_iteratorINSC_10device_ptrIKsEEEESI_EEEEESK_NSA_INS5_IJNSE_INSF_IsEEEESM_EEEEEPS7_SP_SP_NSC_11hip_rocprim7__merge17predicate_wrapperIssNSC_4lessIsEEEEEE10hipError_tPvRmT0_T1_T2_T3_T4_T5_mmT6_P12ihipStream_tbEUlT_E0_NS1_11comp_targetILNS1_3genE4ELNS1_11target_archE910ELNS1_3gpuE8ELNS1_3repE0EEENS1_30default_config_static_selectorELNS0_4arch9wavefront6targetE0EEEvS10_.has_indirect_call, 0
	.section	.AMDGPU.csdata,"",@progbits
; Kernel info:
; codeLenInByte = 0
; TotalNumSgprs: 0
; NumVgprs: 0
; ScratchSize: 0
; MemoryBound: 0
; FloatMode: 240
; IeeeMode: 1
; LDSByteSize: 0 bytes/workgroup (compile time only)
; SGPRBlocks: 0
; VGPRBlocks: 0
; NumSGPRsForWavesPerEU: 1
; NumVGPRsForWavesPerEU: 1
; Occupancy: 16
; WaveLimiterHint : 0
; COMPUTE_PGM_RSRC2:SCRATCH_EN: 0
; COMPUTE_PGM_RSRC2:USER_SGPR: 6
; COMPUTE_PGM_RSRC2:TRAP_HANDLER: 0
; COMPUTE_PGM_RSRC2:TGID_X_EN: 1
; COMPUTE_PGM_RSRC2:TGID_Y_EN: 0
; COMPUTE_PGM_RSRC2:TGID_Z_EN: 0
; COMPUTE_PGM_RSRC2:TIDIG_COMP_CNT: 0
	.section	.text._ZN7rocprim17ROCPRIM_400000_NS6detail17trampoline_kernelINS0_14default_configENS1_21merge_config_selectorINS0_5tupleIJssEEENS0_10empty_typeEEEZNS1_10merge_implIS3_NS0_12zip_iteratorINS5_IJN6thrust23THRUST_200600_302600_NS6detail15normal_iteratorINSC_10device_ptrIKsEEEESI_EEEEESK_NSA_INS5_IJNSE_INSF_IsEEEESM_EEEEEPS7_SP_SP_NSC_11hip_rocprim7__merge17predicate_wrapperIssNSC_4lessIsEEEEEE10hipError_tPvRmT0_T1_T2_T3_T4_T5_mmT6_P12ihipStream_tbEUlT_E0_NS1_11comp_targetILNS1_3genE3ELNS1_11target_archE908ELNS1_3gpuE7ELNS1_3repE0EEENS1_30default_config_static_selectorELNS0_4arch9wavefront6targetE0EEEvS10_,"axG",@progbits,_ZN7rocprim17ROCPRIM_400000_NS6detail17trampoline_kernelINS0_14default_configENS1_21merge_config_selectorINS0_5tupleIJssEEENS0_10empty_typeEEEZNS1_10merge_implIS3_NS0_12zip_iteratorINS5_IJN6thrust23THRUST_200600_302600_NS6detail15normal_iteratorINSC_10device_ptrIKsEEEESI_EEEEESK_NSA_INS5_IJNSE_INSF_IsEEEESM_EEEEEPS7_SP_SP_NSC_11hip_rocprim7__merge17predicate_wrapperIssNSC_4lessIsEEEEEE10hipError_tPvRmT0_T1_T2_T3_T4_T5_mmT6_P12ihipStream_tbEUlT_E0_NS1_11comp_targetILNS1_3genE3ELNS1_11target_archE908ELNS1_3gpuE7ELNS1_3repE0EEENS1_30default_config_static_selectorELNS0_4arch9wavefront6targetE0EEEvS10_,comdat
	.protected	_ZN7rocprim17ROCPRIM_400000_NS6detail17trampoline_kernelINS0_14default_configENS1_21merge_config_selectorINS0_5tupleIJssEEENS0_10empty_typeEEEZNS1_10merge_implIS3_NS0_12zip_iteratorINS5_IJN6thrust23THRUST_200600_302600_NS6detail15normal_iteratorINSC_10device_ptrIKsEEEESI_EEEEESK_NSA_INS5_IJNSE_INSF_IsEEEESM_EEEEEPS7_SP_SP_NSC_11hip_rocprim7__merge17predicate_wrapperIssNSC_4lessIsEEEEEE10hipError_tPvRmT0_T1_T2_T3_T4_T5_mmT6_P12ihipStream_tbEUlT_E0_NS1_11comp_targetILNS1_3genE3ELNS1_11target_archE908ELNS1_3gpuE7ELNS1_3repE0EEENS1_30default_config_static_selectorELNS0_4arch9wavefront6targetE0EEEvS10_ ; -- Begin function _ZN7rocprim17ROCPRIM_400000_NS6detail17trampoline_kernelINS0_14default_configENS1_21merge_config_selectorINS0_5tupleIJssEEENS0_10empty_typeEEEZNS1_10merge_implIS3_NS0_12zip_iteratorINS5_IJN6thrust23THRUST_200600_302600_NS6detail15normal_iteratorINSC_10device_ptrIKsEEEESI_EEEEESK_NSA_INS5_IJNSE_INSF_IsEEEESM_EEEEEPS7_SP_SP_NSC_11hip_rocprim7__merge17predicate_wrapperIssNSC_4lessIsEEEEEE10hipError_tPvRmT0_T1_T2_T3_T4_T5_mmT6_P12ihipStream_tbEUlT_E0_NS1_11comp_targetILNS1_3genE3ELNS1_11target_archE908ELNS1_3gpuE7ELNS1_3repE0EEENS1_30default_config_static_selectorELNS0_4arch9wavefront6targetE0EEEvS10_
	.globl	_ZN7rocprim17ROCPRIM_400000_NS6detail17trampoline_kernelINS0_14default_configENS1_21merge_config_selectorINS0_5tupleIJssEEENS0_10empty_typeEEEZNS1_10merge_implIS3_NS0_12zip_iteratorINS5_IJN6thrust23THRUST_200600_302600_NS6detail15normal_iteratorINSC_10device_ptrIKsEEEESI_EEEEESK_NSA_INS5_IJNSE_INSF_IsEEEESM_EEEEEPS7_SP_SP_NSC_11hip_rocprim7__merge17predicate_wrapperIssNSC_4lessIsEEEEEE10hipError_tPvRmT0_T1_T2_T3_T4_T5_mmT6_P12ihipStream_tbEUlT_E0_NS1_11comp_targetILNS1_3genE3ELNS1_11target_archE908ELNS1_3gpuE7ELNS1_3repE0EEENS1_30default_config_static_selectorELNS0_4arch9wavefront6targetE0EEEvS10_
	.p2align	8
	.type	_ZN7rocprim17ROCPRIM_400000_NS6detail17trampoline_kernelINS0_14default_configENS1_21merge_config_selectorINS0_5tupleIJssEEENS0_10empty_typeEEEZNS1_10merge_implIS3_NS0_12zip_iteratorINS5_IJN6thrust23THRUST_200600_302600_NS6detail15normal_iteratorINSC_10device_ptrIKsEEEESI_EEEEESK_NSA_INS5_IJNSE_INSF_IsEEEESM_EEEEEPS7_SP_SP_NSC_11hip_rocprim7__merge17predicate_wrapperIssNSC_4lessIsEEEEEE10hipError_tPvRmT0_T1_T2_T3_T4_T5_mmT6_P12ihipStream_tbEUlT_E0_NS1_11comp_targetILNS1_3genE3ELNS1_11target_archE908ELNS1_3gpuE7ELNS1_3repE0EEENS1_30default_config_static_selectorELNS0_4arch9wavefront6targetE0EEEvS10_,@function
_ZN7rocprim17ROCPRIM_400000_NS6detail17trampoline_kernelINS0_14default_configENS1_21merge_config_selectorINS0_5tupleIJssEEENS0_10empty_typeEEEZNS1_10merge_implIS3_NS0_12zip_iteratorINS5_IJN6thrust23THRUST_200600_302600_NS6detail15normal_iteratorINSC_10device_ptrIKsEEEESI_EEEEESK_NSA_INS5_IJNSE_INSF_IsEEEESM_EEEEEPS7_SP_SP_NSC_11hip_rocprim7__merge17predicate_wrapperIssNSC_4lessIsEEEEEE10hipError_tPvRmT0_T1_T2_T3_T4_T5_mmT6_P12ihipStream_tbEUlT_E0_NS1_11comp_targetILNS1_3genE3ELNS1_11target_archE908ELNS1_3gpuE7ELNS1_3repE0EEENS1_30default_config_static_selectorELNS0_4arch9wavefront6targetE0EEEvS10_: ; @_ZN7rocprim17ROCPRIM_400000_NS6detail17trampoline_kernelINS0_14default_configENS1_21merge_config_selectorINS0_5tupleIJssEEENS0_10empty_typeEEEZNS1_10merge_implIS3_NS0_12zip_iteratorINS5_IJN6thrust23THRUST_200600_302600_NS6detail15normal_iteratorINSC_10device_ptrIKsEEEESI_EEEEESK_NSA_INS5_IJNSE_INSF_IsEEEESM_EEEEEPS7_SP_SP_NSC_11hip_rocprim7__merge17predicate_wrapperIssNSC_4lessIsEEEEEE10hipError_tPvRmT0_T1_T2_T3_T4_T5_mmT6_P12ihipStream_tbEUlT_E0_NS1_11comp_targetILNS1_3genE3ELNS1_11target_archE908ELNS1_3gpuE7ELNS1_3repE0EEENS1_30default_config_static_selectorELNS0_4arch9wavefront6targetE0EEEvS10_
; %bb.0:
	.section	.rodata,"a",@progbits
	.p2align	6, 0x0
	.amdhsa_kernel _ZN7rocprim17ROCPRIM_400000_NS6detail17trampoline_kernelINS0_14default_configENS1_21merge_config_selectorINS0_5tupleIJssEEENS0_10empty_typeEEEZNS1_10merge_implIS3_NS0_12zip_iteratorINS5_IJN6thrust23THRUST_200600_302600_NS6detail15normal_iteratorINSC_10device_ptrIKsEEEESI_EEEEESK_NSA_INS5_IJNSE_INSF_IsEEEESM_EEEEEPS7_SP_SP_NSC_11hip_rocprim7__merge17predicate_wrapperIssNSC_4lessIsEEEEEE10hipError_tPvRmT0_T1_T2_T3_T4_T5_mmT6_P12ihipStream_tbEUlT_E0_NS1_11comp_targetILNS1_3genE3ELNS1_11target_archE908ELNS1_3gpuE7ELNS1_3repE0EEENS1_30default_config_static_selectorELNS0_4arch9wavefront6targetE0EEEvS10_
		.amdhsa_group_segment_fixed_size 0
		.amdhsa_private_segment_fixed_size 0
		.amdhsa_kernarg_size 112
		.amdhsa_user_sgpr_count 6
		.amdhsa_user_sgpr_private_segment_buffer 1
		.amdhsa_user_sgpr_dispatch_ptr 0
		.amdhsa_user_sgpr_queue_ptr 0
		.amdhsa_user_sgpr_kernarg_segment_ptr 1
		.amdhsa_user_sgpr_dispatch_id 0
		.amdhsa_user_sgpr_flat_scratch_init 0
		.amdhsa_user_sgpr_private_segment_size 0
		.amdhsa_wavefront_size32 1
		.amdhsa_uses_dynamic_stack 0
		.amdhsa_system_sgpr_private_segment_wavefront_offset 0
		.amdhsa_system_sgpr_workgroup_id_x 1
		.amdhsa_system_sgpr_workgroup_id_y 0
		.amdhsa_system_sgpr_workgroup_id_z 0
		.amdhsa_system_sgpr_workgroup_info 0
		.amdhsa_system_vgpr_workitem_id 0
		.amdhsa_next_free_vgpr 1
		.amdhsa_next_free_sgpr 1
		.amdhsa_reserve_vcc 0
		.amdhsa_reserve_flat_scratch 0
		.amdhsa_float_round_mode_32 0
		.amdhsa_float_round_mode_16_64 0
		.amdhsa_float_denorm_mode_32 3
		.amdhsa_float_denorm_mode_16_64 3
		.amdhsa_dx10_clamp 1
		.amdhsa_ieee_mode 1
		.amdhsa_fp16_overflow 0
		.amdhsa_workgroup_processor_mode 1
		.amdhsa_memory_ordered 1
		.amdhsa_forward_progress 1
		.amdhsa_shared_vgpr_count 0
		.amdhsa_exception_fp_ieee_invalid_op 0
		.amdhsa_exception_fp_denorm_src 0
		.amdhsa_exception_fp_ieee_div_zero 0
		.amdhsa_exception_fp_ieee_overflow 0
		.amdhsa_exception_fp_ieee_underflow 0
		.amdhsa_exception_fp_ieee_inexact 0
		.amdhsa_exception_int_div_zero 0
	.end_amdhsa_kernel
	.section	.text._ZN7rocprim17ROCPRIM_400000_NS6detail17trampoline_kernelINS0_14default_configENS1_21merge_config_selectorINS0_5tupleIJssEEENS0_10empty_typeEEEZNS1_10merge_implIS3_NS0_12zip_iteratorINS5_IJN6thrust23THRUST_200600_302600_NS6detail15normal_iteratorINSC_10device_ptrIKsEEEESI_EEEEESK_NSA_INS5_IJNSE_INSF_IsEEEESM_EEEEEPS7_SP_SP_NSC_11hip_rocprim7__merge17predicate_wrapperIssNSC_4lessIsEEEEEE10hipError_tPvRmT0_T1_T2_T3_T4_T5_mmT6_P12ihipStream_tbEUlT_E0_NS1_11comp_targetILNS1_3genE3ELNS1_11target_archE908ELNS1_3gpuE7ELNS1_3repE0EEENS1_30default_config_static_selectorELNS0_4arch9wavefront6targetE0EEEvS10_,"axG",@progbits,_ZN7rocprim17ROCPRIM_400000_NS6detail17trampoline_kernelINS0_14default_configENS1_21merge_config_selectorINS0_5tupleIJssEEENS0_10empty_typeEEEZNS1_10merge_implIS3_NS0_12zip_iteratorINS5_IJN6thrust23THRUST_200600_302600_NS6detail15normal_iteratorINSC_10device_ptrIKsEEEESI_EEEEESK_NSA_INS5_IJNSE_INSF_IsEEEESM_EEEEEPS7_SP_SP_NSC_11hip_rocprim7__merge17predicate_wrapperIssNSC_4lessIsEEEEEE10hipError_tPvRmT0_T1_T2_T3_T4_T5_mmT6_P12ihipStream_tbEUlT_E0_NS1_11comp_targetILNS1_3genE3ELNS1_11target_archE908ELNS1_3gpuE7ELNS1_3repE0EEENS1_30default_config_static_selectorELNS0_4arch9wavefront6targetE0EEEvS10_,comdat
.Lfunc_end292:
	.size	_ZN7rocprim17ROCPRIM_400000_NS6detail17trampoline_kernelINS0_14default_configENS1_21merge_config_selectorINS0_5tupleIJssEEENS0_10empty_typeEEEZNS1_10merge_implIS3_NS0_12zip_iteratorINS5_IJN6thrust23THRUST_200600_302600_NS6detail15normal_iteratorINSC_10device_ptrIKsEEEESI_EEEEESK_NSA_INS5_IJNSE_INSF_IsEEEESM_EEEEEPS7_SP_SP_NSC_11hip_rocprim7__merge17predicate_wrapperIssNSC_4lessIsEEEEEE10hipError_tPvRmT0_T1_T2_T3_T4_T5_mmT6_P12ihipStream_tbEUlT_E0_NS1_11comp_targetILNS1_3genE3ELNS1_11target_archE908ELNS1_3gpuE7ELNS1_3repE0EEENS1_30default_config_static_selectorELNS0_4arch9wavefront6targetE0EEEvS10_, .Lfunc_end292-_ZN7rocprim17ROCPRIM_400000_NS6detail17trampoline_kernelINS0_14default_configENS1_21merge_config_selectorINS0_5tupleIJssEEENS0_10empty_typeEEEZNS1_10merge_implIS3_NS0_12zip_iteratorINS5_IJN6thrust23THRUST_200600_302600_NS6detail15normal_iteratorINSC_10device_ptrIKsEEEESI_EEEEESK_NSA_INS5_IJNSE_INSF_IsEEEESM_EEEEEPS7_SP_SP_NSC_11hip_rocprim7__merge17predicate_wrapperIssNSC_4lessIsEEEEEE10hipError_tPvRmT0_T1_T2_T3_T4_T5_mmT6_P12ihipStream_tbEUlT_E0_NS1_11comp_targetILNS1_3genE3ELNS1_11target_archE908ELNS1_3gpuE7ELNS1_3repE0EEENS1_30default_config_static_selectorELNS0_4arch9wavefront6targetE0EEEvS10_
                                        ; -- End function
	.set _ZN7rocprim17ROCPRIM_400000_NS6detail17trampoline_kernelINS0_14default_configENS1_21merge_config_selectorINS0_5tupleIJssEEENS0_10empty_typeEEEZNS1_10merge_implIS3_NS0_12zip_iteratorINS5_IJN6thrust23THRUST_200600_302600_NS6detail15normal_iteratorINSC_10device_ptrIKsEEEESI_EEEEESK_NSA_INS5_IJNSE_INSF_IsEEEESM_EEEEEPS7_SP_SP_NSC_11hip_rocprim7__merge17predicate_wrapperIssNSC_4lessIsEEEEEE10hipError_tPvRmT0_T1_T2_T3_T4_T5_mmT6_P12ihipStream_tbEUlT_E0_NS1_11comp_targetILNS1_3genE3ELNS1_11target_archE908ELNS1_3gpuE7ELNS1_3repE0EEENS1_30default_config_static_selectorELNS0_4arch9wavefront6targetE0EEEvS10_.num_vgpr, 0
	.set _ZN7rocprim17ROCPRIM_400000_NS6detail17trampoline_kernelINS0_14default_configENS1_21merge_config_selectorINS0_5tupleIJssEEENS0_10empty_typeEEEZNS1_10merge_implIS3_NS0_12zip_iteratorINS5_IJN6thrust23THRUST_200600_302600_NS6detail15normal_iteratorINSC_10device_ptrIKsEEEESI_EEEEESK_NSA_INS5_IJNSE_INSF_IsEEEESM_EEEEEPS7_SP_SP_NSC_11hip_rocprim7__merge17predicate_wrapperIssNSC_4lessIsEEEEEE10hipError_tPvRmT0_T1_T2_T3_T4_T5_mmT6_P12ihipStream_tbEUlT_E0_NS1_11comp_targetILNS1_3genE3ELNS1_11target_archE908ELNS1_3gpuE7ELNS1_3repE0EEENS1_30default_config_static_selectorELNS0_4arch9wavefront6targetE0EEEvS10_.num_agpr, 0
	.set _ZN7rocprim17ROCPRIM_400000_NS6detail17trampoline_kernelINS0_14default_configENS1_21merge_config_selectorINS0_5tupleIJssEEENS0_10empty_typeEEEZNS1_10merge_implIS3_NS0_12zip_iteratorINS5_IJN6thrust23THRUST_200600_302600_NS6detail15normal_iteratorINSC_10device_ptrIKsEEEESI_EEEEESK_NSA_INS5_IJNSE_INSF_IsEEEESM_EEEEEPS7_SP_SP_NSC_11hip_rocprim7__merge17predicate_wrapperIssNSC_4lessIsEEEEEE10hipError_tPvRmT0_T1_T2_T3_T4_T5_mmT6_P12ihipStream_tbEUlT_E0_NS1_11comp_targetILNS1_3genE3ELNS1_11target_archE908ELNS1_3gpuE7ELNS1_3repE0EEENS1_30default_config_static_selectorELNS0_4arch9wavefront6targetE0EEEvS10_.numbered_sgpr, 0
	.set _ZN7rocprim17ROCPRIM_400000_NS6detail17trampoline_kernelINS0_14default_configENS1_21merge_config_selectorINS0_5tupleIJssEEENS0_10empty_typeEEEZNS1_10merge_implIS3_NS0_12zip_iteratorINS5_IJN6thrust23THRUST_200600_302600_NS6detail15normal_iteratorINSC_10device_ptrIKsEEEESI_EEEEESK_NSA_INS5_IJNSE_INSF_IsEEEESM_EEEEEPS7_SP_SP_NSC_11hip_rocprim7__merge17predicate_wrapperIssNSC_4lessIsEEEEEE10hipError_tPvRmT0_T1_T2_T3_T4_T5_mmT6_P12ihipStream_tbEUlT_E0_NS1_11comp_targetILNS1_3genE3ELNS1_11target_archE908ELNS1_3gpuE7ELNS1_3repE0EEENS1_30default_config_static_selectorELNS0_4arch9wavefront6targetE0EEEvS10_.num_named_barrier, 0
	.set _ZN7rocprim17ROCPRIM_400000_NS6detail17trampoline_kernelINS0_14default_configENS1_21merge_config_selectorINS0_5tupleIJssEEENS0_10empty_typeEEEZNS1_10merge_implIS3_NS0_12zip_iteratorINS5_IJN6thrust23THRUST_200600_302600_NS6detail15normal_iteratorINSC_10device_ptrIKsEEEESI_EEEEESK_NSA_INS5_IJNSE_INSF_IsEEEESM_EEEEEPS7_SP_SP_NSC_11hip_rocprim7__merge17predicate_wrapperIssNSC_4lessIsEEEEEE10hipError_tPvRmT0_T1_T2_T3_T4_T5_mmT6_P12ihipStream_tbEUlT_E0_NS1_11comp_targetILNS1_3genE3ELNS1_11target_archE908ELNS1_3gpuE7ELNS1_3repE0EEENS1_30default_config_static_selectorELNS0_4arch9wavefront6targetE0EEEvS10_.private_seg_size, 0
	.set _ZN7rocprim17ROCPRIM_400000_NS6detail17trampoline_kernelINS0_14default_configENS1_21merge_config_selectorINS0_5tupleIJssEEENS0_10empty_typeEEEZNS1_10merge_implIS3_NS0_12zip_iteratorINS5_IJN6thrust23THRUST_200600_302600_NS6detail15normal_iteratorINSC_10device_ptrIKsEEEESI_EEEEESK_NSA_INS5_IJNSE_INSF_IsEEEESM_EEEEEPS7_SP_SP_NSC_11hip_rocprim7__merge17predicate_wrapperIssNSC_4lessIsEEEEEE10hipError_tPvRmT0_T1_T2_T3_T4_T5_mmT6_P12ihipStream_tbEUlT_E0_NS1_11comp_targetILNS1_3genE3ELNS1_11target_archE908ELNS1_3gpuE7ELNS1_3repE0EEENS1_30default_config_static_selectorELNS0_4arch9wavefront6targetE0EEEvS10_.uses_vcc, 0
	.set _ZN7rocprim17ROCPRIM_400000_NS6detail17trampoline_kernelINS0_14default_configENS1_21merge_config_selectorINS0_5tupleIJssEEENS0_10empty_typeEEEZNS1_10merge_implIS3_NS0_12zip_iteratorINS5_IJN6thrust23THRUST_200600_302600_NS6detail15normal_iteratorINSC_10device_ptrIKsEEEESI_EEEEESK_NSA_INS5_IJNSE_INSF_IsEEEESM_EEEEEPS7_SP_SP_NSC_11hip_rocprim7__merge17predicate_wrapperIssNSC_4lessIsEEEEEE10hipError_tPvRmT0_T1_T2_T3_T4_T5_mmT6_P12ihipStream_tbEUlT_E0_NS1_11comp_targetILNS1_3genE3ELNS1_11target_archE908ELNS1_3gpuE7ELNS1_3repE0EEENS1_30default_config_static_selectorELNS0_4arch9wavefront6targetE0EEEvS10_.uses_flat_scratch, 0
	.set _ZN7rocprim17ROCPRIM_400000_NS6detail17trampoline_kernelINS0_14default_configENS1_21merge_config_selectorINS0_5tupleIJssEEENS0_10empty_typeEEEZNS1_10merge_implIS3_NS0_12zip_iteratorINS5_IJN6thrust23THRUST_200600_302600_NS6detail15normal_iteratorINSC_10device_ptrIKsEEEESI_EEEEESK_NSA_INS5_IJNSE_INSF_IsEEEESM_EEEEEPS7_SP_SP_NSC_11hip_rocprim7__merge17predicate_wrapperIssNSC_4lessIsEEEEEE10hipError_tPvRmT0_T1_T2_T3_T4_T5_mmT6_P12ihipStream_tbEUlT_E0_NS1_11comp_targetILNS1_3genE3ELNS1_11target_archE908ELNS1_3gpuE7ELNS1_3repE0EEENS1_30default_config_static_selectorELNS0_4arch9wavefront6targetE0EEEvS10_.has_dyn_sized_stack, 0
	.set _ZN7rocprim17ROCPRIM_400000_NS6detail17trampoline_kernelINS0_14default_configENS1_21merge_config_selectorINS0_5tupleIJssEEENS0_10empty_typeEEEZNS1_10merge_implIS3_NS0_12zip_iteratorINS5_IJN6thrust23THRUST_200600_302600_NS6detail15normal_iteratorINSC_10device_ptrIKsEEEESI_EEEEESK_NSA_INS5_IJNSE_INSF_IsEEEESM_EEEEEPS7_SP_SP_NSC_11hip_rocprim7__merge17predicate_wrapperIssNSC_4lessIsEEEEEE10hipError_tPvRmT0_T1_T2_T3_T4_T5_mmT6_P12ihipStream_tbEUlT_E0_NS1_11comp_targetILNS1_3genE3ELNS1_11target_archE908ELNS1_3gpuE7ELNS1_3repE0EEENS1_30default_config_static_selectorELNS0_4arch9wavefront6targetE0EEEvS10_.has_recursion, 0
	.set _ZN7rocprim17ROCPRIM_400000_NS6detail17trampoline_kernelINS0_14default_configENS1_21merge_config_selectorINS0_5tupleIJssEEENS0_10empty_typeEEEZNS1_10merge_implIS3_NS0_12zip_iteratorINS5_IJN6thrust23THRUST_200600_302600_NS6detail15normal_iteratorINSC_10device_ptrIKsEEEESI_EEEEESK_NSA_INS5_IJNSE_INSF_IsEEEESM_EEEEEPS7_SP_SP_NSC_11hip_rocprim7__merge17predicate_wrapperIssNSC_4lessIsEEEEEE10hipError_tPvRmT0_T1_T2_T3_T4_T5_mmT6_P12ihipStream_tbEUlT_E0_NS1_11comp_targetILNS1_3genE3ELNS1_11target_archE908ELNS1_3gpuE7ELNS1_3repE0EEENS1_30default_config_static_selectorELNS0_4arch9wavefront6targetE0EEEvS10_.has_indirect_call, 0
	.section	.AMDGPU.csdata,"",@progbits
; Kernel info:
; codeLenInByte = 0
; TotalNumSgprs: 0
; NumVgprs: 0
; ScratchSize: 0
; MemoryBound: 0
; FloatMode: 240
; IeeeMode: 1
; LDSByteSize: 0 bytes/workgroup (compile time only)
; SGPRBlocks: 0
; VGPRBlocks: 0
; NumSGPRsForWavesPerEU: 1
; NumVGPRsForWavesPerEU: 1
; Occupancy: 16
; WaveLimiterHint : 0
; COMPUTE_PGM_RSRC2:SCRATCH_EN: 0
; COMPUTE_PGM_RSRC2:USER_SGPR: 6
; COMPUTE_PGM_RSRC2:TRAP_HANDLER: 0
; COMPUTE_PGM_RSRC2:TGID_X_EN: 1
; COMPUTE_PGM_RSRC2:TGID_Y_EN: 0
; COMPUTE_PGM_RSRC2:TGID_Z_EN: 0
; COMPUTE_PGM_RSRC2:TIDIG_COMP_CNT: 0
	.section	.text._ZN7rocprim17ROCPRIM_400000_NS6detail17trampoline_kernelINS0_14default_configENS1_21merge_config_selectorINS0_5tupleIJssEEENS0_10empty_typeEEEZNS1_10merge_implIS3_NS0_12zip_iteratorINS5_IJN6thrust23THRUST_200600_302600_NS6detail15normal_iteratorINSC_10device_ptrIKsEEEESI_EEEEESK_NSA_INS5_IJNSE_INSF_IsEEEESM_EEEEEPS7_SP_SP_NSC_11hip_rocprim7__merge17predicate_wrapperIssNSC_4lessIsEEEEEE10hipError_tPvRmT0_T1_T2_T3_T4_T5_mmT6_P12ihipStream_tbEUlT_E0_NS1_11comp_targetILNS1_3genE2ELNS1_11target_archE906ELNS1_3gpuE6ELNS1_3repE0EEENS1_30default_config_static_selectorELNS0_4arch9wavefront6targetE0EEEvS10_,"axG",@progbits,_ZN7rocprim17ROCPRIM_400000_NS6detail17trampoline_kernelINS0_14default_configENS1_21merge_config_selectorINS0_5tupleIJssEEENS0_10empty_typeEEEZNS1_10merge_implIS3_NS0_12zip_iteratorINS5_IJN6thrust23THRUST_200600_302600_NS6detail15normal_iteratorINSC_10device_ptrIKsEEEESI_EEEEESK_NSA_INS5_IJNSE_INSF_IsEEEESM_EEEEEPS7_SP_SP_NSC_11hip_rocprim7__merge17predicate_wrapperIssNSC_4lessIsEEEEEE10hipError_tPvRmT0_T1_T2_T3_T4_T5_mmT6_P12ihipStream_tbEUlT_E0_NS1_11comp_targetILNS1_3genE2ELNS1_11target_archE906ELNS1_3gpuE6ELNS1_3repE0EEENS1_30default_config_static_selectorELNS0_4arch9wavefront6targetE0EEEvS10_,comdat
	.protected	_ZN7rocprim17ROCPRIM_400000_NS6detail17trampoline_kernelINS0_14default_configENS1_21merge_config_selectorINS0_5tupleIJssEEENS0_10empty_typeEEEZNS1_10merge_implIS3_NS0_12zip_iteratorINS5_IJN6thrust23THRUST_200600_302600_NS6detail15normal_iteratorINSC_10device_ptrIKsEEEESI_EEEEESK_NSA_INS5_IJNSE_INSF_IsEEEESM_EEEEEPS7_SP_SP_NSC_11hip_rocprim7__merge17predicate_wrapperIssNSC_4lessIsEEEEEE10hipError_tPvRmT0_T1_T2_T3_T4_T5_mmT6_P12ihipStream_tbEUlT_E0_NS1_11comp_targetILNS1_3genE2ELNS1_11target_archE906ELNS1_3gpuE6ELNS1_3repE0EEENS1_30default_config_static_selectorELNS0_4arch9wavefront6targetE0EEEvS10_ ; -- Begin function _ZN7rocprim17ROCPRIM_400000_NS6detail17trampoline_kernelINS0_14default_configENS1_21merge_config_selectorINS0_5tupleIJssEEENS0_10empty_typeEEEZNS1_10merge_implIS3_NS0_12zip_iteratorINS5_IJN6thrust23THRUST_200600_302600_NS6detail15normal_iteratorINSC_10device_ptrIKsEEEESI_EEEEESK_NSA_INS5_IJNSE_INSF_IsEEEESM_EEEEEPS7_SP_SP_NSC_11hip_rocprim7__merge17predicate_wrapperIssNSC_4lessIsEEEEEE10hipError_tPvRmT0_T1_T2_T3_T4_T5_mmT6_P12ihipStream_tbEUlT_E0_NS1_11comp_targetILNS1_3genE2ELNS1_11target_archE906ELNS1_3gpuE6ELNS1_3repE0EEENS1_30default_config_static_selectorELNS0_4arch9wavefront6targetE0EEEvS10_
	.globl	_ZN7rocprim17ROCPRIM_400000_NS6detail17trampoline_kernelINS0_14default_configENS1_21merge_config_selectorINS0_5tupleIJssEEENS0_10empty_typeEEEZNS1_10merge_implIS3_NS0_12zip_iteratorINS5_IJN6thrust23THRUST_200600_302600_NS6detail15normal_iteratorINSC_10device_ptrIKsEEEESI_EEEEESK_NSA_INS5_IJNSE_INSF_IsEEEESM_EEEEEPS7_SP_SP_NSC_11hip_rocprim7__merge17predicate_wrapperIssNSC_4lessIsEEEEEE10hipError_tPvRmT0_T1_T2_T3_T4_T5_mmT6_P12ihipStream_tbEUlT_E0_NS1_11comp_targetILNS1_3genE2ELNS1_11target_archE906ELNS1_3gpuE6ELNS1_3repE0EEENS1_30default_config_static_selectorELNS0_4arch9wavefront6targetE0EEEvS10_
	.p2align	8
	.type	_ZN7rocprim17ROCPRIM_400000_NS6detail17trampoline_kernelINS0_14default_configENS1_21merge_config_selectorINS0_5tupleIJssEEENS0_10empty_typeEEEZNS1_10merge_implIS3_NS0_12zip_iteratorINS5_IJN6thrust23THRUST_200600_302600_NS6detail15normal_iteratorINSC_10device_ptrIKsEEEESI_EEEEESK_NSA_INS5_IJNSE_INSF_IsEEEESM_EEEEEPS7_SP_SP_NSC_11hip_rocprim7__merge17predicate_wrapperIssNSC_4lessIsEEEEEE10hipError_tPvRmT0_T1_T2_T3_T4_T5_mmT6_P12ihipStream_tbEUlT_E0_NS1_11comp_targetILNS1_3genE2ELNS1_11target_archE906ELNS1_3gpuE6ELNS1_3repE0EEENS1_30default_config_static_selectorELNS0_4arch9wavefront6targetE0EEEvS10_,@function
_ZN7rocprim17ROCPRIM_400000_NS6detail17trampoline_kernelINS0_14default_configENS1_21merge_config_selectorINS0_5tupleIJssEEENS0_10empty_typeEEEZNS1_10merge_implIS3_NS0_12zip_iteratorINS5_IJN6thrust23THRUST_200600_302600_NS6detail15normal_iteratorINSC_10device_ptrIKsEEEESI_EEEEESK_NSA_INS5_IJNSE_INSF_IsEEEESM_EEEEEPS7_SP_SP_NSC_11hip_rocprim7__merge17predicate_wrapperIssNSC_4lessIsEEEEEE10hipError_tPvRmT0_T1_T2_T3_T4_T5_mmT6_P12ihipStream_tbEUlT_E0_NS1_11comp_targetILNS1_3genE2ELNS1_11target_archE906ELNS1_3gpuE6ELNS1_3repE0EEENS1_30default_config_static_selectorELNS0_4arch9wavefront6targetE0EEEvS10_: ; @_ZN7rocprim17ROCPRIM_400000_NS6detail17trampoline_kernelINS0_14default_configENS1_21merge_config_selectorINS0_5tupleIJssEEENS0_10empty_typeEEEZNS1_10merge_implIS3_NS0_12zip_iteratorINS5_IJN6thrust23THRUST_200600_302600_NS6detail15normal_iteratorINSC_10device_ptrIKsEEEESI_EEEEESK_NSA_INS5_IJNSE_INSF_IsEEEESM_EEEEEPS7_SP_SP_NSC_11hip_rocprim7__merge17predicate_wrapperIssNSC_4lessIsEEEEEE10hipError_tPvRmT0_T1_T2_T3_T4_T5_mmT6_P12ihipStream_tbEUlT_E0_NS1_11comp_targetILNS1_3genE2ELNS1_11target_archE906ELNS1_3gpuE6ELNS1_3repE0EEENS1_30default_config_static_selectorELNS0_4arch9wavefront6targetE0EEEvS10_
; %bb.0:
	.section	.rodata,"a",@progbits
	.p2align	6, 0x0
	.amdhsa_kernel _ZN7rocprim17ROCPRIM_400000_NS6detail17trampoline_kernelINS0_14default_configENS1_21merge_config_selectorINS0_5tupleIJssEEENS0_10empty_typeEEEZNS1_10merge_implIS3_NS0_12zip_iteratorINS5_IJN6thrust23THRUST_200600_302600_NS6detail15normal_iteratorINSC_10device_ptrIKsEEEESI_EEEEESK_NSA_INS5_IJNSE_INSF_IsEEEESM_EEEEEPS7_SP_SP_NSC_11hip_rocprim7__merge17predicate_wrapperIssNSC_4lessIsEEEEEE10hipError_tPvRmT0_T1_T2_T3_T4_T5_mmT6_P12ihipStream_tbEUlT_E0_NS1_11comp_targetILNS1_3genE2ELNS1_11target_archE906ELNS1_3gpuE6ELNS1_3repE0EEENS1_30default_config_static_selectorELNS0_4arch9wavefront6targetE0EEEvS10_
		.amdhsa_group_segment_fixed_size 0
		.amdhsa_private_segment_fixed_size 0
		.amdhsa_kernarg_size 112
		.amdhsa_user_sgpr_count 6
		.amdhsa_user_sgpr_private_segment_buffer 1
		.amdhsa_user_sgpr_dispatch_ptr 0
		.amdhsa_user_sgpr_queue_ptr 0
		.amdhsa_user_sgpr_kernarg_segment_ptr 1
		.amdhsa_user_sgpr_dispatch_id 0
		.amdhsa_user_sgpr_flat_scratch_init 0
		.amdhsa_user_sgpr_private_segment_size 0
		.amdhsa_wavefront_size32 1
		.amdhsa_uses_dynamic_stack 0
		.amdhsa_system_sgpr_private_segment_wavefront_offset 0
		.amdhsa_system_sgpr_workgroup_id_x 1
		.amdhsa_system_sgpr_workgroup_id_y 0
		.amdhsa_system_sgpr_workgroup_id_z 0
		.amdhsa_system_sgpr_workgroup_info 0
		.amdhsa_system_vgpr_workitem_id 0
		.amdhsa_next_free_vgpr 1
		.amdhsa_next_free_sgpr 1
		.amdhsa_reserve_vcc 0
		.amdhsa_reserve_flat_scratch 0
		.amdhsa_float_round_mode_32 0
		.amdhsa_float_round_mode_16_64 0
		.amdhsa_float_denorm_mode_32 3
		.amdhsa_float_denorm_mode_16_64 3
		.amdhsa_dx10_clamp 1
		.amdhsa_ieee_mode 1
		.amdhsa_fp16_overflow 0
		.amdhsa_workgroup_processor_mode 1
		.amdhsa_memory_ordered 1
		.amdhsa_forward_progress 1
		.amdhsa_shared_vgpr_count 0
		.amdhsa_exception_fp_ieee_invalid_op 0
		.amdhsa_exception_fp_denorm_src 0
		.amdhsa_exception_fp_ieee_div_zero 0
		.amdhsa_exception_fp_ieee_overflow 0
		.amdhsa_exception_fp_ieee_underflow 0
		.amdhsa_exception_fp_ieee_inexact 0
		.amdhsa_exception_int_div_zero 0
	.end_amdhsa_kernel
	.section	.text._ZN7rocprim17ROCPRIM_400000_NS6detail17trampoline_kernelINS0_14default_configENS1_21merge_config_selectorINS0_5tupleIJssEEENS0_10empty_typeEEEZNS1_10merge_implIS3_NS0_12zip_iteratorINS5_IJN6thrust23THRUST_200600_302600_NS6detail15normal_iteratorINSC_10device_ptrIKsEEEESI_EEEEESK_NSA_INS5_IJNSE_INSF_IsEEEESM_EEEEEPS7_SP_SP_NSC_11hip_rocprim7__merge17predicate_wrapperIssNSC_4lessIsEEEEEE10hipError_tPvRmT0_T1_T2_T3_T4_T5_mmT6_P12ihipStream_tbEUlT_E0_NS1_11comp_targetILNS1_3genE2ELNS1_11target_archE906ELNS1_3gpuE6ELNS1_3repE0EEENS1_30default_config_static_selectorELNS0_4arch9wavefront6targetE0EEEvS10_,"axG",@progbits,_ZN7rocprim17ROCPRIM_400000_NS6detail17trampoline_kernelINS0_14default_configENS1_21merge_config_selectorINS0_5tupleIJssEEENS0_10empty_typeEEEZNS1_10merge_implIS3_NS0_12zip_iteratorINS5_IJN6thrust23THRUST_200600_302600_NS6detail15normal_iteratorINSC_10device_ptrIKsEEEESI_EEEEESK_NSA_INS5_IJNSE_INSF_IsEEEESM_EEEEEPS7_SP_SP_NSC_11hip_rocprim7__merge17predicate_wrapperIssNSC_4lessIsEEEEEE10hipError_tPvRmT0_T1_T2_T3_T4_T5_mmT6_P12ihipStream_tbEUlT_E0_NS1_11comp_targetILNS1_3genE2ELNS1_11target_archE906ELNS1_3gpuE6ELNS1_3repE0EEENS1_30default_config_static_selectorELNS0_4arch9wavefront6targetE0EEEvS10_,comdat
.Lfunc_end293:
	.size	_ZN7rocprim17ROCPRIM_400000_NS6detail17trampoline_kernelINS0_14default_configENS1_21merge_config_selectorINS0_5tupleIJssEEENS0_10empty_typeEEEZNS1_10merge_implIS3_NS0_12zip_iteratorINS5_IJN6thrust23THRUST_200600_302600_NS6detail15normal_iteratorINSC_10device_ptrIKsEEEESI_EEEEESK_NSA_INS5_IJNSE_INSF_IsEEEESM_EEEEEPS7_SP_SP_NSC_11hip_rocprim7__merge17predicate_wrapperIssNSC_4lessIsEEEEEE10hipError_tPvRmT0_T1_T2_T3_T4_T5_mmT6_P12ihipStream_tbEUlT_E0_NS1_11comp_targetILNS1_3genE2ELNS1_11target_archE906ELNS1_3gpuE6ELNS1_3repE0EEENS1_30default_config_static_selectorELNS0_4arch9wavefront6targetE0EEEvS10_, .Lfunc_end293-_ZN7rocprim17ROCPRIM_400000_NS6detail17trampoline_kernelINS0_14default_configENS1_21merge_config_selectorINS0_5tupleIJssEEENS0_10empty_typeEEEZNS1_10merge_implIS3_NS0_12zip_iteratorINS5_IJN6thrust23THRUST_200600_302600_NS6detail15normal_iteratorINSC_10device_ptrIKsEEEESI_EEEEESK_NSA_INS5_IJNSE_INSF_IsEEEESM_EEEEEPS7_SP_SP_NSC_11hip_rocprim7__merge17predicate_wrapperIssNSC_4lessIsEEEEEE10hipError_tPvRmT0_T1_T2_T3_T4_T5_mmT6_P12ihipStream_tbEUlT_E0_NS1_11comp_targetILNS1_3genE2ELNS1_11target_archE906ELNS1_3gpuE6ELNS1_3repE0EEENS1_30default_config_static_selectorELNS0_4arch9wavefront6targetE0EEEvS10_
                                        ; -- End function
	.set _ZN7rocprim17ROCPRIM_400000_NS6detail17trampoline_kernelINS0_14default_configENS1_21merge_config_selectorINS0_5tupleIJssEEENS0_10empty_typeEEEZNS1_10merge_implIS3_NS0_12zip_iteratorINS5_IJN6thrust23THRUST_200600_302600_NS6detail15normal_iteratorINSC_10device_ptrIKsEEEESI_EEEEESK_NSA_INS5_IJNSE_INSF_IsEEEESM_EEEEEPS7_SP_SP_NSC_11hip_rocprim7__merge17predicate_wrapperIssNSC_4lessIsEEEEEE10hipError_tPvRmT0_T1_T2_T3_T4_T5_mmT6_P12ihipStream_tbEUlT_E0_NS1_11comp_targetILNS1_3genE2ELNS1_11target_archE906ELNS1_3gpuE6ELNS1_3repE0EEENS1_30default_config_static_selectorELNS0_4arch9wavefront6targetE0EEEvS10_.num_vgpr, 0
	.set _ZN7rocprim17ROCPRIM_400000_NS6detail17trampoline_kernelINS0_14default_configENS1_21merge_config_selectorINS0_5tupleIJssEEENS0_10empty_typeEEEZNS1_10merge_implIS3_NS0_12zip_iteratorINS5_IJN6thrust23THRUST_200600_302600_NS6detail15normal_iteratorINSC_10device_ptrIKsEEEESI_EEEEESK_NSA_INS5_IJNSE_INSF_IsEEEESM_EEEEEPS7_SP_SP_NSC_11hip_rocprim7__merge17predicate_wrapperIssNSC_4lessIsEEEEEE10hipError_tPvRmT0_T1_T2_T3_T4_T5_mmT6_P12ihipStream_tbEUlT_E0_NS1_11comp_targetILNS1_3genE2ELNS1_11target_archE906ELNS1_3gpuE6ELNS1_3repE0EEENS1_30default_config_static_selectorELNS0_4arch9wavefront6targetE0EEEvS10_.num_agpr, 0
	.set _ZN7rocprim17ROCPRIM_400000_NS6detail17trampoline_kernelINS0_14default_configENS1_21merge_config_selectorINS0_5tupleIJssEEENS0_10empty_typeEEEZNS1_10merge_implIS3_NS0_12zip_iteratorINS5_IJN6thrust23THRUST_200600_302600_NS6detail15normal_iteratorINSC_10device_ptrIKsEEEESI_EEEEESK_NSA_INS5_IJNSE_INSF_IsEEEESM_EEEEEPS7_SP_SP_NSC_11hip_rocprim7__merge17predicate_wrapperIssNSC_4lessIsEEEEEE10hipError_tPvRmT0_T1_T2_T3_T4_T5_mmT6_P12ihipStream_tbEUlT_E0_NS1_11comp_targetILNS1_3genE2ELNS1_11target_archE906ELNS1_3gpuE6ELNS1_3repE0EEENS1_30default_config_static_selectorELNS0_4arch9wavefront6targetE0EEEvS10_.numbered_sgpr, 0
	.set _ZN7rocprim17ROCPRIM_400000_NS6detail17trampoline_kernelINS0_14default_configENS1_21merge_config_selectorINS0_5tupleIJssEEENS0_10empty_typeEEEZNS1_10merge_implIS3_NS0_12zip_iteratorINS5_IJN6thrust23THRUST_200600_302600_NS6detail15normal_iteratorINSC_10device_ptrIKsEEEESI_EEEEESK_NSA_INS5_IJNSE_INSF_IsEEEESM_EEEEEPS7_SP_SP_NSC_11hip_rocprim7__merge17predicate_wrapperIssNSC_4lessIsEEEEEE10hipError_tPvRmT0_T1_T2_T3_T4_T5_mmT6_P12ihipStream_tbEUlT_E0_NS1_11comp_targetILNS1_3genE2ELNS1_11target_archE906ELNS1_3gpuE6ELNS1_3repE0EEENS1_30default_config_static_selectorELNS0_4arch9wavefront6targetE0EEEvS10_.num_named_barrier, 0
	.set _ZN7rocprim17ROCPRIM_400000_NS6detail17trampoline_kernelINS0_14default_configENS1_21merge_config_selectorINS0_5tupleIJssEEENS0_10empty_typeEEEZNS1_10merge_implIS3_NS0_12zip_iteratorINS5_IJN6thrust23THRUST_200600_302600_NS6detail15normal_iteratorINSC_10device_ptrIKsEEEESI_EEEEESK_NSA_INS5_IJNSE_INSF_IsEEEESM_EEEEEPS7_SP_SP_NSC_11hip_rocprim7__merge17predicate_wrapperIssNSC_4lessIsEEEEEE10hipError_tPvRmT0_T1_T2_T3_T4_T5_mmT6_P12ihipStream_tbEUlT_E0_NS1_11comp_targetILNS1_3genE2ELNS1_11target_archE906ELNS1_3gpuE6ELNS1_3repE0EEENS1_30default_config_static_selectorELNS0_4arch9wavefront6targetE0EEEvS10_.private_seg_size, 0
	.set _ZN7rocprim17ROCPRIM_400000_NS6detail17trampoline_kernelINS0_14default_configENS1_21merge_config_selectorINS0_5tupleIJssEEENS0_10empty_typeEEEZNS1_10merge_implIS3_NS0_12zip_iteratorINS5_IJN6thrust23THRUST_200600_302600_NS6detail15normal_iteratorINSC_10device_ptrIKsEEEESI_EEEEESK_NSA_INS5_IJNSE_INSF_IsEEEESM_EEEEEPS7_SP_SP_NSC_11hip_rocprim7__merge17predicate_wrapperIssNSC_4lessIsEEEEEE10hipError_tPvRmT0_T1_T2_T3_T4_T5_mmT6_P12ihipStream_tbEUlT_E0_NS1_11comp_targetILNS1_3genE2ELNS1_11target_archE906ELNS1_3gpuE6ELNS1_3repE0EEENS1_30default_config_static_selectorELNS0_4arch9wavefront6targetE0EEEvS10_.uses_vcc, 0
	.set _ZN7rocprim17ROCPRIM_400000_NS6detail17trampoline_kernelINS0_14default_configENS1_21merge_config_selectorINS0_5tupleIJssEEENS0_10empty_typeEEEZNS1_10merge_implIS3_NS0_12zip_iteratorINS5_IJN6thrust23THRUST_200600_302600_NS6detail15normal_iteratorINSC_10device_ptrIKsEEEESI_EEEEESK_NSA_INS5_IJNSE_INSF_IsEEEESM_EEEEEPS7_SP_SP_NSC_11hip_rocprim7__merge17predicate_wrapperIssNSC_4lessIsEEEEEE10hipError_tPvRmT0_T1_T2_T3_T4_T5_mmT6_P12ihipStream_tbEUlT_E0_NS1_11comp_targetILNS1_3genE2ELNS1_11target_archE906ELNS1_3gpuE6ELNS1_3repE0EEENS1_30default_config_static_selectorELNS0_4arch9wavefront6targetE0EEEvS10_.uses_flat_scratch, 0
	.set _ZN7rocprim17ROCPRIM_400000_NS6detail17trampoline_kernelINS0_14default_configENS1_21merge_config_selectorINS0_5tupleIJssEEENS0_10empty_typeEEEZNS1_10merge_implIS3_NS0_12zip_iteratorINS5_IJN6thrust23THRUST_200600_302600_NS6detail15normal_iteratorINSC_10device_ptrIKsEEEESI_EEEEESK_NSA_INS5_IJNSE_INSF_IsEEEESM_EEEEEPS7_SP_SP_NSC_11hip_rocprim7__merge17predicate_wrapperIssNSC_4lessIsEEEEEE10hipError_tPvRmT0_T1_T2_T3_T4_T5_mmT6_P12ihipStream_tbEUlT_E0_NS1_11comp_targetILNS1_3genE2ELNS1_11target_archE906ELNS1_3gpuE6ELNS1_3repE0EEENS1_30default_config_static_selectorELNS0_4arch9wavefront6targetE0EEEvS10_.has_dyn_sized_stack, 0
	.set _ZN7rocprim17ROCPRIM_400000_NS6detail17trampoline_kernelINS0_14default_configENS1_21merge_config_selectorINS0_5tupleIJssEEENS0_10empty_typeEEEZNS1_10merge_implIS3_NS0_12zip_iteratorINS5_IJN6thrust23THRUST_200600_302600_NS6detail15normal_iteratorINSC_10device_ptrIKsEEEESI_EEEEESK_NSA_INS5_IJNSE_INSF_IsEEEESM_EEEEEPS7_SP_SP_NSC_11hip_rocprim7__merge17predicate_wrapperIssNSC_4lessIsEEEEEE10hipError_tPvRmT0_T1_T2_T3_T4_T5_mmT6_P12ihipStream_tbEUlT_E0_NS1_11comp_targetILNS1_3genE2ELNS1_11target_archE906ELNS1_3gpuE6ELNS1_3repE0EEENS1_30default_config_static_selectorELNS0_4arch9wavefront6targetE0EEEvS10_.has_recursion, 0
	.set _ZN7rocprim17ROCPRIM_400000_NS6detail17trampoline_kernelINS0_14default_configENS1_21merge_config_selectorINS0_5tupleIJssEEENS0_10empty_typeEEEZNS1_10merge_implIS3_NS0_12zip_iteratorINS5_IJN6thrust23THRUST_200600_302600_NS6detail15normal_iteratorINSC_10device_ptrIKsEEEESI_EEEEESK_NSA_INS5_IJNSE_INSF_IsEEEESM_EEEEEPS7_SP_SP_NSC_11hip_rocprim7__merge17predicate_wrapperIssNSC_4lessIsEEEEEE10hipError_tPvRmT0_T1_T2_T3_T4_T5_mmT6_P12ihipStream_tbEUlT_E0_NS1_11comp_targetILNS1_3genE2ELNS1_11target_archE906ELNS1_3gpuE6ELNS1_3repE0EEENS1_30default_config_static_selectorELNS0_4arch9wavefront6targetE0EEEvS10_.has_indirect_call, 0
	.section	.AMDGPU.csdata,"",@progbits
; Kernel info:
; codeLenInByte = 0
; TotalNumSgprs: 0
; NumVgprs: 0
; ScratchSize: 0
; MemoryBound: 0
; FloatMode: 240
; IeeeMode: 1
; LDSByteSize: 0 bytes/workgroup (compile time only)
; SGPRBlocks: 0
; VGPRBlocks: 0
; NumSGPRsForWavesPerEU: 1
; NumVGPRsForWavesPerEU: 1
; Occupancy: 16
; WaveLimiterHint : 0
; COMPUTE_PGM_RSRC2:SCRATCH_EN: 0
; COMPUTE_PGM_RSRC2:USER_SGPR: 6
; COMPUTE_PGM_RSRC2:TRAP_HANDLER: 0
; COMPUTE_PGM_RSRC2:TGID_X_EN: 1
; COMPUTE_PGM_RSRC2:TGID_Y_EN: 0
; COMPUTE_PGM_RSRC2:TGID_Z_EN: 0
; COMPUTE_PGM_RSRC2:TIDIG_COMP_CNT: 0
	.section	.text._ZN7rocprim17ROCPRIM_400000_NS6detail17trampoline_kernelINS0_14default_configENS1_21merge_config_selectorINS0_5tupleIJssEEENS0_10empty_typeEEEZNS1_10merge_implIS3_NS0_12zip_iteratorINS5_IJN6thrust23THRUST_200600_302600_NS6detail15normal_iteratorINSC_10device_ptrIKsEEEESI_EEEEESK_NSA_INS5_IJNSE_INSF_IsEEEESM_EEEEEPS7_SP_SP_NSC_11hip_rocprim7__merge17predicate_wrapperIssNSC_4lessIsEEEEEE10hipError_tPvRmT0_T1_T2_T3_T4_T5_mmT6_P12ihipStream_tbEUlT_E0_NS1_11comp_targetILNS1_3genE10ELNS1_11target_archE1201ELNS1_3gpuE5ELNS1_3repE0EEENS1_30default_config_static_selectorELNS0_4arch9wavefront6targetE0EEEvS10_,"axG",@progbits,_ZN7rocprim17ROCPRIM_400000_NS6detail17trampoline_kernelINS0_14default_configENS1_21merge_config_selectorINS0_5tupleIJssEEENS0_10empty_typeEEEZNS1_10merge_implIS3_NS0_12zip_iteratorINS5_IJN6thrust23THRUST_200600_302600_NS6detail15normal_iteratorINSC_10device_ptrIKsEEEESI_EEEEESK_NSA_INS5_IJNSE_INSF_IsEEEESM_EEEEEPS7_SP_SP_NSC_11hip_rocprim7__merge17predicate_wrapperIssNSC_4lessIsEEEEEE10hipError_tPvRmT0_T1_T2_T3_T4_T5_mmT6_P12ihipStream_tbEUlT_E0_NS1_11comp_targetILNS1_3genE10ELNS1_11target_archE1201ELNS1_3gpuE5ELNS1_3repE0EEENS1_30default_config_static_selectorELNS0_4arch9wavefront6targetE0EEEvS10_,comdat
	.protected	_ZN7rocprim17ROCPRIM_400000_NS6detail17trampoline_kernelINS0_14default_configENS1_21merge_config_selectorINS0_5tupleIJssEEENS0_10empty_typeEEEZNS1_10merge_implIS3_NS0_12zip_iteratorINS5_IJN6thrust23THRUST_200600_302600_NS6detail15normal_iteratorINSC_10device_ptrIKsEEEESI_EEEEESK_NSA_INS5_IJNSE_INSF_IsEEEESM_EEEEEPS7_SP_SP_NSC_11hip_rocprim7__merge17predicate_wrapperIssNSC_4lessIsEEEEEE10hipError_tPvRmT0_T1_T2_T3_T4_T5_mmT6_P12ihipStream_tbEUlT_E0_NS1_11comp_targetILNS1_3genE10ELNS1_11target_archE1201ELNS1_3gpuE5ELNS1_3repE0EEENS1_30default_config_static_selectorELNS0_4arch9wavefront6targetE0EEEvS10_ ; -- Begin function _ZN7rocprim17ROCPRIM_400000_NS6detail17trampoline_kernelINS0_14default_configENS1_21merge_config_selectorINS0_5tupleIJssEEENS0_10empty_typeEEEZNS1_10merge_implIS3_NS0_12zip_iteratorINS5_IJN6thrust23THRUST_200600_302600_NS6detail15normal_iteratorINSC_10device_ptrIKsEEEESI_EEEEESK_NSA_INS5_IJNSE_INSF_IsEEEESM_EEEEEPS7_SP_SP_NSC_11hip_rocprim7__merge17predicate_wrapperIssNSC_4lessIsEEEEEE10hipError_tPvRmT0_T1_T2_T3_T4_T5_mmT6_P12ihipStream_tbEUlT_E0_NS1_11comp_targetILNS1_3genE10ELNS1_11target_archE1201ELNS1_3gpuE5ELNS1_3repE0EEENS1_30default_config_static_selectorELNS0_4arch9wavefront6targetE0EEEvS10_
	.globl	_ZN7rocprim17ROCPRIM_400000_NS6detail17trampoline_kernelINS0_14default_configENS1_21merge_config_selectorINS0_5tupleIJssEEENS0_10empty_typeEEEZNS1_10merge_implIS3_NS0_12zip_iteratorINS5_IJN6thrust23THRUST_200600_302600_NS6detail15normal_iteratorINSC_10device_ptrIKsEEEESI_EEEEESK_NSA_INS5_IJNSE_INSF_IsEEEESM_EEEEEPS7_SP_SP_NSC_11hip_rocprim7__merge17predicate_wrapperIssNSC_4lessIsEEEEEE10hipError_tPvRmT0_T1_T2_T3_T4_T5_mmT6_P12ihipStream_tbEUlT_E0_NS1_11comp_targetILNS1_3genE10ELNS1_11target_archE1201ELNS1_3gpuE5ELNS1_3repE0EEENS1_30default_config_static_selectorELNS0_4arch9wavefront6targetE0EEEvS10_
	.p2align	8
	.type	_ZN7rocprim17ROCPRIM_400000_NS6detail17trampoline_kernelINS0_14default_configENS1_21merge_config_selectorINS0_5tupleIJssEEENS0_10empty_typeEEEZNS1_10merge_implIS3_NS0_12zip_iteratorINS5_IJN6thrust23THRUST_200600_302600_NS6detail15normal_iteratorINSC_10device_ptrIKsEEEESI_EEEEESK_NSA_INS5_IJNSE_INSF_IsEEEESM_EEEEEPS7_SP_SP_NSC_11hip_rocprim7__merge17predicate_wrapperIssNSC_4lessIsEEEEEE10hipError_tPvRmT0_T1_T2_T3_T4_T5_mmT6_P12ihipStream_tbEUlT_E0_NS1_11comp_targetILNS1_3genE10ELNS1_11target_archE1201ELNS1_3gpuE5ELNS1_3repE0EEENS1_30default_config_static_selectorELNS0_4arch9wavefront6targetE0EEEvS10_,@function
_ZN7rocprim17ROCPRIM_400000_NS6detail17trampoline_kernelINS0_14default_configENS1_21merge_config_selectorINS0_5tupleIJssEEENS0_10empty_typeEEEZNS1_10merge_implIS3_NS0_12zip_iteratorINS5_IJN6thrust23THRUST_200600_302600_NS6detail15normal_iteratorINSC_10device_ptrIKsEEEESI_EEEEESK_NSA_INS5_IJNSE_INSF_IsEEEESM_EEEEEPS7_SP_SP_NSC_11hip_rocprim7__merge17predicate_wrapperIssNSC_4lessIsEEEEEE10hipError_tPvRmT0_T1_T2_T3_T4_T5_mmT6_P12ihipStream_tbEUlT_E0_NS1_11comp_targetILNS1_3genE10ELNS1_11target_archE1201ELNS1_3gpuE5ELNS1_3repE0EEENS1_30default_config_static_selectorELNS0_4arch9wavefront6targetE0EEEvS10_: ; @_ZN7rocprim17ROCPRIM_400000_NS6detail17trampoline_kernelINS0_14default_configENS1_21merge_config_selectorINS0_5tupleIJssEEENS0_10empty_typeEEEZNS1_10merge_implIS3_NS0_12zip_iteratorINS5_IJN6thrust23THRUST_200600_302600_NS6detail15normal_iteratorINSC_10device_ptrIKsEEEESI_EEEEESK_NSA_INS5_IJNSE_INSF_IsEEEESM_EEEEEPS7_SP_SP_NSC_11hip_rocprim7__merge17predicate_wrapperIssNSC_4lessIsEEEEEE10hipError_tPvRmT0_T1_T2_T3_T4_T5_mmT6_P12ihipStream_tbEUlT_E0_NS1_11comp_targetILNS1_3genE10ELNS1_11target_archE1201ELNS1_3gpuE5ELNS1_3repE0EEENS1_30default_config_static_selectorELNS0_4arch9wavefront6targetE0EEEvS10_
; %bb.0:
	.section	.rodata,"a",@progbits
	.p2align	6, 0x0
	.amdhsa_kernel _ZN7rocprim17ROCPRIM_400000_NS6detail17trampoline_kernelINS0_14default_configENS1_21merge_config_selectorINS0_5tupleIJssEEENS0_10empty_typeEEEZNS1_10merge_implIS3_NS0_12zip_iteratorINS5_IJN6thrust23THRUST_200600_302600_NS6detail15normal_iteratorINSC_10device_ptrIKsEEEESI_EEEEESK_NSA_INS5_IJNSE_INSF_IsEEEESM_EEEEEPS7_SP_SP_NSC_11hip_rocprim7__merge17predicate_wrapperIssNSC_4lessIsEEEEEE10hipError_tPvRmT0_T1_T2_T3_T4_T5_mmT6_P12ihipStream_tbEUlT_E0_NS1_11comp_targetILNS1_3genE10ELNS1_11target_archE1201ELNS1_3gpuE5ELNS1_3repE0EEENS1_30default_config_static_selectorELNS0_4arch9wavefront6targetE0EEEvS10_
		.amdhsa_group_segment_fixed_size 0
		.amdhsa_private_segment_fixed_size 0
		.amdhsa_kernarg_size 112
		.amdhsa_user_sgpr_count 6
		.amdhsa_user_sgpr_private_segment_buffer 1
		.amdhsa_user_sgpr_dispatch_ptr 0
		.amdhsa_user_sgpr_queue_ptr 0
		.amdhsa_user_sgpr_kernarg_segment_ptr 1
		.amdhsa_user_sgpr_dispatch_id 0
		.amdhsa_user_sgpr_flat_scratch_init 0
		.amdhsa_user_sgpr_private_segment_size 0
		.amdhsa_wavefront_size32 1
		.amdhsa_uses_dynamic_stack 0
		.amdhsa_system_sgpr_private_segment_wavefront_offset 0
		.amdhsa_system_sgpr_workgroup_id_x 1
		.amdhsa_system_sgpr_workgroup_id_y 0
		.amdhsa_system_sgpr_workgroup_id_z 0
		.amdhsa_system_sgpr_workgroup_info 0
		.amdhsa_system_vgpr_workitem_id 0
		.amdhsa_next_free_vgpr 1
		.amdhsa_next_free_sgpr 1
		.amdhsa_reserve_vcc 0
		.amdhsa_reserve_flat_scratch 0
		.amdhsa_float_round_mode_32 0
		.amdhsa_float_round_mode_16_64 0
		.amdhsa_float_denorm_mode_32 3
		.amdhsa_float_denorm_mode_16_64 3
		.amdhsa_dx10_clamp 1
		.amdhsa_ieee_mode 1
		.amdhsa_fp16_overflow 0
		.amdhsa_workgroup_processor_mode 1
		.amdhsa_memory_ordered 1
		.amdhsa_forward_progress 1
		.amdhsa_shared_vgpr_count 0
		.amdhsa_exception_fp_ieee_invalid_op 0
		.amdhsa_exception_fp_denorm_src 0
		.amdhsa_exception_fp_ieee_div_zero 0
		.amdhsa_exception_fp_ieee_overflow 0
		.amdhsa_exception_fp_ieee_underflow 0
		.amdhsa_exception_fp_ieee_inexact 0
		.amdhsa_exception_int_div_zero 0
	.end_amdhsa_kernel
	.section	.text._ZN7rocprim17ROCPRIM_400000_NS6detail17trampoline_kernelINS0_14default_configENS1_21merge_config_selectorINS0_5tupleIJssEEENS0_10empty_typeEEEZNS1_10merge_implIS3_NS0_12zip_iteratorINS5_IJN6thrust23THRUST_200600_302600_NS6detail15normal_iteratorINSC_10device_ptrIKsEEEESI_EEEEESK_NSA_INS5_IJNSE_INSF_IsEEEESM_EEEEEPS7_SP_SP_NSC_11hip_rocprim7__merge17predicate_wrapperIssNSC_4lessIsEEEEEE10hipError_tPvRmT0_T1_T2_T3_T4_T5_mmT6_P12ihipStream_tbEUlT_E0_NS1_11comp_targetILNS1_3genE10ELNS1_11target_archE1201ELNS1_3gpuE5ELNS1_3repE0EEENS1_30default_config_static_selectorELNS0_4arch9wavefront6targetE0EEEvS10_,"axG",@progbits,_ZN7rocprim17ROCPRIM_400000_NS6detail17trampoline_kernelINS0_14default_configENS1_21merge_config_selectorINS0_5tupleIJssEEENS0_10empty_typeEEEZNS1_10merge_implIS3_NS0_12zip_iteratorINS5_IJN6thrust23THRUST_200600_302600_NS6detail15normal_iteratorINSC_10device_ptrIKsEEEESI_EEEEESK_NSA_INS5_IJNSE_INSF_IsEEEESM_EEEEEPS7_SP_SP_NSC_11hip_rocprim7__merge17predicate_wrapperIssNSC_4lessIsEEEEEE10hipError_tPvRmT0_T1_T2_T3_T4_T5_mmT6_P12ihipStream_tbEUlT_E0_NS1_11comp_targetILNS1_3genE10ELNS1_11target_archE1201ELNS1_3gpuE5ELNS1_3repE0EEENS1_30default_config_static_selectorELNS0_4arch9wavefront6targetE0EEEvS10_,comdat
.Lfunc_end294:
	.size	_ZN7rocprim17ROCPRIM_400000_NS6detail17trampoline_kernelINS0_14default_configENS1_21merge_config_selectorINS0_5tupleIJssEEENS0_10empty_typeEEEZNS1_10merge_implIS3_NS0_12zip_iteratorINS5_IJN6thrust23THRUST_200600_302600_NS6detail15normal_iteratorINSC_10device_ptrIKsEEEESI_EEEEESK_NSA_INS5_IJNSE_INSF_IsEEEESM_EEEEEPS7_SP_SP_NSC_11hip_rocprim7__merge17predicate_wrapperIssNSC_4lessIsEEEEEE10hipError_tPvRmT0_T1_T2_T3_T4_T5_mmT6_P12ihipStream_tbEUlT_E0_NS1_11comp_targetILNS1_3genE10ELNS1_11target_archE1201ELNS1_3gpuE5ELNS1_3repE0EEENS1_30default_config_static_selectorELNS0_4arch9wavefront6targetE0EEEvS10_, .Lfunc_end294-_ZN7rocprim17ROCPRIM_400000_NS6detail17trampoline_kernelINS0_14default_configENS1_21merge_config_selectorINS0_5tupleIJssEEENS0_10empty_typeEEEZNS1_10merge_implIS3_NS0_12zip_iteratorINS5_IJN6thrust23THRUST_200600_302600_NS6detail15normal_iteratorINSC_10device_ptrIKsEEEESI_EEEEESK_NSA_INS5_IJNSE_INSF_IsEEEESM_EEEEEPS7_SP_SP_NSC_11hip_rocprim7__merge17predicate_wrapperIssNSC_4lessIsEEEEEE10hipError_tPvRmT0_T1_T2_T3_T4_T5_mmT6_P12ihipStream_tbEUlT_E0_NS1_11comp_targetILNS1_3genE10ELNS1_11target_archE1201ELNS1_3gpuE5ELNS1_3repE0EEENS1_30default_config_static_selectorELNS0_4arch9wavefront6targetE0EEEvS10_
                                        ; -- End function
	.set _ZN7rocprim17ROCPRIM_400000_NS6detail17trampoline_kernelINS0_14default_configENS1_21merge_config_selectorINS0_5tupleIJssEEENS0_10empty_typeEEEZNS1_10merge_implIS3_NS0_12zip_iteratorINS5_IJN6thrust23THRUST_200600_302600_NS6detail15normal_iteratorINSC_10device_ptrIKsEEEESI_EEEEESK_NSA_INS5_IJNSE_INSF_IsEEEESM_EEEEEPS7_SP_SP_NSC_11hip_rocprim7__merge17predicate_wrapperIssNSC_4lessIsEEEEEE10hipError_tPvRmT0_T1_T2_T3_T4_T5_mmT6_P12ihipStream_tbEUlT_E0_NS1_11comp_targetILNS1_3genE10ELNS1_11target_archE1201ELNS1_3gpuE5ELNS1_3repE0EEENS1_30default_config_static_selectorELNS0_4arch9wavefront6targetE0EEEvS10_.num_vgpr, 0
	.set _ZN7rocprim17ROCPRIM_400000_NS6detail17trampoline_kernelINS0_14default_configENS1_21merge_config_selectorINS0_5tupleIJssEEENS0_10empty_typeEEEZNS1_10merge_implIS3_NS0_12zip_iteratorINS5_IJN6thrust23THRUST_200600_302600_NS6detail15normal_iteratorINSC_10device_ptrIKsEEEESI_EEEEESK_NSA_INS5_IJNSE_INSF_IsEEEESM_EEEEEPS7_SP_SP_NSC_11hip_rocprim7__merge17predicate_wrapperIssNSC_4lessIsEEEEEE10hipError_tPvRmT0_T1_T2_T3_T4_T5_mmT6_P12ihipStream_tbEUlT_E0_NS1_11comp_targetILNS1_3genE10ELNS1_11target_archE1201ELNS1_3gpuE5ELNS1_3repE0EEENS1_30default_config_static_selectorELNS0_4arch9wavefront6targetE0EEEvS10_.num_agpr, 0
	.set _ZN7rocprim17ROCPRIM_400000_NS6detail17trampoline_kernelINS0_14default_configENS1_21merge_config_selectorINS0_5tupleIJssEEENS0_10empty_typeEEEZNS1_10merge_implIS3_NS0_12zip_iteratorINS5_IJN6thrust23THRUST_200600_302600_NS6detail15normal_iteratorINSC_10device_ptrIKsEEEESI_EEEEESK_NSA_INS5_IJNSE_INSF_IsEEEESM_EEEEEPS7_SP_SP_NSC_11hip_rocprim7__merge17predicate_wrapperIssNSC_4lessIsEEEEEE10hipError_tPvRmT0_T1_T2_T3_T4_T5_mmT6_P12ihipStream_tbEUlT_E0_NS1_11comp_targetILNS1_3genE10ELNS1_11target_archE1201ELNS1_3gpuE5ELNS1_3repE0EEENS1_30default_config_static_selectorELNS0_4arch9wavefront6targetE0EEEvS10_.numbered_sgpr, 0
	.set _ZN7rocprim17ROCPRIM_400000_NS6detail17trampoline_kernelINS0_14default_configENS1_21merge_config_selectorINS0_5tupleIJssEEENS0_10empty_typeEEEZNS1_10merge_implIS3_NS0_12zip_iteratorINS5_IJN6thrust23THRUST_200600_302600_NS6detail15normal_iteratorINSC_10device_ptrIKsEEEESI_EEEEESK_NSA_INS5_IJNSE_INSF_IsEEEESM_EEEEEPS7_SP_SP_NSC_11hip_rocprim7__merge17predicate_wrapperIssNSC_4lessIsEEEEEE10hipError_tPvRmT0_T1_T2_T3_T4_T5_mmT6_P12ihipStream_tbEUlT_E0_NS1_11comp_targetILNS1_3genE10ELNS1_11target_archE1201ELNS1_3gpuE5ELNS1_3repE0EEENS1_30default_config_static_selectorELNS0_4arch9wavefront6targetE0EEEvS10_.num_named_barrier, 0
	.set _ZN7rocprim17ROCPRIM_400000_NS6detail17trampoline_kernelINS0_14default_configENS1_21merge_config_selectorINS0_5tupleIJssEEENS0_10empty_typeEEEZNS1_10merge_implIS3_NS0_12zip_iteratorINS5_IJN6thrust23THRUST_200600_302600_NS6detail15normal_iteratorINSC_10device_ptrIKsEEEESI_EEEEESK_NSA_INS5_IJNSE_INSF_IsEEEESM_EEEEEPS7_SP_SP_NSC_11hip_rocprim7__merge17predicate_wrapperIssNSC_4lessIsEEEEEE10hipError_tPvRmT0_T1_T2_T3_T4_T5_mmT6_P12ihipStream_tbEUlT_E0_NS1_11comp_targetILNS1_3genE10ELNS1_11target_archE1201ELNS1_3gpuE5ELNS1_3repE0EEENS1_30default_config_static_selectorELNS0_4arch9wavefront6targetE0EEEvS10_.private_seg_size, 0
	.set _ZN7rocprim17ROCPRIM_400000_NS6detail17trampoline_kernelINS0_14default_configENS1_21merge_config_selectorINS0_5tupleIJssEEENS0_10empty_typeEEEZNS1_10merge_implIS3_NS0_12zip_iteratorINS5_IJN6thrust23THRUST_200600_302600_NS6detail15normal_iteratorINSC_10device_ptrIKsEEEESI_EEEEESK_NSA_INS5_IJNSE_INSF_IsEEEESM_EEEEEPS7_SP_SP_NSC_11hip_rocprim7__merge17predicate_wrapperIssNSC_4lessIsEEEEEE10hipError_tPvRmT0_T1_T2_T3_T4_T5_mmT6_P12ihipStream_tbEUlT_E0_NS1_11comp_targetILNS1_3genE10ELNS1_11target_archE1201ELNS1_3gpuE5ELNS1_3repE0EEENS1_30default_config_static_selectorELNS0_4arch9wavefront6targetE0EEEvS10_.uses_vcc, 0
	.set _ZN7rocprim17ROCPRIM_400000_NS6detail17trampoline_kernelINS0_14default_configENS1_21merge_config_selectorINS0_5tupleIJssEEENS0_10empty_typeEEEZNS1_10merge_implIS3_NS0_12zip_iteratorINS5_IJN6thrust23THRUST_200600_302600_NS6detail15normal_iteratorINSC_10device_ptrIKsEEEESI_EEEEESK_NSA_INS5_IJNSE_INSF_IsEEEESM_EEEEEPS7_SP_SP_NSC_11hip_rocprim7__merge17predicate_wrapperIssNSC_4lessIsEEEEEE10hipError_tPvRmT0_T1_T2_T3_T4_T5_mmT6_P12ihipStream_tbEUlT_E0_NS1_11comp_targetILNS1_3genE10ELNS1_11target_archE1201ELNS1_3gpuE5ELNS1_3repE0EEENS1_30default_config_static_selectorELNS0_4arch9wavefront6targetE0EEEvS10_.uses_flat_scratch, 0
	.set _ZN7rocprim17ROCPRIM_400000_NS6detail17trampoline_kernelINS0_14default_configENS1_21merge_config_selectorINS0_5tupleIJssEEENS0_10empty_typeEEEZNS1_10merge_implIS3_NS0_12zip_iteratorINS5_IJN6thrust23THRUST_200600_302600_NS6detail15normal_iteratorINSC_10device_ptrIKsEEEESI_EEEEESK_NSA_INS5_IJNSE_INSF_IsEEEESM_EEEEEPS7_SP_SP_NSC_11hip_rocprim7__merge17predicate_wrapperIssNSC_4lessIsEEEEEE10hipError_tPvRmT0_T1_T2_T3_T4_T5_mmT6_P12ihipStream_tbEUlT_E0_NS1_11comp_targetILNS1_3genE10ELNS1_11target_archE1201ELNS1_3gpuE5ELNS1_3repE0EEENS1_30default_config_static_selectorELNS0_4arch9wavefront6targetE0EEEvS10_.has_dyn_sized_stack, 0
	.set _ZN7rocprim17ROCPRIM_400000_NS6detail17trampoline_kernelINS0_14default_configENS1_21merge_config_selectorINS0_5tupleIJssEEENS0_10empty_typeEEEZNS1_10merge_implIS3_NS0_12zip_iteratorINS5_IJN6thrust23THRUST_200600_302600_NS6detail15normal_iteratorINSC_10device_ptrIKsEEEESI_EEEEESK_NSA_INS5_IJNSE_INSF_IsEEEESM_EEEEEPS7_SP_SP_NSC_11hip_rocprim7__merge17predicate_wrapperIssNSC_4lessIsEEEEEE10hipError_tPvRmT0_T1_T2_T3_T4_T5_mmT6_P12ihipStream_tbEUlT_E0_NS1_11comp_targetILNS1_3genE10ELNS1_11target_archE1201ELNS1_3gpuE5ELNS1_3repE0EEENS1_30default_config_static_selectorELNS0_4arch9wavefront6targetE0EEEvS10_.has_recursion, 0
	.set _ZN7rocprim17ROCPRIM_400000_NS6detail17trampoline_kernelINS0_14default_configENS1_21merge_config_selectorINS0_5tupleIJssEEENS0_10empty_typeEEEZNS1_10merge_implIS3_NS0_12zip_iteratorINS5_IJN6thrust23THRUST_200600_302600_NS6detail15normal_iteratorINSC_10device_ptrIKsEEEESI_EEEEESK_NSA_INS5_IJNSE_INSF_IsEEEESM_EEEEEPS7_SP_SP_NSC_11hip_rocprim7__merge17predicate_wrapperIssNSC_4lessIsEEEEEE10hipError_tPvRmT0_T1_T2_T3_T4_T5_mmT6_P12ihipStream_tbEUlT_E0_NS1_11comp_targetILNS1_3genE10ELNS1_11target_archE1201ELNS1_3gpuE5ELNS1_3repE0EEENS1_30default_config_static_selectorELNS0_4arch9wavefront6targetE0EEEvS10_.has_indirect_call, 0
	.section	.AMDGPU.csdata,"",@progbits
; Kernel info:
; codeLenInByte = 0
; TotalNumSgprs: 0
; NumVgprs: 0
; ScratchSize: 0
; MemoryBound: 0
; FloatMode: 240
; IeeeMode: 1
; LDSByteSize: 0 bytes/workgroup (compile time only)
; SGPRBlocks: 0
; VGPRBlocks: 0
; NumSGPRsForWavesPerEU: 1
; NumVGPRsForWavesPerEU: 1
; Occupancy: 16
; WaveLimiterHint : 0
; COMPUTE_PGM_RSRC2:SCRATCH_EN: 0
; COMPUTE_PGM_RSRC2:USER_SGPR: 6
; COMPUTE_PGM_RSRC2:TRAP_HANDLER: 0
; COMPUTE_PGM_RSRC2:TGID_X_EN: 1
; COMPUTE_PGM_RSRC2:TGID_Y_EN: 0
; COMPUTE_PGM_RSRC2:TGID_Z_EN: 0
; COMPUTE_PGM_RSRC2:TIDIG_COMP_CNT: 0
	.section	.text._ZN7rocprim17ROCPRIM_400000_NS6detail17trampoline_kernelINS0_14default_configENS1_21merge_config_selectorINS0_5tupleIJssEEENS0_10empty_typeEEEZNS1_10merge_implIS3_NS0_12zip_iteratorINS5_IJN6thrust23THRUST_200600_302600_NS6detail15normal_iteratorINSC_10device_ptrIKsEEEESI_EEEEESK_NSA_INS5_IJNSE_INSF_IsEEEESM_EEEEEPS7_SP_SP_NSC_11hip_rocprim7__merge17predicate_wrapperIssNSC_4lessIsEEEEEE10hipError_tPvRmT0_T1_T2_T3_T4_T5_mmT6_P12ihipStream_tbEUlT_E0_NS1_11comp_targetILNS1_3genE10ELNS1_11target_archE1200ELNS1_3gpuE4ELNS1_3repE0EEENS1_30default_config_static_selectorELNS0_4arch9wavefront6targetE0EEEvS10_,"axG",@progbits,_ZN7rocprim17ROCPRIM_400000_NS6detail17trampoline_kernelINS0_14default_configENS1_21merge_config_selectorINS0_5tupleIJssEEENS0_10empty_typeEEEZNS1_10merge_implIS3_NS0_12zip_iteratorINS5_IJN6thrust23THRUST_200600_302600_NS6detail15normal_iteratorINSC_10device_ptrIKsEEEESI_EEEEESK_NSA_INS5_IJNSE_INSF_IsEEEESM_EEEEEPS7_SP_SP_NSC_11hip_rocprim7__merge17predicate_wrapperIssNSC_4lessIsEEEEEE10hipError_tPvRmT0_T1_T2_T3_T4_T5_mmT6_P12ihipStream_tbEUlT_E0_NS1_11comp_targetILNS1_3genE10ELNS1_11target_archE1200ELNS1_3gpuE4ELNS1_3repE0EEENS1_30default_config_static_selectorELNS0_4arch9wavefront6targetE0EEEvS10_,comdat
	.protected	_ZN7rocprim17ROCPRIM_400000_NS6detail17trampoline_kernelINS0_14default_configENS1_21merge_config_selectorINS0_5tupleIJssEEENS0_10empty_typeEEEZNS1_10merge_implIS3_NS0_12zip_iteratorINS5_IJN6thrust23THRUST_200600_302600_NS6detail15normal_iteratorINSC_10device_ptrIKsEEEESI_EEEEESK_NSA_INS5_IJNSE_INSF_IsEEEESM_EEEEEPS7_SP_SP_NSC_11hip_rocprim7__merge17predicate_wrapperIssNSC_4lessIsEEEEEE10hipError_tPvRmT0_T1_T2_T3_T4_T5_mmT6_P12ihipStream_tbEUlT_E0_NS1_11comp_targetILNS1_3genE10ELNS1_11target_archE1200ELNS1_3gpuE4ELNS1_3repE0EEENS1_30default_config_static_selectorELNS0_4arch9wavefront6targetE0EEEvS10_ ; -- Begin function _ZN7rocprim17ROCPRIM_400000_NS6detail17trampoline_kernelINS0_14default_configENS1_21merge_config_selectorINS0_5tupleIJssEEENS0_10empty_typeEEEZNS1_10merge_implIS3_NS0_12zip_iteratorINS5_IJN6thrust23THRUST_200600_302600_NS6detail15normal_iteratorINSC_10device_ptrIKsEEEESI_EEEEESK_NSA_INS5_IJNSE_INSF_IsEEEESM_EEEEEPS7_SP_SP_NSC_11hip_rocprim7__merge17predicate_wrapperIssNSC_4lessIsEEEEEE10hipError_tPvRmT0_T1_T2_T3_T4_T5_mmT6_P12ihipStream_tbEUlT_E0_NS1_11comp_targetILNS1_3genE10ELNS1_11target_archE1200ELNS1_3gpuE4ELNS1_3repE0EEENS1_30default_config_static_selectorELNS0_4arch9wavefront6targetE0EEEvS10_
	.globl	_ZN7rocprim17ROCPRIM_400000_NS6detail17trampoline_kernelINS0_14default_configENS1_21merge_config_selectorINS0_5tupleIJssEEENS0_10empty_typeEEEZNS1_10merge_implIS3_NS0_12zip_iteratorINS5_IJN6thrust23THRUST_200600_302600_NS6detail15normal_iteratorINSC_10device_ptrIKsEEEESI_EEEEESK_NSA_INS5_IJNSE_INSF_IsEEEESM_EEEEEPS7_SP_SP_NSC_11hip_rocprim7__merge17predicate_wrapperIssNSC_4lessIsEEEEEE10hipError_tPvRmT0_T1_T2_T3_T4_T5_mmT6_P12ihipStream_tbEUlT_E0_NS1_11comp_targetILNS1_3genE10ELNS1_11target_archE1200ELNS1_3gpuE4ELNS1_3repE0EEENS1_30default_config_static_selectorELNS0_4arch9wavefront6targetE0EEEvS10_
	.p2align	8
	.type	_ZN7rocprim17ROCPRIM_400000_NS6detail17trampoline_kernelINS0_14default_configENS1_21merge_config_selectorINS0_5tupleIJssEEENS0_10empty_typeEEEZNS1_10merge_implIS3_NS0_12zip_iteratorINS5_IJN6thrust23THRUST_200600_302600_NS6detail15normal_iteratorINSC_10device_ptrIKsEEEESI_EEEEESK_NSA_INS5_IJNSE_INSF_IsEEEESM_EEEEEPS7_SP_SP_NSC_11hip_rocprim7__merge17predicate_wrapperIssNSC_4lessIsEEEEEE10hipError_tPvRmT0_T1_T2_T3_T4_T5_mmT6_P12ihipStream_tbEUlT_E0_NS1_11comp_targetILNS1_3genE10ELNS1_11target_archE1200ELNS1_3gpuE4ELNS1_3repE0EEENS1_30default_config_static_selectorELNS0_4arch9wavefront6targetE0EEEvS10_,@function
_ZN7rocprim17ROCPRIM_400000_NS6detail17trampoline_kernelINS0_14default_configENS1_21merge_config_selectorINS0_5tupleIJssEEENS0_10empty_typeEEEZNS1_10merge_implIS3_NS0_12zip_iteratorINS5_IJN6thrust23THRUST_200600_302600_NS6detail15normal_iteratorINSC_10device_ptrIKsEEEESI_EEEEESK_NSA_INS5_IJNSE_INSF_IsEEEESM_EEEEEPS7_SP_SP_NSC_11hip_rocprim7__merge17predicate_wrapperIssNSC_4lessIsEEEEEE10hipError_tPvRmT0_T1_T2_T3_T4_T5_mmT6_P12ihipStream_tbEUlT_E0_NS1_11comp_targetILNS1_3genE10ELNS1_11target_archE1200ELNS1_3gpuE4ELNS1_3repE0EEENS1_30default_config_static_selectorELNS0_4arch9wavefront6targetE0EEEvS10_: ; @_ZN7rocprim17ROCPRIM_400000_NS6detail17trampoline_kernelINS0_14default_configENS1_21merge_config_selectorINS0_5tupleIJssEEENS0_10empty_typeEEEZNS1_10merge_implIS3_NS0_12zip_iteratorINS5_IJN6thrust23THRUST_200600_302600_NS6detail15normal_iteratorINSC_10device_ptrIKsEEEESI_EEEEESK_NSA_INS5_IJNSE_INSF_IsEEEESM_EEEEEPS7_SP_SP_NSC_11hip_rocprim7__merge17predicate_wrapperIssNSC_4lessIsEEEEEE10hipError_tPvRmT0_T1_T2_T3_T4_T5_mmT6_P12ihipStream_tbEUlT_E0_NS1_11comp_targetILNS1_3genE10ELNS1_11target_archE1200ELNS1_3gpuE4ELNS1_3repE0EEENS1_30default_config_static_selectorELNS0_4arch9wavefront6targetE0EEEvS10_
; %bb.0:
	.section	.rodata,"a",@progbits
	.p2align	6, 0x0
	.amdhsa_kernel _ZN7rocprim17ROCPRIM_400000_NS6detail17trampoline_kernelINS0_14default_configENS1_21merge_config_selectorINS0_5tupleIJssEEENS0_10empty_typeEEEZNS1_10merge_implIS3_NS0_12zip_iteratorINS5_IJN6thrust23THRUST_200600_302600_NS6detail15normal_iteratorINSC_10device_ptrIKsEEEESI_EEEEESK_NSA_INS5_IJNSE_INSF_IsEEEESM_EEEEEPS7_SP_SP_NSC_11hip_rocprim7__merge17predicate_wrapperIssNSC_4lessIsEEEEEE10hipError_tPvRmT0_T1_T2_T3_T4_T5_mmT6_P12ihipStream_tbEUlT_E0_NS1_11comp_targetILNS1_3genE10ELNS1_11target_archE1200ELNS1_3gpuE4ELNS1_3repE0EEENS1_30default_config_static_selectorELNS0_4arch9wavefront6targetE0EEEvS10_
		.amdhsa_group_segment_fixed_size 0
		.amdhsa_private_segment_fixed_size 0
		.amdhsa_kernarg_size 112
		.amdhsa_user_sgpr_count 6
		.amdhsa_user_sgpr_private_segment_buffer 1
		.amdhsa_user_sgpr_dispatch_ptr 0
		.amdhsa_user_sgpr_queue_ptr 0
		.amdhsa_user_sgpr_kernarg_segment_ptr 1
		.amdhsa_user_sgpr_dispatch_id 0
		.amdhsa_user_sgpr_flat_scratch_init 0
		.amdhsa_user_sgpr_private_segment_size 0
		.amdhsa_wavefront_size32 1
		.amdhsa_uses_dynamic_stack 0
		.amdhsa_system_sgpr_private_segment_wavefront_offset 0
		.amdhsa_system_sgpr_workgroup_id_x 1
		.amdhsa_system_sgpr_workgroup_id_y 0
		.amdhsa_system_sgpr_workgroup_id_z 0
		.amdhsa_system_sgpr_workgroup_info 0
		.amdhsa_system_vgpr_workitem_id 0
		.amdhsa_next_free_vgpr 1
		.amdhsa_next_free_sgpr 1
		.amdhsa_reserve_vcc 0
		.amdhsa_reserve_flat_scratch 0
		.amdhsa_float_round_mode_32 0
		.amdhsa_float_round_mode_16_64 0
		.amdhsa_float_denorm_mode_32 3
		.amdhsa_float_denorm_mode_16_64 3
		.amdhsa_dx10_clamp 1
		.amdhsa_ieee_mode 1
		.amdhsa_fp16_overflow 0
		.amdhsa_workgroup_processor_mode 1
		.amdhsa_memory_ordered 1
		.amdhsa_forward_progress 1
		.amdhsa_shared_vgpr_count 0
		.amdhsa_exception_fp_ieee_invalid_op 0
		.amdhsa_exception_fp_denorm_src 0
		.amdhsa_exception_fp_ieee_div_zero 0
		.amdhsa_exception_fp_ieee_overflow 0
		.amdhsa_exception_fp_ieee_underflow 0
		.amdhsa_exception_fp_ieee_inexact 0
		.amdhsa_exception_int_div_zero 0
	.end_amdhsa_kernel
	.section	.text._ZN7rocprim17ROCPRIM_400000_NS6detail17trampoline_kernelINS0_14default_configENS1_21merge_config_selectorINS0_5tupleIJssEEENS0_10empty_typeEEEZNS1_10merge_implIS3_NS0_12zip_iteratorINS5_IJN6thrust23THRUST_200600_302600_NS6detail15normal_iteratorINSC_10device_ptrIKsEEEESI_EEEEESK_NSA_INS5_IJNSE_INSF_IsEEEESM_EEEEEPS7_SP_SP_NSC_11hip_rocprim7__merge17predicate_wrapperIssNSC_4lessIsEEEEEE10hipError_tPvRmT0_T1_T2_T3_T4_T5_mmT6_P12ihipStream_tbEUlT_E0_NS1_11comp_targetILNS1_3genE10ELNS1_11target_archE1200ELNS1_3gpuE4ELNS1_3repE0EEENS1_30default_config_static_selectorELNS0_4arch9wavefront6targetE0EEEvS10_,"axG",@progbits,_ZN7rocprim17ROCPRIM_400000_NS6detail17trampoline_kernelINS0_14default_configENS1_21merge_config_selectorINS0_5tupleIJssEEENS0_10empty_typeEEEZNS1_10merge_implIS3_NS0_12zip_iteratorINS5_IJN6thrust23THRUST_200600_302600_NS6detail15normal_iteratorINSC_10device_ptrIKsEEEESI_EEEEESK_NSA_INS5_IJNSE_INSF_IsEEEESM_EEEEEPS7_SP_SP_NSC_11hip_rocprim7__merge17predicate_wrapperIssNSC_4lessIsEEEEEE10hipError_tPvRmT0_T1_T2_T3_T4_T5_mmT6_P12ihipStream_tbEUlT_E0_NS1_11comp_targetILNS1_3genE10ELNS1_11target_archE1200ELNS1_3gpuE4ELNS1_3repE0EEENS1_30default_config_static_selectorELNS0_4arch9wavefront6targetE0EEEvS10_,comdat
.Lfunc_end295:
	.size	_ZN7rocprim17ROCPRIM_400000_NS6detail17trampoline_kernelINS0_14default_configENS1_21merge_config_selectorINS0_5tupleIJssEEENS0_10empty_typeEEEZNS1_10merge_implIS3_NS0_12zip_iteratorINS5_IJN6thrust23THRUST_200600_302600_NS6detail15normal_iteratorINSC_10device_ptrIKsEEEESI_EEEEESK_NSA_INS5_IJNSE_INSF_IsEEEESM_EEEEEPS7_SP_SP_NSC_11hip_rocprim7__merge17predicate_wrapperIssNSC_4lessIsEEEEEE10hipError_tPvRmT0_T1_T2_T3_T4_T5_mmT6_P12ihipStream_tbEUlT_E0_NS1_11comp_targetILNS1_3genE10ELNS1_11target_archE1200ELNS1_3gpuE4ELNS1_3repE0EEENS1_30default_config_static_selectorELNS0_4arch9wavefront6targetE0EEEvS10_, .Lfunc_end295-_ZN7rocprim17ROCPRIM_400000_NS6detail17trampoline_kernelINS0_14default_configENS1_21merge_config_selectorINS0_5tupleIJssEEENS0_10empty_typeEEEZNS1_10merge_implIS3_NS0_12zip_iteratorINS5_IJN6thrust23THRUST_200600_302600_NS6detail15normal_iteratorINSC_10device_ptrIKsEEEESI_EEEEESK_NSA_INS5_IJNSE_INSF_IsEEEESM_EEEEEPS7_SP_SP_NSC_11hip_rocprim7__merge17predicate_wrapperIssNSC_4lessIsEEEEEE10hipError_tPvRmT0_T1_T2_T3_T4_T5_mmT6_P12ihipStream_tbEUlT_E0_NS1_11comp_targetILNS1_3genE10ELNS1_11target_archE1200ELNS1_3gpuE4ELNS1_3repE0EEENS1_30default_config_static_selectorELNS0_4arch9wavefront6targetE0EEEvS10_
                                        ; -- End function
	.set _ZN7rocprim17ROCPRIM_400000_NS6detail17trampoline_kernelINS0_14default_configENS1_21merge_config_selectorINS0_5tupleIJssEEENS0_10empty_typeEEEZNS1_10merge_implIS3_NS0_12zip_iteratorINS5_IJN6thrust23THRUST_200600_302600_NS6detail15normal_iteratorINSC_10device_ptrIKsEEEESI_EEEEESK_NSA_INS5_IJNSE_INSF_IsEEEESM_EEEEEPS7_SP_SP_NSC_11hip_rocprim7__merge17predicate_wrapperIssNSC_4lessIsEEEEEE10hipError_tPvRmT0_T1_T2_T3_T4_T5_mmT6_P12ihipStream_tbEUlT_E0_NS1_11comp_targetILNS1_3genE10ELNS1_11target_archE1200ELNS1_3gpuE4ELNS1_3repE0EEENS1_30default_config_static_selectorELNS0_4arch9wavefront6targetE0EEEvS10_.num_vgpr, 0
	.set _ZN7rocprim17ROCPRIM_400000_NS6detail17trampoline_kernelINS0_14default_configENS1_21merge_config_selectorINS0_5tupleIJssEEENS0_10empty_typeEEEZNS1_10merge_implIS3_NS0_12zip_iteratorINS5_IJN6thrust23THRUST_200600_302600_NS6detail15normal_iteratorINSC_10device_ptrIKsEEEESI_EEEEESK_NSA_INS5_IJNSE_INSF_IsEEEESM_EEEEEPS7_SP_SP_NSC_11hip_rocprim7__merge17predicate_wrapperIssNSC_4lessIsEEEEEE10hipError_tPvRmT0_T1_T2_T3_T4_T5_mmT6_P12ihipStream_tbEUlT_E0_NS1_11comp_targetILNS1_3genE10ELNS1_11target_archE1200ELNS1_3gpuE4ELNS1_3repE0EEENS1_30default_config_static_selectorELNS0_4arch9wavefront6targetE0EEEvS10_.num_agpr, 0
	.set _ZN7rocprim17ROCPRIM_400000_NS6detail17trampoline_kernelINS0_14default_configENS1_21merge_config_selectorINS0_5tupleIJssEEENS0_10empty_typeEEEZNS1_10merge_implIS3_NS0_12zip_iteratorINS5_IJN6thrust23THRUST_200600_302600_NS6detail15normal_iteratorINSC_10device_ptrIKsEEEESI_EEEEESK_NSA_INS5_IJNSE_INSF_IsEEEESM_EEEEEPS7_SP_SP_NSC_11hip_rocprim7__merge17predicate_wrapperIssNSC_4lessIsEEEEEE10hipError_tPvRmT0_T1_T2_T3_T4_T5_mmT6_P12ihipStream_tbEUlT_E0_NS1_11comp_targetILNS1_3genE10ELNS1_11target_archE1200ELNS1_3gpuE4ELNS1_3repE0EEENS1_30default_config_static_selectorELNS0_4arch9wavefront6targetE0EEEvS10_.numbered_sgpr, 0
	.set _ZN7rocprim17ROCPRIM_400000_NS6detail17trampoline_kernelINS0_14default_configENS1_21merge_config_selectorINS0_5tupleIJssEEENS0_10empty_typeEEEZNS1_10merge_implIS3_NS0_12zip_iteratorINS5_IJN6thrust23THRUST_200600_302600_NS6detail15normal_iteratorINSC_10device_ptrIKsEEEESI_EEEEESK_NSA_INS5_IJNSE_INSF_IsEEEESM_EEEEEPS7_SP_SP_NSC_11hip_rocprim7__merge17predicate_wrapperIssNSC_4lessIsEEEEEE10hipError_tPvRmT0_T1_T2_T3_T4_T5_mmT6_P12ihipStream_tbEUlT_E0_NS1_11comp_targetILNS1_3genE10ELNS1_11target_archE1200ELNS1_3gpuE4ELNS1_3repE0EEENS1_30default_config_static_selectorELNS0_4arch9wavefront6targetE0EEEvS10_.num_named_barrier, 0
	.set _ZN7rocprim17ROCPRIM_400000_NS6detail17trampoline_kernelINS0_14default_configENS1_21merge_config_selectorINS0_5tupleIJssEEENS0_10empty_typeEEEZNS1_10merge_implIS3_NS0_12zip_iteratorINS5_IJN6thrust23THRUST_200600_302600_NS6detail15normal_iteratorINSC_10device_ptrIKsEEEESI_EEEEESK_NSA_INS5_IJNSE_INSF_IsEEEESM_EEEEEPS7_SP_SP_NSC_11hip_rocprim7__merge17predicate_wrapperIssNSC_4lessIsEEEEEE10hipError_tPvRmT0_T1_T2_T3_T4_T5_mmT6_P12ihipStream_tbEUlT_E0_NS1_11comp_targetILNS1_3genE10ELNS1_11target_archE1200ELNS1_3gpuE4ELNS1_3repE0EEENS1_30default_config_static_selectorELNS0_4arch9wavefront6targetE0EEEvS10_.private_seg_size, 0
	.set _ZN7rocprim17ROCPRIM_400000_NS6detail17trampoline_kernelINS0_14default_configENS1_21merge_config_selectorINS0_5tupleIJssEEENS0_10empty_typeEEEZNS1_10merge_implIS3_NS0_12zip_iteratorINS5_IJN6thrust23THRUST_200600_302600_NS6detail15normal_iteratorINSC_10device_ptrIKsEEEESI_EEEEESK_NSA_INS5_IJNSE_INSF_IsEEEESM_EEEEEPS7_SP_SP_NSC_11hip_rocprim7__merge17predicate_wrapperIssNSC_4lessIsEEEEEE10hipError_tPvRmT0_T1_T2_T3_T4_T5_mmT6_P12ihipStream_tbEUlT_E0_NS1_11comp_targetILNS1_3genE10ELNS1_11target_archE1200ELNS1_3gpuE4ELNS1_3repE0EEENS1_30default_config_static_selectorELNS0_4arch9wavefront6targetE0EEEvS10_.uses_vcc, 0
	.set _ZN7rocprim17ROCPRIM_400000_NS6detail17trampoline_kernelINS0_14default_configENS1_21merge_config_selectorINS0_5tupleIJssEEENS0_10empty_typeEEEZNS1_10merge_implIS3_NS0_12zip_iteratorINS5_IJN6thrust23THRUST_200600_302600_NS6detail15normal_iteratorINSC_10device_ptrIKsEEEESI_EEEEESK_NSA_INS5_IJNSE_INSF_IsEEEESM_EEEEEPS7_SP_SP_NSC_11hip_rocprim7__merge17predicate_wrapperIssNSC_4lessIsEEEEEE10hipError_tPvRmT0_T1_T2_T3_T4_T5_mmT6_P12ihipStream_tbEUlT_E0_NS1_11comp_targetILNS1_3genE10ELNS1_11target_archE1200ELNS1_3gpuE4ELNS1_3repE0EEENS1_30default_config_static_selectorELNS0_4arch9wavefront6targetE0EEEvS10_.uses_flat_scratch, 0
	.set _ZN7rocprim17ROCPRIM_400000_NS6detail17trampoline_kernelINS0_14default_configENS1_21merge_config_selectorINS0_5tupleIJssEEENS0_10empty_typeEEEZNS1_10merge_implIS3_NS0_12zip_iteratorINS5_IJN6thrust23THRUST_200600_302600_NS6detail15normal_iteratorINSC_10device_ptrIKsEEEESI_EEEEESK_NSA_INS5_IJNSE_INSF_IsEEEESM_EEEEEPS7_SP_SP_NSC_11hip_rocprim7__merge17predicate_wrapperIssNSC_4lessIsEEEEEE10hipError_tPvRmT0_T1_T2_T3_T4_T5_mmT6_P12ihipStream_tbEUlT_E0_NS1_11comp_targetILNS1_3genE10ELNS1_11target_archE1200ELNS1_3gpuE4ELNS1_3repE0EEENS1_30default_config_static_selectorELNS0_4arch9wavefront6targetE0EEEvS10_.has_dyn_sized_stack, 0
	.set _ZN7rocprim17ROCPRIM_400000_NS6detail17trampoline_kernelINS0_14default_configENS1_21merge_config_selectorINS0_5tupleIJssEEENS0_10empty_typeEEEZNS1_10merge_implIS3_NS0_12zip_iteratorINS5_IJN6thrust23THRUST_200600_302600_NS6detail15normal_iteratorINSC_10device_ptrIKsEEEESI_EEEEESK_NSA_INS5_IJNSE_INSF_IsEEEESM_EEEEEPS7_SP_SP_NSC_11hip_rocprim7__merge17predicate_wrapperIssNSC_4lessIsEEEEEE10hipError_tPvRmT0_T1_T2_T3_T4_T5_mmT6_P12ihipStream_tbEUlT_E0_NS1_11comp_targetILNS1_3genE10ELNS1_11target_archE1200ELNS1_3gpuE4ELNS1_3repE0EEENS1_30default_config_static_selectorELNS0_4arch9wavefront6targetE0EEEvS10_.has_recursion, 0
	.set _ZN7rocprim17ROCPRIM_400000_NS6detail17trampoline_kernelINS0_14default_configENS1_21merge_config_selectorINS0_5tupleIJssEEENS0_10empty_typeEEEZNS1_10merge_implIS3_NS0_12zip_iteratorINS5_IJN6thrust23THRUST_200600_302600_NS6detail15normal_iteratorINSC_10device_ptrIKsEEEESI_EEEEESK_NSA_INS5_IJNSE_INSF_IsEEEESM_EEEEEPS7_SP_SP_NSC_11hip_rocprim7__merge17predicate_wrapperIssNSC_4lessIsEEEEEE10hipError_tPvRmT0_T1_T2_T3_T4_T5_mmT6_P12ihipStream_tbEUlT_E0_NS1_11comp_targetILNS1_3genE10ELNS1_11target_archE1200ELNS1_3gpuE4ELNS1_3repE0EEENS1_30default_config_static_selectorELNS0_4arch9wavefront6targetE0EEEvS10_.has_indirect_call, 0
	.section	.AMDGPU.csdata,"",@progbits
; Kernel info:
; codeLenInByte = 0
; TotalNumSgprs: 0
; NumVgprs: 0
; ScratchSize: 0
; MemoryBound: 0
; FloatMode: 240
; IeeeMode: 1
; LDSByteSize: 0 bytes/workgroup (compile time only)
; SGPRBlocks: 0
; VGPRBlocks: 0
; NumSGPRsForWavesPerEU: 1
; NumVGPRsForWavesPerEU: 1
; Occupancy: 16
; WaveLimiterHint : 0
; COMPUTE_PGM_RSRC2:SCRATCH_EN: 0
; COMPUTE_PGM_RSRC2:USER_SGPR: 6
; COMPUTE_PGM_RSRC2:TRAP_HANDLER: 0
; COMPUTE_PGM_RSRC2:TGID_X_EN: 1
; COMPUTE_PGM_RSRC2:TGID_Y_EN: 0
; COMPUTE_PGM_RSRC2:TGID_Z_EN: 0
; COMPUTE_PGM_RSRC2:TIDIG_COMP_CNT: 0
	.section	.text._ZN7rocprim17ROCPRIM_400000_NS6detail17trampoline_kernelINS0_14default_configENS1_21merge_config_selectorINS0_5tupleIJssEEENS0_10empty_typeEEEZNS1_10merge_implIS3_NS0_12zip_iteratorINS5_IJN6thrust23THRUST_200600_302600_NS6detail15normal_iteratorINSC_10device_ptrIKsEEEESI_EEEEESK_NSA_INS5_IJNSE_INSF_IsEEEESM_EEEEEPS7_SP_SP_NSC_11hip_rocprim7__merge17predicate_wrapperIssNSC_4lessIsEEEEEE10hipError_tPvRmT0_T1_T2_T3_T4_T5_mmT6_P12ihipStream_tbEUlT_E0_NS1_11comp_targetILNS1_3genE9ELNS1_11target_archE1100ELNS1_3gpuE3ELNS1_3repE0EEENS1_30default_config_static_selectorELNS0_4arch9wavefront6targetE0EEEvS10_,"axG",@progbits,_ZN7rocprim17ROCPRIM_400000_NS6detail17trampoline_kernelINS0_14default_configENS1_21merge_config_selectorINS0_5tupleIJssEEENS0_10empty_typeEEEZNS1_10merge_implIS3_NS0_12zip_iteratorINS5_IJN6thrust23THRUST_200600_302600_NS6detail15normal_iteratorINSC_10device_ptrIKsEEEESI_EEEEESK_NSA_INS5_IJNSE_INSF_IsEEEESM_EEEEEPS7_SP_SP_NSC_11hip_rocprim7__merge17predicate_wrapperIssNSC_4lessIsEEEEEE10hipError_tPvRmT0_T1_T2_T3_T4_T5_mmT6_P12ihipStream_tbEUlT_E0_NS1_11comp_targetILNS1_3genE9ELNS1_11target_archE1100ELNS1_3gpuE3ELNS1_3repE0EEENS1_30default_config_static_selectorELNS0_4arch9wavefront6targetE0EEEvS10_,comdat
	.protected	_ZN7rocprim17ROCPRIM_400000_NS6detail17trampoline_kernelINS0_14default_configENS1_21merge_config_selectorINS0_5tupleIJssEEENS0_10empty_typeEEEZNS1_10merge_implIS3_NS0_12zip_iteratorINS5_IJN6thrust23THRUST_200600_302600_NS6detail15normal_iteratorINSC_10device_ptrIKsEEEESI_EEEEESK_NSA_INS5_IJNSE_INSF_IsEEEESM_EEEEEPS7_SP_SP_NSC_11hip_rocprim7__merge17predicate_wrapperIssNSC_4lessIsEEEEEE10hipError_tPvRmT0_T1_T2_T3_T4_T5_mmT6_P12ihipStream_tbEUlT_E0_NS1_11comp_targetILNS1_3genE9ELNS1_11target_archE1100ELNS1_3gpuE3ELNS1_3repE0EEENS1_30default_config_static_selectorELNS0_4arch9wavefront6targetE0EEEvS10_ ; -- Begin function _ZN7rocprim17ROCPRIM_400000_NS6detail17trampoline_kernelINS0_14default_configENS1_21merge_config_selectorINS0_5tupleIJssEEENS0_10empty_typeEEEZNS1_10merge_implIS3_NS0_12zip_iteratorINS5_IJN6thrust23THRUST_200600_302600_NS6detail15normal_iteratorINSC_10device_ptrIKsEEEESI_EEEEESK_NSA_INS5_IJNSE_INSF_IsEEEESM_EEEEEPS7_SP_SP_NSC_11hip_rocprim7__merge17predicate_wrapperIssNSC_4lessIsEEEEEE10hipError_tPvRmT0_T1_T2_T3_T4_T5_mmT6_P12ihipStream_tbEUlT_E0_NS1_11comp_targetILNS1_3genE9ELNS1_11target_archE1100ELNS1_3gpuE3ELNS1_3repE0EEENS1_30default_config_static_selectorELNS0_4arch9wavefront6targetE0EEEvS10_
	.globl	_ZN7rocprim17ROCPRIM_400000_NS6detail17trampoline_kernelINS0_14default_configENS1_21merge_config_selectorINS0_5tupleIJssEEENS0_10empty_typeEEEZNS1_10merge_implIS3_NS0_12zip_iteratorINS5_IJN6thrust23THRUST_200600_302600_NS6detail15normal_iteratorINSC_10device_ptrIKsEEEESI_EEEEESK_NSA_INS5_IJNSE_INSF_IsEEEESM_EEEEEPS7_SP_SP_NSC_11hip_rocprim7__merge17predicate_wrapperIssNSC_4lessIsEEEEEE10hipError_tPvRmT0_T1_T2_T3_T4_T5_mmT6_P12ihipStream_tbEUlT_E0_NS1_11comp_targetILNS1_3genE9ELNS1_11target_archE1100ELNS1_3gpuE3ELNS1_3repE0EEENS1_30default_config_static_selectorELNS0_4arch9wavefront6targetE0EEEvS10_
	.p2align	8
	.type	_ZN7rocprim17ROCPRIM_400000_NS6detail17trampoline_kernelINS0_14default_configENS1_21merge_config_selectorINS0_5tupleIJssEEENS0_10empty_typeEEEZNS1_10merge_implIS3_NS0_12zip_iteratorINS5_IJN6thrust23THRUST_200600_302600_NS6detail15normal_iteratorINSC_10device_ptrIKsEEEESI_EEEEESK_NSA_INS5_IJNSE_INSF_IsEEEESM_EEEEEPS7_SP_SP_NSC_11hip_rocprim7__merge17predicate_wrapperIssNSC_4lessIsEEEEEE10hipError_tPvRmT0_T1_T2_T3_T4_T5_mmT6_P12ihipStream_tbEUlT_E0_NS1_11comp_targetILNS1_3genE9ELNS1_11target_archE1100ELNS1_3gpuE3ELNS1_3repE0EEENS1_30default_config_static_selectorELNS0_4arch9wavefront6targetE0EEEvS10_,@function
_ZN7rocprim17ROCPRIM_400000_NS6detail17trampoline_kernelINS0_14default_configENS1_21merge_config_selectorINS0_5tupleIJssEEENS0_10empty_typeEEEZNS1_10merge_implIS3_NS0_12zip_iteratorINS5_IJN6thrust23THRUST_200600_302600_NS6detail15normal_iteratorINSC_10device_ptrIKsEEEESI_EEEEESK_NSA_INS5_IJNSE_INSF_IsEEEESM_EEEEEPS7_SP_SP_NSC_11hip_rocprim7__merge17predicate_wrapperIssNSC_4lessIsEEEEEE10hipError_tPvRmT0_T1_T2_T3_T4_T5_mmT6_P12ihipStream_tbEUlT_E0_NS1_11comp_targetILNS1_3genE9ELNS1_11target_archE1100ELNS1_3gpuE3ELNS1_3repE0EEENS1_30default_config_static_selectorELNS0_4arch9wavefront6targetE0EEEvS10_: ; @_ZN7rocprim17ROCPRIM_400000_NS6detail17trampoline_kernelINS0_14default_configENS1_21merge_config_selectorINS0_5tupleIJssEEENS0_10empty_typeEEEZNS1_10merge_implIS3_NS0_12zip_iteratorINS5_IJN6thrust23THRUST_200600_302600_NS6detail15normal_iteratorINSC_10device_ptrIKsEEEESI_EEEEESK_NSA_INS5_IJNSE_INSF_IsEEEESM_EEEEEPS7_SP_SP_NSC_11hip_rocprim7__merge17predicate_wrapperIssNSC_4lessIsEEEEEE10hipError_tPvRmT0_T1_T2_T3_T4_T5_mmT6_P12ihipStream_tbEUlT_E0_NS1_11comp_targetILNS1_3genE9ELNS1_11target_archE1100ELNS1_3gpuE3ELNS1_3repE0EEENS1_30default_config_static_selectorELNS0_4arch9wavefront6targetE0EEEvS10_
; %bb.0:
	.section	.rodata,"a",@progbits
	.p2align	6, 0x0
	.amdhsa_kernel _ZN7rocprim17ROCPRIM_400000_NS6detail17trampoline_kernelINS0_14default_configENS1_21merge_config_selectorINS0_5tupleIJssEEENS0_10empty_typeEEEZNS1_10merge_implIS3_NS0_12zip_iteratorINS5_IJN6thrust23THRUST_200600_302600_NS6detail15normal_iteratorINSC_10device_ptrIKsEEEESI_EEEEESK_NSA_INS5_IJNSE_INSF_IsEEEESM_EEEEEPS7_SP_SP_NSC_11hip_rocprim7__merge17predicate_wrapperIssNSC_4lessIsEEEEEE10hipError_tPvRmT0_T1_T2_T3_T4_T5_mmT6_P12ihipStream_tbEUlT_E0_NS1_11comp_targetILNS1_3genE9ELNS1_11target_archE1100ELNS1_3gpuE3ELNS1_3repE0EEENS1_30default_config_static_selectorELNS0_4arch9wavefront6targetE0EEEvS10_
		.amdhsa_group_segment_fixed_size 0
		.amdhsa_private_segment_fixed_size 0
		.amdhsa_kernarg_size 112
		.amdhsa_user_sgpr_count 6
		.amdhsa_user_sgpr_private_segment_buffer 1
		.amdhsa_user_sgpr_dispatch_ptr 0
		.amdhsa_user_sgpr_queue_ptr 0
		.amdhsa_user_sgpr_kernarg_segment_ptr 1
		.amdhsa_user_sgpr_dispatch_id 0
		.amdhsa_user_sgpr_flat_scratch_init 0
		.amdhsa_user_sgpr_private_segment_size 0
		.amdhsa_wavefront_size32 1
		.amdhsa_uses_dynamic_stack 0
		.amdhsa_system_sgpr_private_segment_wavefront_offset 0
		.amdhsa_system_sgpr_workgroup_id_x 1
		.amdhsa_system_sgpr_workgroup_id_y 0
		.amdhsa_system_sgpr_workgroup_id_z 0
		.amdhsa_system_sgpr_workgroup_info 0
		.amdhsa_system_vgpr_workitem_id 0
		.amdhsa_next_free_vgpr 1
		.amdhsa_next_free_sgpr 1
		.amdhsa_reserve_vcc 0
		.amdhsa_reserve_flat_scratch 0
		.amdhsa_float_round_mode_32 0
		.amdhsa_float_round_mode_16_64 0
		.amdhsa_float_denorm_mode_32 3
		.amdhsa_float_denorm_mode_16_64 3
		.amdhsa_dx10_clamp 1
		.amdhsa_ieee_mode 1
		.amdhsa_fp16_overflow 0
		.amdhsa_workgroup_processor_mode 1
		.amdhsa_memory_ordered 1
		.amdhsa_forward_progress 1
		.amdhsa_shared_vgpr_count 0
		.amdhsa_exception_fp_ieee_invalid_op 0
		.amdhsa_exception_fp_denorm_src 0
		.amdhsa_exception_fp_ieee_div_zero 0
		.amdhsa_exception_fp_ieee_overflow 0
		.amdhsa_exception_fp_ieee_underflow 0
		.amdhsa_exception_fp_ieee_inexact 0
		.amdhsa_exception_int_div_zero 0
	.end_amdhsa_kernel
	.section	.text._ZN7rocprim17ROCPRIM_400000_NS6detail17trampoline_kernelINS0_14default_configENS1_21merge_config_selectorINS0_5tupleIJssEEENS0_10empty_typeEEEZNS1_10merge_implIS3_NS0_12zip_iteratorINS5_IJN6thrust23THRUST_200600_302600_NS6detail15normal_iteratorINSC_10device_ptrIKsEEEESI_EEEEESK_NSA_INS5_IJNSE_INSF_IsEEEESM_EEEEEPS7_SP_SP_NSC_11hip_rocprim7__merge17predicate_wrapperIssNSC_4lessIsEEEEEE10hipError_tPvRmT0_T1_T2_T3_T4_T5_mmT6_P12ihipStream_tbEUlT_E0_NS1_11comp_targetILNS1_3genE9ELNS1_11target_archE1100ELNS1_3gpuE3ELNS1_3repE0EEENS1_30default_config_static_selectorELNS0_4arch9wavefront6targetE0EEEvS10_,"axG",@progbits,_ZN7rocprim17ROCPRIM_400000_NS6detail17trampoline_kernelINS0_14default_configENS1_21merge_config_selectorINS0_5tupleIJssEEENS0_10empty_typeEEEZNS1_10merge_implIS3_NS0_12zip_iteratorINS5_IJN6thrust23THRUST_200600_302600_NS6detail15normal_iteratorINSC_10device_ptrIKsEEEESI_EEEEESK_NSA_INS5_IJNSE_INSF_IsEEEESM_EEEEEPS7_SP_SP_NSC_11hip_rocprim7__merge17predicate_wrapperIssNSC_4lessIsEEEEEE10hipError_tPvRmT0_T1_T2_T3_T4_T5_mmT6_P12ihipStream_tbEUlT_E0_NS1_11comp_targetILNS1_3genE9ELNS1_11target_archE1100ELNS1_3gpuE3ELNS1_3repE0EEENS1_30default_config_static_selectorELNS0_4arch9wavefront6targetE0EEEvS10_,comdat
.Lfunc_end296:
	.size	_ZN7rocprim17ROCPRIM_400000_NS6detail17trampoline_kernelINS0_14default_configENS1_21merge_config_selectorINS0_5tupleIJssEEENS0_10empty_typeEEEZNS1_10merge_implIS3_NS0_12zip_iteratorINS5_IJN6thrust23THRUST_200600_302600_NS6detail15normal_iteratorINSC_10device_ptrIKsEEEESI_EEEEESK_NSA_INS5_IJNSE_INSF_IsEEEESM_EEEEEPS7_SP_SP_NSC_11hip_rocprim7__merge17predicate_wrapperIssNSC_4lessIsEEEEEE10hipError_tPvRmT0_T1_T2_T3_T4_T5_mmT6_P12ihipStream_tbEUlT_E0_NS1_11comp_targetILNS1_3genE9ELNS1_11target_archE1100ELNS1_3gpuE3ELNS1_3repE0EEENS1_30default_config_static_selectorELNS0_4arch9wavefront6targetE0EEEvS10_, .Lfunc_end296-_ZN7rocprim17ROCPRIM_400000_NS6detail17trampoline_kernelINS0_14default_configENS1_21merge_config_selectorINS0_5tupleIJssEEENS0_10empty_typeEEEZNS1_10merge_implIS3_NS0_12zip_iteratorINS5_IJN6thrust23THRUST_200600_302600_NS6detail15normal_iteratorINSC_10device_ptrIKsEEEESI_EEEEESK_NSA_INS5_IJNSE_INSF_IsEEEESM_EEEEEPS7_SP_SP_NSC_11hip_rocprim7__merge17predicate_wrapperIssNSC_4lessIsEEEEEE10hipError_tPvRmT0_T1_T2_T3_T4_T5_mmT6_P12ihipStream_tbEUlT_E0_NS1_11comp_targetILNS1_3genE9ELNS1_11target_archE1100ELNS1_3gpuE3ELNS1_3repE0EEENS1_30default_config_static_selectorELNS0_4arch9wavefront6targetE0EEEvS10_
                                        ; -- End function
	.set _ZN7rocprim17ROCPRIM_400000_NS6detail17trampoline_kernelINS0_14default_configENS1_21merge_config_selectorINS0_5tupleIJssEEENS0_10empty_typeEEEZNS1_10merge_implIS3_NS0_12zip_iteratorINS5_IJN6thrust23THRUST_200600_302600_NS6detail15normal_iteratorINSC_10device_ptrIKsEEEESI_EEEEESK_NSA_INS5_IJNSE_INSF_IsEEEESM_EEEEEPS7_SP_SP_NSC_11hip_rocprim7__merge17predicate_wrapperIssNSC_4lessIsEEEEEE10hipError_tPvRmT0_T1_T2_T3_T4_T5_mmT6_P12ihipStream_tbEUlT_E0_NS1_11comp_targetILNS1_3genE9ELNS1_11target_archE1100ELNS1_3gpuE3ELNS1_3repE0EEENS1_30default_config_static_selectorELNS0_4arch9wavefront6targetE0EEEvS10_.num_vgpr, 0
	.set _ZN7rocprim17ROCPRIM_400000_NS6detail17trampoline_kernelINS0_14default_configENS1_21merge_config_selectorINS0_5tupleIJssEEENS0_10empty_typeEEEZNS1_10merge_implIS3_NS0_12zip_iteratorINS5_IJN6thrust23THRUST_200600_302600_NS6detail15normal_iteratorINSC_10device_ptrIKsEEEESI_EEEEESK_NSA_INS5_IJNSE_INSF_IsEEEESM_EEEEEPS7_SP_SP_NSC_11hip_rocprim7__merge17predicate_wrapperIssNSC_4lessIsEEEEEE10hipError_tPvRmT0_T1_T2_T3_T4_T5_mmT6_P12ihipStream_tbEUlT_E0_NS1_11comp_targetILNS1_3genE9ELNS1_11target_archE1100ELNS1_3gpuE3ELNS1_3repE0EEENS1_30default_config_static_selectorELNS0_4arch9wavefront6targetE0EEEvS10_.num_agpr, 0
	.set _ZN7rocprim17ROCPRIM_400000_NS6detail17trampoline_kernelINS0_14default_configENS1_21merge_config_selectorINS0_5tupleIJssEEENS0_10empty_typeEEEZNS1_10merge_implIS3_NS0_12zip_iteratorINS5_IJN6thrust23THRUST_200600_302600_NS6detail15normal_iteratorINSC_10device_ptrIKsEEEESI_EEEEESK_NSA_INS5_IJNSE_INSF_IsEEEESM_EEEEEPS7_SP_SP_NSC_11hip_rocprim7__merge17predicate_wrapperIssNSC_4lessIsEEEEEE10hipError_tPvRmT0_T1_T2_T3_T4_T5_mmT6_P12ihipStream_tbEUlT_E0_NS1_11comp_targetILNS1_3genE9ELNS1_11target_archE1100ELNS1_3gpuE3ELNS1_3repE0EEENS1_30default_config_static_selectorELNS0_4arch9wavefront6targetE0EEEvS10_.numbered_sgpr, 0
	.set _ZN7rocprim17ROCPRIM_400000_NS6detail17trampoline_kernelINS0_14default_configENS1_21merge_config_selectorINS0_5tupleIJssEEENS0_10empty_typeEEEZNS1_10merge_implIS3_NS0_12zip_iteratorINS5_IJN6thrust23THRUST_200600_302600_NS6detail15normal_iteratorINSC_10device_ptrIKsEEEESI_EEEEESK_NSA_INS5_IJNSE_INSF_IsEEEESM_EEEEEPS7_SP_SP_NSC_11hip_rocprim7__merge17predicate_wrapperIssNSC_4lessIsEEEEEE10hipError_tPvRmT0_T1_T2_T3_T4_T5_mmT6_P12ihipStream_tbEUlT_E0_NS1_11comp_targetILNS1_3genE9ELNS1_11target_archE1100ELNS1_3gpuE3ELNS1_3repE0EEENS1_30default_config_static_selectorELNS0_4arch9wavefront6targetE0EEEvS10_.num_named_barrier, 0
	.set _ZN7rocprim17ROCPRIM_400000_NS6detail17trampoline_kernelINS0_14default_configENS1_21merge_config_selectorINS0_5tupleIJssEEENS0_10empty_typeEEEZNS1_10merge_implIS3_NS0_12zip_iteratorINS5_IJN6thrust23THRUST_200600_302600_NS6detail15normal_iteratorINSC_10device_ptrIKsEEEESI_EEEEESK_NSA_INS5_IJNSE_INSF_IsEEEESM_EEEEEPS7_SP_SP_NSC_11hip_rocprim7__merge17predicate_wrapperIssNSC_4lessIsEEEEEE10hipError_tPvRmT0_T1_T2_T3_T4_T5_mmT6_P12ihipStream_tbEUlT_E0_NS1_11comp_targetILNS1_3genE9ELNS1_11target_archE1100ELNS1_3gpuE3ELNS1_3repE0EEENS1_30default_config_static_selectorELNS0_4arch9wavefront6targetE0EEEvS10_.private_seg_size, 0
	.set _ZN7rocprim17ROCPRIM_400000_NS6detail17trampoline_kernelINS0_14default_configENS1_21merge_config_selectorINS0_5tupleIJssEEENS0_10empty_typeEEEZNS1_10merge_implIS3_NS0_12zip_iteratorINS5_IJN6thrust23THRUST_200600_302600_NS6detail15normal_iteratorINSC_10device_ptrIKsEEEESI_EEEEESK_NSA_INS5_IJNSE_INSF_IsEEEESM_EEEEEPS7_SP_SP_NSC_11hip_rocprim7__merge17predicate_wrapperIssNSC_4lessIsEEEEEE10hipError_tPvRmT0_T1_T2_T3_T4_T5_mmT6_P12ihipStream_tbEUlT_E0_NS1_11comp_targetILNS1_3genE9ELNS1_11target_archE1100ELNS1_3gpuE3ELNS1_3repE0EEENS1_30default_config_static_selectorELNS0_4arch9wavefront6targetE0EEEvS10_.uses_vcc, 0
	.set _ZN7rocprim17ROCPRIM_400000_NS6detail17trampoline_kernelINS0_14default_configENS1_21merge_config_selectorINS0_5tupleIJssEEENS0_10empty_typeEEEZNS1_10merge_implIS3_NS0_12zip_iteratorINS5_IJN6thrust23THRUST_200600_302600_NS6detail15normal_iteratorINSC_10device_ptrIKsEEEESI_EEEEESK_NSA_INS5_IJNSE_INSF_IsEEEESM_EEEEEPS7_SP_SP_NSC_11hip_rocprim7__merge17predicate_wrapperIssNSC_4lessIsEEEEEE10hipError_tPvRmT0_T1_T2_T3_T4_T5_mmT6_P12ihipStream_tbEUlT_E0_NS1_11comp_targetILNS1_3genE9ELNS1_11target_archE1100ELNS1_3gpuE3ELNS1_3repE0EEENS1_30default_config_static_selectorELNS0_4arch9wavefront6targetE0EEEvS10_.uses_flat_scratch, 0
	.set _ZN7rocprim17ROCPRIM_400000_NS6detail17trampoline_kernelINS0_14default_configENS1_21merge_config_selectorINS0_5tupleIJssEEENS0_10empty_typeEEEZNS1_10merge_implIS3_NS0_12zip_iteratorINS5_IJN6thrust23THRUST_200600_302600_NS6detail15normal_iteratorINSC_10device_ptrIKsEEEESI_EEEEESK_NSA_INS5_IJNSE_INSF_IsEEEESM_EEEEEPS7_SP_SP_NSC_11hip_rocprim7__merge17predicate_wrapperIssNSC_4lessIsEEEEEE10hipError_tPvRmT0_T1_T2_T3_T4_T5_mmT6_P12ihipStream_tbEUlT_E0_NS1_11comp_targetILNS1_3genE9ELNS1_11target_archE1100ELNS1_3gpuE3ELNS1_3repE0EEENS1_30default_config_static_selectorELNS0_4arch9wavefront6targetE0EEEvS10_.has_dyn_sized_stack, 0
	.set _ZN7rocprim17ROCPRIM_400000_NS6detail17trampoline_kernelINS0_14default_configENS1_21merge_config_selectorINS0_5tupleIJssEEENS0_10empty_typeEEEZNS1_10merge_implIS3_NS0_12zip_iteratorINS5_IJN6thrust23THRUST_200600_302600_NS6detail15normal_iteratorINSC_10device_ptrIKsEEEESI_EEEEESK_NSA_INS5_IJNSE_INSF_IsEEEESM_EEEEEPS7_SP_SP_NSC_11hip_rocprim7__merge17predicate_wrapperIssNSC_4lessIsEEEEEE10hipError_tPvRmT0_T1_T2_T3_T4_T5_mmT6_P12ihipStream_tbEUlT_E0_NS1_11comp_targetILNS1_3genE9ELNS1_11target_archE1100ELNS1_3gpuE3ELNS1_3repE0EEENS1_30default_config_static_selectorELNS0_4arch9wavefront6targetE0EEEvS10_.has_recursion, 0
	.set _ZN7rocprim17ROCPRIM_400000_NS6detail17trampoline_kernelINS0_14default_configENS1_21merge_config_selectorINS0_5tupleIJssEEENS0_10empty_typeEEEZNS1_10merge_implIS3_NS0_12zip_iteratorINS5_IJN6thrust23THRUST_200600_302600_NS6detail15normal_iteratorINSC_10device_ptrIKsEEEESI_EEEEESK_NSA_INS5_IJNSE_INSF_IsEEEESM_EEEEEPS7_SP_SP_NSC_11hip_rocprim7__merge17predicate_wrapperIssNSC_4lessIsEEEEEE10hipError_tPvRmT0_T1_T2_T3_T4_T5_mmT6_P12ihipStream_tbEUlT_E0_NS1_11comp_targetILNS1_3genE9ELNS1_11target_archE1100ELNS1_3gpuE3ELNS1_3repE0EEENS1_30default_config_static_selectorELNS0_4arch9wavefront6targetE0EEEvS10_.has_indirect_call, 0
	.section	.AMDGPU.csdata,"",@progbits
; Kernel info:
; codeLenInByte = 0
; TotalNumSgprs: 0
; NumVgprs: 0
; ScratchSize: 0
; MemoryBound: 0
; FloatMode: 240
; IeeeMode: 1
; LDSByteSize: 0 bytes/workgroup (compile time only)
; SGPRBlocks: 0
; VGPRBlocks: 0
; NumSGPRsForWavesPerEU: 1
; NumVGPRsForWavesPerEU: 1
; Occupancy: 16
; WaveLimiterHint : 0
; COMPUTE_PGM_RSRC2:SCRATCH_EN: 0
; COMPUTE_PGM_RSRC2:USER_SGPR: 6
; COMPUTE_PGM_RSRC2:TRAP_HANDLER: 0
; COMPUTE_PGM_RSRC2:TGID_X_EN: 1
; COMPUTE_PGM_RSRC2:TGID_Y_EN: 0
; COMPUTE_PGM_RSRC2:TGID_Z_EN: 0
; COMPUTE_PGM_RSRC2:TIDIG_COMP_CNT: 0
	.section	.text._ZN7rocprim17ROCPRIM_400000_NS6detail17trampoline_kernelINS0_14default_configENS1_21merge_config_selectorINS0_5tupleIJssEEENS0_10empty_typeEEEZNS1_10merge_implIS3_NS0_12zip_iteratorINS5_IJN6thrust23THRUST_200600_302600_NS6detail15normal_iteratorINSC_10device_ptrIKsEEEESI_EEEEESK_NSA_INS5_IJNSE_INSF_IsEEEESM_EEEEEPS7_SP_SP_NSC_11hip_rocprim7__merge17predicate_wrapperIssNSC_4lessIsEEEEEE10hipError_tPvRmT0_T1_T2_T3_T4_T5_mmT6_P12ihipStream_tbEUlT_E0_NS1_11comp_targetILNS1_3genE8ELNS1_11target_archE1030ELNS1_3gpuE2ELNS1_3repE0EEENS1_30default_config_static_selectorELNS0_4arch9wavefront6targetE0EEEvS10_,"axG",@progbits,_ZN7rocprim17ROCPRIM_400000_NS6detail17trampoline_kernelINS0_14default_configENS1_21merge_config_selectorINS0_5tupleIJssEEENS0_10empty_typeEEEZNS1_10merge_implIS3_NS0_12zip_iteratorINS5_IJN6thrust23THRUST_200600_302600_NS6detail15normal_iteratorINSC_10device_ptrIKsEEEESI_EEEEESK_NSA_INS5_IJNSE_INSF_IsEEEESM_EEEEEPS7_SP_SP_NSC_11hip_rocprim7__merge17predicate_wrapperIssNSC_4lessIsEEEEEE10hipError_tPvRmT0_T1_T2_T3_T4_T5_mmT6_P12ihipStream_tbEUlT_E0_NS1_11comp_targetILNS1_3genE8ELNS1_11target_archE1030ELNS1_3gpuE2ELNS1_3repE0EEENS1_30default_config_static_selectorELNS0_4arch9wavefront6targetE0EEEvS10_,comdat
	.protected	_ZN7rocprim17ROCPRIM_400000_NS6detail17trampoline_kernelINS0_14default_configENS1_21merge_config_selectorINS0_5tupleIJssEEENS0_10empty_typeEEEZNS1_10merge_implIS3_NS0_12zip_iteratorINS5_IJN6thrust23THRUST_200600_302600_NS6detail15normal_iteratorINSC_10device_ptrIKsEEEESI_EEEEESK_NSA_INS5_IJNSE_INSF_IsEEEESM_EEEEEPS7_SP_SP_NSC_11hip_rocprim7__merge17predicate_wrapperIssNSC_4lessIsEEEEEE10hipError_tPvRmT0_T1_T2_T3_T4_T5_mmT6_P12ihipStream_tbEUlT_E0_NS1_11comp_targetILNS1_3genE8ELNS1_11target_archE1030ELNS1_3gpuE2ELNS1_3repE0EEENS1_30default_config_static_selectorELNS0_4arch9wavefront6targetE0EEEvS10_ ; -- Begin function _ZN7rocprim17ROCPRIM_400000_NS6detail17trampoline_kernelINS0_14default_configENS1_21merge_config_selectorINS0_5tupleIJssEEENS0_10empty_typeEEEZNS1_10merge_implIS3_NS0_12zip_iteratorINS5_IJN6thrust23THRUST_200600_302600_NS6detail15normal_iteratorINSC_10device_ptrIKsEEEESI_EEEEESK_NSA_INS5_IJNSE_INSF_IsEEEESM_EEEEEPS7_SP_SP_NSC_11hip_rocprim7__merge17predicate_wrapperIssNSC_4lessIsEEEEEE10hipError_tPvRmT0_T1_T2_T3_T4_T5_mmT6_P12ihipStream_tbEUlT_E0_NS1_11comp_targetILNS1_3genE8ELNS1_11target_archE1030ELNS1_3gpuE2ELNS1_3repE0EEENS1_30default_config_static_selectorELNS0_4arch9wavefront6targetE0EEEvS10_
	.globl	_ZN7rocprim17ROCPRIM_400000_NS6detail17trampoline_kernelINS0_14default_configENS1_21merge_config_selectorINS0_5tupleIJssEEENS0_10empty_typeEEEZNS1_10merge_implIS3_NS0_12zip_iteratorINS5_IJN6thrust23THRUST_200600_302600_NS6detail15normal_iteratorINSC_10device_ptrIKsEEEESI_EEEEESK_NSA_INS5_IJNSE_INSF_IsEEEESM_EEEEEPS7_SP_SP_NSC_11hip_rocprim7__merge17predicate_wrapperIssNSC_4lessIsEEEEEE10hipError_tPvRmT0_T1_T2_T3_T4_T5_mmT6_P12ihipStream_tbEUlT_E0_NS1_11comp_targetILNS1_3genE8ELNS1_11target_archE1030ELNS1_3gpuE2ELNS1_3repE0EEENS1_30default_config_static_selectorELNS0_4arch9wavefront6targetE0EEEvS10_
	.p2align	8
	.type	_ZN7rocprim17ROCPRIM_400000_NS6detail17trampoline_kernelINS0_14default_configENS1_21merge_config_selectorINS0_5tupleIJssEEENS0_10empty_typeEEEZNS1_10merge_implIS3_NS0_12zip_iteratorINS5_IJN6thrust23THRUST_200600_302600_NS6detail15normal_iteratorINSC_10device_ptrIKsEEEESI_EEEEESK_NSA_INS5_IJNSE_INSF_IsEEEESM_EEEEEPS7_SP_SP_NSC_11hip_rocprim7__merge17predicate_wrapperIssNSC_4lessIsEEEEEE10hipError_tPvRmT0_T1_T2_T3_T4_T5_mmT6_P12ihipStream_tbEUlT_E0_NS1_11comp_targetILNS1_3genE8ELNS1_11target_archE1030ELNS1_3gpuE2ELNS1_3repE0EEENS1_30default_config_static_selectorELNS0_4arch9wavefront6targetE0EEEvS10_,@function
_ZN7rocprim17ROCPRIM_400000_NS6detail17trampoline_kernelINS0_14default_configENS1_21merge_config_selectorINS0_5tupleIJssEEENS0_10empty_typeEEEZNS1_10merge_implIS3_NS0_12zip_iteratorINS5_IJN6thrust23THRUST_200600_302600_NS6detail15normal_iteratorINSC_10device_ptrIKsEEEESI_EEEEESK_NSA_INS5_IJNSE_INSF_IsEEEESM_EEEEEPS7_SP_SP_NSC_11hip_rocprim7__merge17predicate_wrapperIssNSC_4lessIsEEEEEE10hipError_tPvRmT0_T1_T2_T3_T4_T5_mmT6_P12ihipStream_tbEUlT_E0_NS1_11comp_targetILNS1_3genE8ELNS1_11target_archE1030ELNS1_3gpuE2ELNS1_3repE0EEENS1_30default_config_static_selectorELNS0_4arch9wavefront6targetE0EEEvS10_: ; @_ZN7rocprim17ROCPRIM_400000_NS6detail17trampoline_kernelINS0_14default_configENS1_21merge_config_selectorINS0_5tupleIJssEEENS0_10empty_typeEEEZNS1_10merge_implIS3_NS0_12zip_iteratorINS5_IJN6thrust23THRUST_200600_302600_NS6detail15normal_iteratorINSC_10device_ptrIKsEEEESI_EEEEESK_NSA_INS5_IJNSE_INSF_IsEEEESM_EEEEEPS7_SP_SP_NSC_11hip_rocprim7__merge17predicate_wrapperIssNSC_4lessIsEEEEEE10hipError_tPvRmT0_T1_T2_T3_T4_T5_mmT6_P12ihipStream_tbEUlT_E0_NS1_11comp_targetILNS1_3genE8ELNS1_11target_archE1030ELNS1_3gpuE2ELNS1_3repE0EEENS1_30default_config_static_selectorELNS0_4arch9wavefront6targetE0EEEvS10_
; %bb.0:
	s_clause 0x2
	s_load_dwordx4 s[0:3], s[4:5], 0x58
	s_load_dwordx8 s[8:15], s[4:5], 0x8
	s_load_dwordx4 s[16:19], s[4:5], 0x28
	s_mov_b32 s23, 0
	v_mov_b32_e32 v1, 0
	s_mov_b32 s25, s23
	s_waitcnt lgkmcnt(0)
	s_add_i32 s20, s2, s0
	s_add_i32 s0, s20, 0x1fff
	s_lshr_b32 s0, s0, 13
	s_min_u32 s1, s6, s0
	s_lshl_b32 s1, s1, 2
	s_load_dword s22, s[8:9], s1 offset:0x0
	s_add_i32 s1, s6, 1
	s_min_u32 s0, s1, s0
	s_lshl_b32 s0, s0, 2
	s_load_dword s9, s[8:9], s0 offset:0x0
	s_lshl_b32 s8, s6, 13
	s_add_i32 s0, s8, 0x2000
	s_min_u32 s21, s20, s0
	s_waitcnt lgkmcnt(0)
	s_lshl_b64 s[2:3], s[22:23], 1
	s_sub_i32 s24, s8, s22
	s_add_u32 s0, s10, s2
	s_addc_u32 s1, s11, s3
	s_add_u32 s2, s12, s2
	s_addc_u32 s3, s13, s3
	s_lshl_b64 s[10:11], s[24:25], 1
	s_add_u32 s6, s14, s10
	s_addc_u32 s7, s15, s11
	s_add_u32 s10, s16, s10
	s_addc_u32 s11, s17, s11
	s_add_i32 s12, s24, s9
	s_sub_i32 s9, s9, s22
	s_sub_i32 s14, s21, s12
	s_mov_b32 s15, exec_lo
	s_add_u32 s12, s14, s9
	s_addc_u32 s13, 0, 0
	v_cmpx_le_u32_e64 s9, v0
	s_xor_b32 s15, exec_lo, s15
	s_cbranch_execz .LBB297_4
; %bb.1:
	s_mov_b32 s16, exec_lo
	v_cmpx_gt_u64_e64 s[12:13], v[0:1]
	s_cbranch_execz .LBB297_3
; %bb.2:
	v_subrev_nc_u32_e32 v1, s9, v0
	v_lshlrev_b32_e32 v1, 1, v1
	s_clause 0x1
	global_load_ushort v2, v1, s[6:7]
	global_load_short_d16_hi v2, v1, s[10:11]
	v_lshlrev_b32_e32 v1, 2, v0
	s_waitcnt vmcnt(0)
	ds_write_b32 v1, v2
.LBB297_3:
	s_or_b32 exec_lo, exec_lo, s16
.LBB297_4:
	s_or_saveexec_b32 s15, s15
	v_lshlrev_b32_e32 v12, 1, v0
	v_lshlrev_b32_e32 v9, 2, v0
	s_xor_b32 exec_lo, exec_lo, s15
	s_cbranch_execz .LBB297_6
; %bb.5:
	s_clause 0x1
	global_load_ushort v1, v12, s[0:1]
	global_load_short_d16_hi v1, v12, s[2:3]
	s_waitcnt vmcnt(0)
	ds_write_b32 v9, v1
.LBB297_6:
	s_or_b32 exec_lo, exec_lo, s15
	v_or_b32_e32 v1, 0x400, v0
	v_mov_b32_e32 v2, 0
	s_mov_b32 s15, exec_lo
	v_cmpx_le_u32_e64 s9, v1
	s_xor_b32 s15, exec_lo, s15
	s_cbranch_execz .LBB297_10
; %bb.7:
	s_mov_b32 s16, exec_lo
	v_cmpx_gt_u64_e64 s[12:13], v[1:2]
	s_cbranch_execz .LBB297_9
; %bb.8:
	v_subrev_nc_u32_e32 v2, s9, v1
	v_lshlrev_b32_e32 v2, 1, v2
	s_clause 0x1
	global_load_ushort v3, v2, s[6:7]
	global_load_short_d16_hi v3, v2, s[10:11]
	s_waitcnt vmcnt(0)
	ds_write_b32 v9, v3 offset:4096
.LBB297_9:
	s_or_b32 exec_lo, exec_lo, s16
.LBB297_10:
	s_andn2_saveexec_b32 s15, s15
	s_cbranch_execz .LBB297_12
; %bb.11:
	v_lshlrev_b32_e32 v2, 1, v1
	s_clause 0x1
	global_load_ushort v3, v2, s[0:1]
	global_load_short_d16_hi v3, v2, s[2:3]
	s_waitcnt vmcnt(0)
	ds_write_b32 v9, v3 offset:4096
.LBB297_12:
	s_or_b32 exec_lo, exec_lo, s15
	v_or_b32_e32 v2, 0x800, v0
	v_mov_b32_e32 v3, 0
	s_mov_b32 s15, exec_lo
	v_cmpx_le_u32_e64 s9, v2
	s_xor_b32 s15, exec_lo, s15
	s_cbranch_execz .LBB297_16
; %bb.13:
	s_mov_b32 s16, exec_lo
	v_cmpx_gt_u64_e64 s[12:13], v[2:3]
	s_cbranch_execz .LBB297_15
; %bb.14:
	v_subrev_nc_u32_e32 v3, s9, v2
	v_lshlrev_b32_e32 v3, 1, v3
	s_clause 0x1
	global_load_ushort v4, v3, s[6:7]
	global_load_short_d16_hi v4, v3, s[10:11]
	s_waitcnt vmcnt(0)
	ds_write_b32 v9, v4 offset:8192
.LBB297_15:
	s_or_b32 exec_lo, exec_lo, s16
.LBB297_16:
	s_andn2_saveexec_b32 s15, s15
	s_cbranch_execz .LBB297_18
; %bb.17:
	v_lshlrev_b32_e32 v3, 1, v2
	s_clause 0x1
	global_load_ushort v4, v3, s[0:1]
	global_load_short_d16_hi v4, v3, s[2:3]
	s_waitcnt vmcnt(0)
	ds_write_b32 v9, v4 offset:8192
.LBB297_18:
	;; [unrolled: 32-line block ×6, first 2 shown]
	s_or_b32 exec_lo, exec_lo, s15
	v_or_b32_e32 v7, 0x1c00, v0
	v_mov_b32_e32 v8, 0
	s_mov_b32 s15, exec_lo
	v_cmpx_le_u32_e64 s9, v7
	s_xor_b32 s15, exec_lo, s15
	s_cbranch_execz .LBB297_46
; %bb.43:
	v_cmp_gt_u64_e32 vcc_lo, s[12:13], v[7:8]
	s_and_saveexec_b32 s12, vcc_lo
	s_cbranch_execz .LBB297_45
; %bb.44:
	v_subrev_nc_u32_e32 v8, s9, v7
	v_lshlrev_b32_e32 v8, 1, v8
	s_clause 0x1
	global_load_ushort v10, v8, s[6:7]
	global_load_short_d16_hi v10, v8, s[10:11]
	s_waitcnt vmcnt(0)
	ds_write_b32 v9, v10 offset:28672
.LBB297_45:
	s_or_b32 exec_lo, exec_lo, s12
.LBB297_46:
	s_or_saveexec_b32 s6, s15
	s_load_dwordx2 s[10:11], s[4:5], 0x38
	s_xor_b32 exec_lo, exec_lo, s6
	s_cbranch_execz .LBB297_48
; %bb.47:
	v_lshlrev_b32_e32 v8, 1, v7
	s_clause 0x1
	global_load_ushort v10, v8, s[0:1]
	global_load_short_d16_hi v10, v8, s[2:3]
	s_waitcnt vmcnt(0)
	ds_write_b32 v9, v10 offset:28672
.LBB297_48:
	s_or_b32 exec_lo, exec_lo, s6
	v_lshlrev_b32_e32 v8, 3, v0
	s_mov_b32 s0, exec_lo
	s_waitcnt lgkmcnt(0)
	s_barrier
	buffer_gl0_inv
	v_sub_nc_u32_e64 v15, v8, s14 clamp
	v_min_u32_e32 v10, s9, v8
	v_cmpx_lt_u32_e64 v15, v10
	s_cbranch_execz .LBB297_52
; %bb.49:
	v_lshlrev_b32_e32 v11, 2, v8
	s_mov_b32 s1, 0
	v_lshl_add_u32 v11, s9, 2, v11
	.p2align	6
.LBB297_50:                             ; =>This Inner Loop Header: Depth=1
	v_add_nc_u32_e32 v13, v10, v15
	v_lshrrev_b32_e32 v13, 1, v13
	v_not_b32_e32 v14, v13
	v_lshlrev_b32_e32 v16, 2, v13
	v_add_nc_u32_e32 v17, 1, v13
	v_lshl_add_u32 v14, v14, 2, v11
	ds_read_b32 v16, v16
	ds_read_b32 v14, v14
	s_waitcnt lgkmcnt(0)
	v_cmp_lt_i16_e32 vcc_lo, v14, v16
	v_cndmask_b32_e32 v10, v10, v13, vcc_lo
	v_cndmask_b32_e32 v15, v17, v15, vcc_lo
	v_cmp_ge_u32_e32 vcc_lo, v15, v10
	s_or_b32 s1, vcc_lo, s1
	s_andn2_b32 exec_lo, exec_lo, s1
	s_cbranch_execnz .LBB297_50
; %bb.51:
	s_or_b32 exec_lo, exec_lo, s1
.LBB297_52:
	s_or_b32 exec_lo, exec_lo, s0
	v_add_nc_u32_e32 v11, s9, v8
	s_add_i32 s14, s14, s9
	v_cmp_ge_u32_e32 vcc_lo, s9, v15
	v_mov_b32_e32 v10, 0
	v_mov_b32_e32 v13, 0
	v_sub_nc_u32_e32 v16, v11, v15
	v_mov_b32_e32 v11, 0
	v_mov_b32_e32 v18, 0
	;; [unrolled: 1-line block ×4, first 2 shown]
	v_cmp_ge_u32_e64 s0, s14, v16
	v_mov_b32_e32 v21, 0
	v_mov_b32_e32 v22, 0
	s_or_b32 s0, vcc_lo, s0
	s_and_saveexec_b32 s7, s0
	s_cbranch_execz .LBB297_58
; %bb.53:
	v_cmp_gt_u32_e32 vcc_lo, s9, v15
	v_mov_b32_e32 v10, 0
	v_mov_b32_e32 v13, 0
	;; [unrolled: 1-line block ×3, first 2 shown]
	s_and_saveexec_b32 s0, vcc_lo
	s_cbranch_execz .LBB297_55
; %bb.54:
	v_lshlrev_b32_e32 v11, 2, v15
	ds_read_b32 v13, v11
	s_waitcnt lgkmcnt(0)
	v_lshrrev_b32_e32 v11, 16, v13
.LBB297_55:
	s_or_b32 exec_lo, exec_lo, s0
	v_cmp_le_u32_e64 s0, s14, v16
	v_mov_b32_e32 v14, 0
	s_mov_b32 s2, exec_lo
	v_cmpx_gt_u32_e64 s14, v16
	s_cbranch_execz .LBB297_57
; %bb.56:
	v_lshlrev_b32_e32 v10, 2, v16
	ds_read_b32 v10, v10
	s_waitcnt lgkmcnt(0)
	v_lshrrev_b32_e32 v14, 16, v10
.LBB297_57:
	s_or_b32 exec_lo, exec_lo, s2
	v_cmp_ge_i16_e64 s1, v10, v13
	v_mov_b32_e32 v17, s9
	v_lshlrev_b32_e32 v35, 16, v11
	v_lshlrev_b32_e32 v36, 16, v14
	s_and_b32 s1, vcc_lo, s1
	s_or_b32 vcc_lo, s0, s1
	v_cndmask_b32_e32 v18, v16, v15, vcc_lo
	v_cndmask_b32_e32 v19, s14, v17, vcc_lo
	v_add_nc_u32_e32 v18, 1, v18
	v_add_nc_u32_e32 v19, -1, v19
	v_cndmask_b32_e32 v15, v15, v18, vcc_lo
	v_min_u32_e32 v19, v18, v19
	v_cndmask_b32_e32 v16, v18, v16, vcc_lo
	v_cmp_gt_u32_e64 s0, s9, v15
	v_lshlrev_b32_e32 v19, 2, v19
	v_cmp_le_u32_e64 s2, s14, v16
	ds_read_b32 v19, v19
	s_waitcnt lgkmcnt(0)
	v_cndmask_b32_e32 v20, v19, v10, vcc_lo
	v_cndmask_b32_e32 v21, v13, v19, vcc_lo
	v_or_b32_sdwa v13, v35, v13 dst_sel:DWORD dst_unused:UNUSED_PAD src0_sel:DWORD src1_sel:WORD_0
	v_or_b32_sdwa v10, v36, v10 dst_sel:DWORD dst_unused:UNUSED_PAD src0_sel:DWORD src1_sel:WORD_0
	v_lshrrev_b32_e32 v19, 16, v19
	v_cmp_ge_i16_e64 s1, v20, v21
	v_cndmask_b32_e32 v10, v10, v13, vcc_lo
	v_cndmask_b32_e32 v13, v19, v14, vcc_lo
	;; [unrolled: 1-line block ×3, first 2 shown]
	s_and_b32 s0, s0, s1
	s_or_b32 s0, s2, s0
	v_cndmask_b32_e64 v18, v16, v15, s0
	v_cndmask_b32_e64 v22, s14, v17, s0
	v_lshlrev_b32_e32 v19, 16, v11
	v_add_nc_u32_e32 v18, 1, v18
	v_add_nc_u32_e32 v22, -1, v22
	v_or_b32_sdwa v19, v19, v21 dst_sel:DWORD dst_unused:UNUSED_PAD src0_sel:DWORD src1_sel:WORD_0
	v_cndmask_b32_e64 v15, v15, v18, s0
	v_min_u32_e32 v22, v18, v22
	v_cndmask_b32_e64 v16, v18, v16, s0
	v_cmp_gt_u32_e64 s1, s9, v15
	v_lshlrev_b32_e32 v22, 2, v22
	v_cmp_le_u32_e64 s3, s14, v16
	ds_read_b32 v22, v22
	s_waitcnt lgkmcnt(0)
	v_cndmask_b32_e64 v23, v22, v20, s0
	v_cndmask_b32_e64 v24, v21, v22, s0
	v_cmp_ge_i16_e64 s2, v23, v24
	s_and_b32 s1, s1, s2
	s_or_b32 s1, s3, s1
	v_cndmask_b32_e64 v18, v16, v15, s1
	v_cndmask_b32_e64 v25, s14, v17, s1
	v_add_nc_u32_e32 v18, 1, v18
	v_add_nc_u32_e32 v25, -1, v25
	v_cndmask_b32_e64 v15, v15, v18, s1
	v_min_u32_e32 v25, v18, v25
	v_cndmask_b32_e64 v16, v18, v16, s1
	v_cmp_gt_u32_e64 s2, s9, v15
	v_lshlrev_b32_e32 v25, 2, v25
	v_cmp_le_u32_e64 s4, s14, v16
	ds_read_b32 v25, v25
	s_waitcnt lgkmcnt(0)
	v_cndmask_b32_e64 v26, v25, v23, s1
	v_cndmask_b32_e64 v27, v24, v25, s1
	v_lshrrev_b32_e32 v25, 16, v25
	v_cmp_ge_i16_e64 s3, v26, v27
	s_and_b32 s2, s2, s3
	s_or_b32 s2, s4, s2
	v_cndmask_b32_e64 v18, v16, v15, s2
	v_cndmask_b32_e64 v28, s14, v17, s2
	v_add_nc_u32_e32 v18, 1, v18
	v_add_nc_u32_e32 v28, -1, v28
	v_cndmask_b32_e64 v15, v15, v18, s2
	v_min_u32_e32 v28, v18, v28
	v_cndmask_b32_e64 v16, v18, v16, s2
	v_cmp_gt_u32_e64 s3, s9, v15
	v_lshlrev_b32_e32 v28, 2, v28
	v_cmp_le_u32_e64 s5, s14, v16
	ds_read_b32 v28, v28
	s_waitcnt lgkmcnt(0)
	v_cndmask_b32_e64 v29, v28, v26, s2
	v_cndmask_b32_e64 v30, v27, v28, s2
	v_cmp_ge_i16_e64 s4, v29, v30
	s_and_b32 s3, s3, s4
	s_or_b32 s3, s5, s3
	v_cndmask_b32_e64 v18, v16, v15, s3
	v_cndmask_b32_e64 v31, s14, v17, s3
	v_add_nc_u32_e32 v18, 1, v18
	v_add_nc_u32_e32 v31, -1, v31
	v_cndmask_b32_e64 v15, v15, v18, s3
	v_min_u32_e32 v31, v18, v31
	v_cndmask_b32_e64 v16, v18, v16, s3
	v_cmp_gt_u32_e64 s4, s9, v15
	v_lshlrev_b32_e32 v31, 2, v31
	v_cmp_le_u32_e64 s6, s14, v16
	ds_read_b32 v31, v31
	s_waitcnt lgkmcnt(0)
	v_cndmask_b32_e64 v32, v31, v29, s3
	v_cndmask_b32_e64 v33, v30, v31, s3
	v_cmp_ge_i16_e64 s5, v32, v33
	s_and_b32 s4, s4, s5
	s_or_b32 s4, s6, s4
	v_cndmask_b32_e64 v18, v16, v15, s4
	v_cndmask_b32_e64 v34, s14, v17, s4
	v_add_nc_u32_e32 v18, 1, v18
	v_add_nc_u32_e32 v34, -1, v34
	v_cndmask_b32_e64 v14, v15, v18, s4
	v_min_u32_e32 v34, v18, v34
	v_cndmask_b32_e64 v16, v18, v16, s4
	v_lshrrev_b32_e32 v18, 16, v22
	v_lshlrev_b32_e32 v22, 16, v13
	v_cmp_gt_u32_e32 vcc_lo, s9, v14
	v_lshlrev_b32_e32 v34, 2, v34
	v_cmp_le_u32_e64 s6, s14, v16
	v_cndmask_b32_e64 v13, v18, v13, s0
	v_cndmask_b32_e64 v18, v11, v18, s0
	v_or_b32_sdwa v20, v22, v20 dst_sel:DWORD dst_unused:UNUSED_PAD src0_sel:DWORD src1_sel:WORD_0
	ds_read_b32 v34, v34
	v_lshlrev_b32_e32 v22, 16, v13
	v_lshlrev_b32_e32 v21, 16, v18
	v_cndmask_b32_e64 v18, v18, v25, s1
	s_waitcnt lgkmcnt(0)
	v_cndmask_b32_e64 v15, v34, v32, s4
	v_cndmask_b32_e64 v35, v33, v34, s4
	v_cmp_ge_i16_e64 s5, v15, v35
	s_and_b32 s5, vcc_lo, s5
	s_or_b32 vcc_lo, s6, s5
	v_cndmask_b32_e32 v11, v16, v14, vcc_lo
	v_cndmask_b32_e32 v17, s14, v17, vcc_lo
	v_add_nc_u32_e32 v36, 1, v11
	v_add_nc_u32_e32 v17, -1, v17
	v_cndmask_b32_e64 v11, v20, v19, s0
	v_or_b32_sdwa v19, v21, v24 dst_sel:DWORD dst_unused:UNUSED_PAD src0_sel:DWORD src1_sel:WORD_0
	v_or_b32_sdwa v20, v22, v23 dst_sel:DWORD dst_unused:UNUSED_PAD src0_sel:DWORD src1_sel:WORD_0
	v_cndmask_b32_e64 v21, v25, v13, s1
	v_min_u32_e32 v17, v36, v17
	v_lshrrev_b32_e32 v22, 16, v28
	v_cndmask_b32_e32 v14, v14, v36, vcc_lo
	v_cndmask_b32_e64 v13, v20, v19, s1
	v_lshlrev_b32_e32 v19, 16, v18
	v_lshlrev_b32_e32 v17, 2, v17
	;; [unrolled: 1-line block ×3, first 2 shown]
	v_cndmask_b32_e64 v21, v22, v21, s2
	v_cndmask_b32_e64 v18, v18, v22, s2
	v_lshrrev_b32_e32 v22, 16, v31
	ds_read_b32 v17, v17
	v_or_b32_sdwa v20, v20, v26 dst_sel:DWORD dst_unused:UNUSED_PAD src0_sel:DWORD src1_sel:WORD_0
	v_lshlrev_b32_e32 v24, 16, v21
	v_lshlrev_b32_e32 v23, 16, v18
	v_lshrrev_b32_e32 v26, 16, v34
	v_cndmask_b32_e64 v21, v22, v21, s3
	v_or_b32_sdwa v19, v19, v27 dst_sel:DWORD dst_unused:UNUSED_PAD src0_sel:DWORD src1_sel:WORD_0
	v_cndmask_b32_e64 v25, v18, v22, s3
	v_or_b32_sdwa v22, v23, v30 dst_sel:DWORD dst_unused:UNUSED_PAD src0_sel:DWORD src1_sel:WORD_0
	v_or_b32_sdwa v23, v24, v29 dst_sel:DWORD dst_unused:UNUSED_PAD src0_sel:DWORD src1_sel:WORD_0
	v_cndmask_b32_e64 v24, v26, v21, s4
	v_cndmask_b32_e64 v18, v20, v19, s2
	;; [unrolled: 1-line block ×3, first 2 shown]
	v_lshlrev_b32_e32 v25, 16, v25
	v_cndmask_b32_e64 v19, v23, v22, s3
	v_lshlrev_b32_e32 v23, 16, v24
	v_lshlrev_b32_e32 v21, 16, v21
	;; [unrolled: 1-line block ×3, first 2 shown]
	v_cndmask_b32_e32 v16, v36, v16, vcc_lo
	v_cmp_gt_u32_e64 s0, s9, v14
	s_waitcnt lgkmcnt(0)
	v_lshrrev_b32_e32 v26, 16, v17
	v_or_b32_sdwa v23, v23, v15 dst_sel:DWORD dst_unused:UNUSED_PAD src0_sel:DWORD src1_sel:WORD_0
	v_cndmask_b32_e32 v15, v17, v15, vcc_lo
	v_cndmask_b32_e32 v17, v35, v17, vcc_lo
	v_or_b32_sdwa v25, v25, v33 dst_sel:DWORD dst_unused:UNUSED_PAD src0_sel:DWORD src1_sel:WORD_0
	v_cndmask_b32_e32 v20, v20, v26, vcc_lo
	v_cndmask_b32_e32 v24, v26, v24, vcc_lo
	v_or_b32_sdwa v21, v21, v32 dst_sel:DWORD dst_unused:UNUSED_PAD src0_sel:DWORD src1_sel:WORD_0
	v_cmp_ge_i16_e64 s1, v15, v17
	v_or_b32_sdwa v22, v22, v35 dst_sel:DWORD dst_unused:UNUSED_PAD src0_sel:DWORD src1_sel:WORD_0
	v_lshlrev_b32_e32 v20, 16, v20
	v_lshlrev_b32_e32 v24, 16, v24
	v_cmp_le_u32_e64 s2, s14, v16
	s_and_b32 s0, s0, s1
	v_or_b32_sdwa v14, v20, v17 dst_sel:DWORD dst_unused:UNUSED_PAD src0_sel:DWORD src1_sel:WORD_0
	v_or_b32_sdwa v15, v24, v15 dst_sel:DWORD dst_unused:UNUSED_PAD src0_sel:DWORD src1_sel:WORD_0
	v_cndmask_b32_e64 v20, v21, v25, s4
	v_cndmask_b32_e32 v21, v23, v22, vcc_lo
	s_or_b32 vcc_lo, s2, s0
	v_cndmask_b32_e32 v22, v15, v14, vcc_lo
.LBB297_58:
	s_or_b32 exec_lo, exec_lo, s7
	v_and_b32_e32 v14, 0x3fc, v0
	s_mov_b32 s9, 0
	s_sub_i32 s4, s20, s8
	s_lshl_b64 s[2:3], s[8:9], 1
	v_lshl_add_u32 v23, v8, 2, v14
	s_add_u32 s0, s18, s2
	s_addc_u32 s1, s19, s3
	s_barrier
	buffer_gl0_inv
	ds_write2_b32 v23, v10, v11 offset1:1
	v_lshrrev_b32_e32 v17, 3, v1
	v_lshrrev_b32_e32 v16, 3, v2
	;; [unrolled: 1-line block ×7, first 2 shown]
	s_add_u32 s2, s10, s2
	s_addc_u32 s3, s11, s3
	s_cmpk_gt_u32 s4, 0x1fff
	ds_write2_b32 v23, v13, v18 offset0:2 offset1:3
	ds_write2_b32 v23, v19, v20 offset0:4 offset1:5
	;; [unrolled: 1-line block ×3, first 2 shown]
	s_waitcnt lgkmcnt(0)
	s_cbranch_scc0 .LBB297_60
; %bb.59:
	v_lshrrev_b32_e32 v13, 3, v0
	v_and_b32_e32 v18, 0xfc, v17
	v_and_b32_e32 v19, 0x1fc, v16
	;; [unrolled: 1-line block ×6, first 2 shown]
	s_barrier
	buffer_gl0_inv
	v_and_b32_e32 v23, 0x3fc, v10
	v_add_nc_u32_e32 v13, v13, v9
	v_and_b32_e32 v24, 0x3fc, v8
	v_add_co_u32 v26, s5, s0, v12
	v_add_co_ci_u32_e64 v27, null, s1, 0, s5
	ds_read_b32 v25, v13
	v_add_nc_u32_e32 v13, v18, v9
	v_add_nc_u32_e32 v18, v19, v9
	;; [unrolled: 1-line block ×7, first 2 shown]
	ds_read_b32 v24, v13 offset:4096
	ds_read_b32 v30, v18 offset:8192
	;; [unrolled: 1-line block ×7, first 2 shown]
	v_add_co_u32 v28, s5, s2, v12
	v_add_co_ci_u32_e64 v29, null, s3, 0, s5
	v_add_co_u32 v18, vcc_lo, v26, 0x1000
	v_add_co_ci_u32_e64 v19, null, 0, v27, vcc_lo
	v_add_co_u32 v20, vcc_lo, v28, 0x1000
	v_add_co_ci_u32_e64 v21, null, 0, v29, vcc_lo
	;; [unrolled: 2-line block ×3, first 2 shown]
	s_waitcnt lgkmcnt(7)
	global_store_short v12, v25, s[0:1]
	global_store_short_d16_hi v12, v25, s[2:3]
	s_waitcnt lgkmcnt(6)
	global_store_short v[18:19], v24, off offset:-2048
	global_store_short_d16_hi v[20:21], v24, off offset:-2048
	s_waitcnt lgkmcnt(5)
	global_store_short v[18:19], v30, off
	global_store_short_d16_hi v[20:21], v30, off
	s_waitcnt lgkmcnt(4)
	global_store_short v[22:23], v31, off offset:-2048
	v_add_co_u32 v18, vcc_lo, v28, 0x2000
	v_add_co_ci_u32_e64 v19, null, 0, v29, vcc_lo
	v_add_co_u32 v20, vcc_lo, v26, 0x3000
	v_add_co_ci_u32_e64 v21, null, 0, v27, vcc_lo
	;; [unrolled: 2-line block ×3, first 2 shown]
	global_store_short_d16_hi v[18:19], v31, off offset:-2048
	s_waitcnt lgkmcnt(3)
	global_store_short v[22:23], v32, off
	global_store_short_d16_hi v[18:19], v32, off
	s_waitcnt lgkmcnt(2)
	global_store_short v[20:21], v33, off offset:-2048
	global_store_short_d16_hi v[24:25], v33, off offset:-2048
	s_waitcnt lgkmcnt(1)
	global_store_short v[20:21], v34, off
	s_mov_b32 s9, -1
	global_store_short_d16_hi v[24:25], v34, off
	s_cbranch_execz .LBB297_61
	s_branch .LBB297_70
.LBB297_60:
                                        ; implicit-def: $vgpr13
.LBB297_61:
	s_waitcnt lgkmcnt(0)
	v_and_b32_e32 v13, 0xfc, v17
	v_and_b32_e32 v16, 0x1fc, v16
	;; [unrolled: 1-line block ×5, first 2 shown]
	v_add_nc_u32_e32 v13, v13, v9
	v_and_b32_e32 v10, 0x3fc, v10
	v_and_b32_e32 v8, 0x3fc, v8
	v_add_nc_u32_e32 v16, v16, v9
	v_add_nc_u32_e32 v15, v15, v9
	;; [unrolled: 1-line block ×4, first 2 shown]
	s_barrier
	s_waitcnt_vscnt null, 0x0
	buffer_gl0_inv
	v_add_nc_u32_e32 v10, v10, v9
	v_add_nc_u32_e32 v8, v8, v9
	ds_read_b32 v19, v13 offset:4096
	ds_read_b32 v18, v16 offset:8192
	;; [unrolled: 1-line block ×7, first 2 shown]
	v_add_co_u32 v10, s5, s0, v12
	v_add_co_ci_u32_e64 v11, null, s1, 0, s5
	v_add_co_u32 v8, s5, s2, v12
	v_add_co_ci_u32_e64 v9, null, s3, 0, s5
	s_mov_b32 s5, exec_lo
	v_cmpx_gt_u32_e64 s4, v0
	s_cbranch_execnz .LBB297_73
; %bb.62:
	s_or_b32 exec_lo, exec_lo, s5
	s_mov_b32 s5, exec_lo
	v_cmpx_gt_u32_e64 s4, v1
	s_cbranch_execnz .LBB297_74
.LBB297_63:
	s_or_b32 exec_lo, exec_lo, s5
	s_mov_b32 s5, exec_lo
	v_cmpx_gt_u32_e64 s4, v2
	s_cbranch_execnz .LBB297_75
.LBB297_64:
	s_or_b32 exec_lo, exec_lo, s5
	s_mov_b32 s5, exec_lo
	v_cmpx_gt_u32_e64 s4, v3
	s_cbranch_execnz .LBB297_76
.LBB297_65:
	s_or_b32 exec_lo, exec_lo, s5
	s_mov_b32 s5, exec_lo
	v_cmpx_gt_u32_e64 s4, v4
	s_cbranch_execnz .LBB297_77
.LBB297_66:
	s_or_b32 exec_lo, exec_lo, s5
	s_mov_b32 s5, exec_lo
	v_cmpx_gt_u32_e64 s4, v5
	s_cbranch_execnz .LBB297_78
.LBB297_67:
	s_or_b32 exec_lo, exec_lo, s5
	s_mov_b32 s5, exec_lo
	v_cmpx_gt_u32_e64 s4, v6
	s_cbranch_execz .LBB297_69
.LBB297_68:
	v_add_co_u32 v0, vcc_lo, 0x3000, v10
	v_add_co_ci_u32_e64 v1, null, 0, v11, vcc_lo
	v_add_co_u32 v2, vcc_lo, 0x3000, v8
	v_add_co_ci_u32_e64 v3, null, 0, v9, vcc_lo
	s_waitcnt lgkmcnt(1)
	global_store_short v[0:1], v14, off
	global_store_short_d16_hi v[2:3], v14, off
.LBB297_69:
	s_or_b32 exec_lo, exec_lo, s5
	v_cmp_gt_u32_e64 s9, s4, v7
.LBB297_70:
	s_and_saveexec_b32 s4, s9
	s_cbranch_execnz .LBB297_72
; %bb.71:
	s_endpgm
.LBB297_72:
	v_add_co_u32 v0, s0, s0, v12
	v_add_co_ci_u32_e64 v1, null, s1, 0, s0
	v_add_co_u32 v2, s0, s2, v12
	v_add_co_ci_u32_e64 v3, null, s3, 0, s0
	v_add_co_u32 v0, vcc_lo, 0x3800, v0
	v_add_co_ci_u32_e64 v1, null, 0, v1, vcc_lo
	v_add_co_u32 v2, vcc_lo, 0x3800, v2
	v_add_co_ci_u32_e64 v3, null, 0, v3, vcc_lo
	s_waitcnt lgkmcnt(0)
	global_store_short v[0:1], v13, off
	global_store_short_d16_hi v[2:3], v13, off
	s_endpgm
.LBB297_73:
	v_lshrrev_b32_e32 v20, 3, v0
	v_and_b32_e32 v20, 0x7c, v20
	v_lshl_add_u32 v0, v0, 2, v20
	ds_read_b32 v0, v0
	s_waitcnt lgkmcnt(0)
	global_store_short v[10:11], v0, off
	global_store_short_d16_hi v[8:9], v0, off
	s_or_b32 exec_lo, exec_lo, s5
	s_mov_b32 s5, exec_lo
	v_cmpx_gt_u32_e64 s4, v1
	s_cbranch_execz .LBB297_63
.LBB297_74:
	v_add_co_u32 v0, vcc_lo, 0x800, v10
	v_add_co_ci_u32_e64 v1, null, 0, v11, vcc_lo
	v_add_co_u32 v20, vcc_lo, 0x800, v8
	v_add_co_ci_u32_e64 v21, null, 0, v9, vcc_lo
	s_waitcnt lgkmcnt(6)
	global_store_short v[0:1], v19, off
	global_store_short_d16_hi v[20:21], v19, off
	s_or_b32 exec_lo, exec_lo, s5
	s_mov_b32 s5, exec_lo
	v_cmpx_gt_u32_e64 s4, v2
	s_cbranch_execz .LBB297_64
.LBB297_75:
	v_add_co_u32 v0, vcc_lo, 0x1000, v10
	v_add_co_ci_u32_e64 v1, null, 0, v11, vcc_lo
	s_waitcnt lgkmcnt(6)
	v_add_co_u32 v19, vcc_lo, 0x1000, v8
	v_add_co_ci_u32_e64 v20, null, 0, v9, vcc_lo
	s_waitcnt lgkmcnt(5)
	global_store_short v[0:1], v18, off
	global_store_short_d16_hi v[19:20], v18, off
	s_or_b32 exec_lo, exec_lo, s5
	s_mov_b32 s5, exec_lo
	v_cmpx_gt_u32_e64 s4, v3
	s_cbranch_execz .LBB297_65
.LBB297_76:
	v_add_co_u32 v0, vcc_lo, 0x1800, v10
	v_add_co_ci_u32_e64 v1, null, 0, v11, vcc_lo
	v_add_co_u32 v2, vcc_lo, 0x1800, v8
	v_add_co_ci_u32_e64 v3, null, 0, v9, vcc_lo
	s_waitcnt lgkmcnt(4)
	global_store_short v[0:1], v17, off
	global_store_short_d16_hi v[2:3], v17, off
	s_or_b32 exec_lo, exec_lo, s5
	s_mov_b32 s5, exec_lo
	v_cmpx_gt_u32_e64 s4, v4
	s_cbranch_execz .LBB297_66
.LBB297_77:
	v_add_co_u32 v0, vcc_lo, 0x2000, v10
	v_add_co_ci_u32_e64 v1, null, 0, v11, vcc_lo
	v_add_co_u32 v2, vcc_lo, 0x2000, v8
	v_add_co_ci_u32_e64 v3, null, 0, v9, vcc_lo
	s_waitcnt lgkmcnt(3)
	global_store_short v[0:1], v16, off
	global_store_short_d16_hi v[2:3], v16, off
	s_or_b32 exec_lo, exec_lo, s5
	s_mov_b32 s5, exec_lo
	v_cmpx_gt_u32_e64 s4, v5
	s_cbranch_execz .LBB297_67
.LBB297_78:
	v_add_co_u32 v0, vcc_lo, 0x2800, v10
	v_add_co_ci_u32_e64 v1, null, 0, v11, vcc_lo
	v_add_co_u32 v2, vcc_lo, 0x2800, v8
	v_add_co_ci_u32_e64 v3, null, 0, v9, vcc_lo
	s_waitcnt lgkmcnt(2)
	global_store_short v[0:1], v15, off
	global_store_short_d16_hi v[2:3], v15, off
	s_or_b32 exec_lo, exec_lo, s5
	s_mov_b32 s5, exec_lo
	v_cmpx_gt_u32_e64 s4, v6
	s_cbranch_execnz .LBB297_68
	s_branch .LBB297_69
	.section	.rodata,"a",@progbits
	.p2align	6, 0x0
	.amdhsa_kernel _ZN7rocprim17ROCPRIM_400000_NS6detail17trampoline_kernelINS0_14default_configENS1_21merge_config_selectorINS0_5tupleIJssEEENS0_10empty_typeEEEZNS1_10merge_implIS3_NS0_12zip_iteratorINS5_IJN6thrust23THRUST_200600_302600_NS6detail15normal_iteratorINSC_10device_ptrIKsEEEESI_EEEEESK_NSA_INS5_IJNSE_INSF_IsEEEESM_EEEEEPS7_SP_SP_NSC_11hip_rocprim7__merge17predicate_wrapperIssNSC_4lessIsEEEEEE10hipError_tPvRmT0_T1_T2_T3_T4_T5_mmT6_P12ihipStream_tbEUlT_E0_NS1_11comp_targetILNS1_3genE8ELNS1_11target_archE1030ELNS1_3gpuE2ELNS1_3repE0EEENS1_30default_config_static_selectorELNS0_4arch9wavefront6targetE0EEEvS10_
		.amdhsa_group_segment_fixed_size 33792
		.amdhsa_private_segment_fixed_size 0
		.amdhsa_kernarg_size 112
		.amdhsa_user_sgpr_count 6
		.amdhsa_user_sgpr_private_segment_buffer 1
		.amdhsa_user_sgpr_dispatch_ptr 0
		.amdhsa_user_sgpr_queue_ptr 0
		.amdhsa_user_sgpr_kernarg_segment_ptr 1
		.amdhsa_user_sgpr_dispatch_id 0
		.amdhsa_user_sgpr_flat_scratch_init 0
		.amdhsa_user_sgpr_private_segment_size 0
		.amdhsa_wavefront_size32 1
		.amdhsa_uses_dynamic_stack 0
		.amdhsa_system_sgpr_private_segment_wavefront_offset 0
		.amdhsa_system_sgpr_workgroup_id_x 1
		.amdhsa_system_sgpr_workgroup_id_y 0
		.amdhsa_system_sgpr_workgroup_id_z 0
		.amdhsa_system_sgpr_workgroup_info 0
		.amdhsa_system_vgpr_workitem_id 0
		.amdhsa_next_free_vgpr 37
		.amdhsa_next_free_sgpr 26
		.amdhsa_reserve_vcc 1
		.amdhsa_reserve_flat_scratch 0
		.amdhsa_float_round_mode_32 0
		.amdhsa_float_round_mode_16_64 0
		.amdhsa_float_denorm_mode_32 3
		.amdhsa_float_denorm_mode_16_64 3
		.amdhsa_dx10_clamp 1
		.amdhsa_ieee_mode 1
		.amdhsa_fp16_overflow 0
		.amdhsa_workgroup_processor_mode 1
		.amdhsa_memory_ordered 1
		.amdhsa_forward_progress 1
		.amdhsa_shared_vgpr_count 0
		.amdhsa_exception_fp_ieee_invalid_op 0
		.amdhsa_exception_fp_denorm_src 0
		.amdhsa_exception_fp_ieee_div_zero 0
		.amdhsa_exception_fp_ieee_overflow 0
		.amdhsa_exception_fp_ieee_underflow 0
		.amdhsa_exception_fp_ieee_inexact 0
		.amdhsa_exception_int_div_zero 0
	.end_amdhsa_kernel
	.section	.text._ZN7rocprim17ROCPRIM_400000_NS6detail17trampoline_kernelINS0_14default_configENS1_21merge_config_selectorINS0_5tupleIJssEEENS0_10empty_typeEEEZNS1_10merge_implIS3_NS0_12zip_iteratorINS5_IJN6thrust23THRUST_200600_302600_NS6detail15normal_iteratorINSC_10device_ptrIKsEEEESI_EEEEESK_NSA_INS5_IJNSE_INSF_IsEEEESM_EEEEEPS7_SP_SP_NSC_11hip_rocprim7__merge17predicate_wrapperIssNSC_4lessIsEEEEEE10hipError_tPvRmT0_T1_T2_T3_T4_T5_mmT6_P12ihipStream_tbEUlT_E0_NS1_11comp_targetILNS1_3genE8ELNS1_11target_archE1030ELNS1_3gpuE2ELNS1_3repE0EEENS1_30default_config_static_selectorELNS0_4arch9wavefront6targetE0EEEvS10_,"axG",@progbits,_ZN7rocprim17ROCPRIM_400000_NS6detail17trampoline_kernelINS0_14default_configENS1_21merge_config_selectorINS0_5tupleIJssEEENS0_10empty_typeEEEZNS1_10merge_implIS3_NS0_12zip_iteratorINS5_IJN6thrust23THRUST_200600_302600_NS6detail15normal_iteratorINSC_10device_ptrIKsEEEESI_EEEEESK_NSA_INS5_IJNSE_INSF_IsEEEESM_EEEEEPS7_SP_SP_NSC_11hip_rocprim7__merge17predicate_wrapperIssNSC_4lessIsEEEEEE10hipError_tPvRmT0_T1_T2_T3_T4_T5_mmT6_P12ihipStream_tbEUlT_E0_NS1_11comp_targetILNS1_3genE8ELNS1_11target_archE1030ELNS1_3gpuE2ELNS1_3repE0EEENS1_30default_config_static_selectorELNS0_4arch9wavefront6targetE0EEEvS10_,comdat
.Lfunc_end297:
	.size	_ZN7rocprim17ROCPRIM_400000_NS6detail17trampoline_kernelINS0_14default_configENS1_21merge_config_selectorINS0_5tupleIJssEEENS0_10empty_typeEEEZNS1_10merge_implIS3_NS0_12zip_iteratorINS5_IJN6thrust23THRUST_200600_302600_NS6detail15normal_iteratorINSC_10device_ptrIKsEEEESI_EEEEESK_NSA_INS5_IJNSE_INSF_IsEEEESM_EEEEEPS7_SP_SP_NSC_11hip_rocprim7__merge17predicate_wrapperIssNSC_4lessIsEEEEEE10hipError_tPvRmT0_T1_T2_T3_T4_T5_mmT6_P12ihipStream_tbEUlT_E0_NS1_11comp_targetILNS1_3genE8ELNS1_11target_archE1030ELNS1_3gpuE2ELNS1_3repE0EEENS1_30default_config_static_selectorELNS0_4arch9wavefront6targetE0EEEvS10_, .Lfunc_end297-_ZN7rocprim17ROCPRIM_400000_NS6detail17trampoline_kernelINS0_14default_configENS1_21merge_config_selectorINS0_5tupleIJssEEENS0_10empty_typeEEEZNS1_10merge_implIS3_NS0_12zip_iteratorINS5_IJN6thrust23THRUST_200600_302600_NS6detail15normal_iteratorINSC_10device_ptrIKsEEEESI_EEEEESK_NSA_INS5_IJNSE_INSF_IsEEEESM_EEEEEPS7_SP_SP_NSC_11hip_rocprim7__merge17predicate_wrapperIssNSC_4lessIsEEEEEE10hipError_tPvRmT0_T1_T2_T3_T4_T5_mmT6_P12ihipStream_tbEUlT_E0_NS1_11comp_targetILNS1_3genE8ELNS1_11target_archE1030ELNS1_3gpuE2ELNS1_3repE0EEENS1_30default_config_static_selectorELNS0_4arch9wavefront6targetE0EEEvS10_
                                        ; -- End function
	.set _ZN7rocprim17ROCPRIM_400000_NS6detail17trampoline_kernelINS0_14default_configENS1_21merge_config_selectorINS0_5tupleIJssEEENS0_10empty_typeEEEZNS1_10merge_implIS3_NS0_12zip_iteratorINS5_IJN6thrust23THRUST_200600_302600_NS6detail15normal_iteratorINSC_10device_ptrIKsEEEESI_EEEEESK_NSA_INS5_IJNSE_INSF_IsEEEESM_EEEEEPS7_SP_SP_NSC_11hip_rocprim7__merge17predicate_wrapperIssNSC_4lessIsEEEEEE10hipError_tPvRmT0_T1_T2_T3_T4_T5_mmT6_P12ihipStream_tbEUlT_E0_NS1_11comp_targetILNS1_3genE8ELNS1_11target_archE1030ELNS1_3gpuE2ELNS1_3repE0EEENS1_30default_config_static_selectorELNS0_4arch9wavefront6targetE0EEEvS10_.num_vgpr, 37
	.set _ZN7rocprim17ROCPRIM_400000_NS6detail17trampoline_kernelINS0_14default_configENS1_21merge_config_selectorINS0_5tupleIJssEEENS0_10empty_typeEEEZNS1_10merge_implIS3_NS0_12zip_iteratorINS5_IJN6thrust23THRUST_200600_302600_NS6detail15normal_iteratorINSC_10device_ptrIKsEEEESI_EEEEESK_NSA_INS5_IJNSE_INSF_IsEEEESM_EEEEEPS7_SP_SP_NSC_11hip_rocprim7__merge17predicate_wrapperIssNSC_4lessIsEEEEEE10hipError_tPvRmT0_T1_T2_T3_T4_T5_mmT6_P12ihipStream_tbEUlT_E0_NS1_11comp_targetILNS1_3genE8ELNS1_11target_archE1030ELNS1_3gpuE2ELNS1_3repE0EEENS1_30default_config_static_selectorELNS0_4arch9wavefront6targetE0EEEvS10_.num_agpr, 0
	.set _ZN7rocprim17ROCPRIM_400000_NS6detail17trampoline_kernelINS0_14default_configENS1_21merge_config_selectorINS0_5tupleIJssEEENS0_10empty_typeEEEZNS1_10merge_implIS3_NS0_12zip_iteratorINS5_IJN6thrust23THRUST_200600_302600_NS6detail15normal_iteratorINSC_10device_ptrIKsEEEESI_EEEEESK_NSA_INS5_IJNSE_INSF_IsEEEESM_EEEEEPS7_SP_SP_NSC_11hip_rocprim7__merge17predicate_wrapperIssNSC_4lessIsEEEEEE10hipError_tPvRmT0_T1_T2_T3_T4_T5_mmT6_P12ihipStream_tbEUlT_E0_NS1_11comp_targetILNS1_3genE8ELNS1_11target_archE1030ELNS1_3gpuE2ELNS1_3repE0EEENS1_30default_config_static_selectorELNS0_4arch9wavefront6targetE0EEEvS10_.numbered_sgpr, 26
	.set _ZN7rocprim17ROCPRIM_400000_NS6detail17trampoline_kernelINS0_14default_configENS1_21merge_config_selectorINS0_5tupleIJssEEENS0_10empty_typeEEEZNS1_10merge_implIS3_NS0_12zip_iteratorINS5_IJN6thrust23THRUST_200600_302600_NS6detail15normal_iteratorINSC_10device_ptrIKsEEEESI_EEEEESK_NSA_INS5_IJNSE_INSF_IsEEEESM_EEEEEPS7_SP_SP_NSC_11hip_rocprim7__merge17predicate_wrapperIssNSC_4lessIsEEEEEE10hipError_tPvRmT0_T1_T2_T3_T4_T5_mmT6_P12ihipStream_tbEUlT_E0_NS1_11comp_targetILNS1_3genE8ELNS1_11target_archE1030ELNS1_3gpuE2ELNS1_3repE0EEENS1_30default_config_static_selectorELNS0_4arch9wavefront6targetE0EEEvS10_.num_named_barrier, 0
	.set _ZN7rocprim17ROCPRIM_400000_NS6detail17trampoline_kernelINS0_14default_configENS1_21merge_config_selectorINS0_5tupleIJssEEENS0_10empty_typeEEEZNS1_10merge_implIS3_NS0_12zip_iteratorINS5_IJN6thrust23THRUST_200600_302600_NS6detail15normal_iteratorINSC_10device_ptrIKsEEEESI_EEEEESK_NSA_INS5_IJNSE_INSF_IsEEEESM_EEEEEPS7_SP_SP_NSC_11hip_rocprim7__merge17predicate_wrapperIssNSC_4lessIsEEEEEE10hipError_tPvRmT0_T1_T2_T3_T4_T5_mmT6_P12ihipStream_tbEUlT_E0_NS1_11comp_targetILNS1_3genE8ELNS1_11target_archE1030ELNS1_3gpuE2ELNS1_3repE0EEENS1_30default_config_static_selectorELNS0_4arch9wavefront6targetE0EEEvS10_.private_seg_size, 0
	.set _ZN7rocprim17ROCPRIM_400000_NS6detail17trampoline_kernelINS0_14default_configENS1_21merge_config_selectorINS0_5tupleIJssEEENS0_10empty_typeEEEZNS1_10merge_implIS3_NS0_12zip_iteratorINS5_IJN6thrust23THRUST_200600_302600_NS6detail15normal_iteratorINSC_10device_ptrIKsEEEESI_EEEEESK_NSA_INS5_IJNSE_INSF_IsEEEESM_EEEEEPS7_SP_SP_NSC_11hip_rocprim7__merge17predicate_wrapperIssNSC_4lessIsEEEEEE10hipError_tPvRmT0_T1_T2_T3_T4_T5_mmT6_P12ihipStream_tbEUlT_E0_NS1_11comp_targetILNS1_3genE8ELNS1_11target_archE1030ELNS1_3gpuE2ELNS1_3repE0EEENS1_30default_config_static_selectorELNS0_4arch9wavefront6targetE0EEEvS10_.uses_vcc, 1
	.set _ZN7rocprim17ROCPRIM_400000_NS6detail17trampoline_kernelINS0_14default_configENS1_21merge_config_selectorINS0_5tupleIJssEEENS0_10empty_typeEEEZNS1_10merge_implIS3_NS0_12zip_iteratorINS5_IJN6thrust23THRUST_200600_302600_NS6detail15normal_iteratorINSC_10device_ptrIKsEEEESI_EEEEESK_NSA_INS5_IJNSE_INSF_IsEEEESM_EEEEEPS7_SP_SP_NSC_11hip_rocprim7__merge17predicate_wrapperIssNSC_4lessIsEEEEEE10hipError_tPvRmT0_T1_T2_T3_T4_T5_mmT6_P12ihipStream_tbEUlT_E0_NS1_11comp_targetILNS1_3genE8ELNS1_11target_archE1030ELNS1_3gpuE2ELNS1_3repE0EEENS1_30default_config_static_selectorELNS0_4arch9wavefront6targetE0EEEvS10_.uses_flat_scratch, 0
	.set _ZN7rocprim17ROCPRIM_400000_NS6detail17trampoline_kernelINS0_14default_configENS1_21merge_config_selectorINS0_5tupleIJssEEENS0_10empty_typeEEEZNS1_10merge_implIS3_NS0_12zip_iteratorINS5_IJN6thrust23THRUST_200600_302600_NS6detail15normal_iteratorINSC_10device_ptrIKsEEEESI_EEEEESK_NSA_INS5_IJNSE_INSF_IsEEEESM_EEEEEPS7_SP_SP_NSC_11hip_rocprim7__merge17predicate_wrapperIssNSC_4lessIsEEEEEE10hipError_tPvRmT0_T1_T2_T3_T4_T5_mmT6_P12ihipStream_tbEUlT_E0_NS1_11comp_targetILNS1_3genE8ELNS1_11target_archE1030ELNS1_3gpuE2ELNS1_3repE0EEENS1_30default_config_static_selectorELNS0_4arch9wavefront6targetE0EEEvS10_.has_dyn_sized_stack, 0
	.set _ZN7rocprim17ROCPRIM_400000_NS6detail17trampoline_kernelINS0_14default_configENS1_21merge_config_selectorINS0_5tupleIJssEEENS0_10empty_typeEEEZNS1_10merge_implIS3_NS0_12zip_iteratorINS5_IJN6thrust23THRUST_200600_302600_NS6detail15normal_iteratorINSC_10device_ptrIKsEEEESI_EEEEESK_NSA_INS5_IJNSE_INSF_IsEEEESM_EEEEEPS7_SP_SP_NSC_11hip_rocprim7__merge17predicate_wrapperIssNSC_4lessIsEEEEEE10hipError_tPvRmT0_T1_T2_T3_T4_T5_mmT6_P12ihipStream_tbEUlT_E0_NS1_11comp_targetILNS1_3genE8ELNS1_11target_archE1030ELNS1_3gpuE2ELNS1_3repE0EEENS1_30default_config_static_selectorELNS0_4arch9wavefront6targetE0EEEvS10_.has_recursion, 0
	.set _ZN7rocprim17ROCPRIM_400000_NS6detail17trampoline_kernelINS0_14default_configENS1_21merge_config_selectorINS0_5tupleIJssEEENS0_10empty_typeEEEZNS1_10merge_implIS3_NS0_12zip_iteratorINS5_IJN6thrust23THRUST_200600_302600_NS6detail15normal_iteratorINSC_10device_ptrIKsEEEESI_EEEEESK_NSA_INS5_IJNSE_INSF_IsEEEESM_EEEEEPS7_SP_SP_NSC_11hip_rocprim7__merge17predicate_wrapperIssNSC_4lessIsEEEEEE10hipError_tPvRmT0_T1_T2_T3_T4_T5_mmT6_P12ihipStream_tbEUlT_E0_NS1_11comp_targetILNS1_3genE8ELNS1_11target_archE1030ELNS1_3gpuE2ELNS1_3repE0EEENS1_30default_config_static_selectorELNS0_4arch9wavefront6targetE0EEEvS10_.has_indirect_call, 0
	.section	.AMDGPU.csdata,"",@progbits
; Kernel info:
; codeLenInByte = 4348
; TotalNumSgprs: 28
; NumVgprs: 37
; ScratchSize: 0
; MemoryBound: 0
; FloatMode: 240
; IeeeMode: 1
; LDSByteSize: 33792 bytes/workgroup (compile time only)
; SGPRBlocks: 0
; VGPRBlocks: 4
; NumSGPRsForWavesPerEU: 28
; NumVGPRsForWavesPerEU: 37
; Occupancy: 16
; WaveLimiterHint : 1
; COMPUTE_PGM_RSRC2:SCRATCH_EN: 0
; COMPUTE_PGM_RSRC2:USER_SGPR: 6
; COMPUTE_PGM_RSRC2:TRAP_HANDLER: 0
; COMPUTE_PGM_RSRC2:TGID_X_EN: 1
; COMPUTE_PGM_RSRC2:TGID_Y_EN: 0
; COMPUTE_PGM_RSRC2:TGID_Z_EN: 0
; COMPUTE_PGM_RSRC2:TIDIG_COMP_CNT: 0
	.section	.text._ZN7rocprim17ROCPRIM_400000_NS6detail17trampoline_kernelINS0_14default_configENS1_22reduce_config_selectorIN6thrust23THRUST_200600_302600_NS5tupleIblNS6_9null_typeES8_S8_S8_S8_S8_S8_S8_EEEEZNS1_11reduce_implILb1ES3_NS6_12zip_iteratorINS7_INS6_11hip_rocprim26transform_input_iterator_tIbNSD_35transform_pair_of_input_iterators_tIbNS6_6detail15normal_iteratorINS6_10device_ptrIKsEEEESL_NS6_8equal_toIsEEEENSG_9not_fun_tINSD_8identityEEEEENSD_19counting_iterator_tIlEES8_S8_S8_S8_S8_S8_S8_S8_EEEEPS9_S9_NSD_9__find_if7functorIS9_EEEE10hipError_tPvRmT1_T2_T3_mT4_P12ihipStream_tbEUlT_E0_NS1_11comp_targetILNS1_3genE0ELNS1_11target_archE4294967295ELNS1_3gpuE0ELNS1_3repE0EEENS1_30default_config_static_selectorELNS0_4arch9wavefront6targetE0EEEvS14_,"axG",@progbits,_ZN7rocprim17ROCPRIM_400000_NS6detail17trampoline_kernelINS0_14default_configENS1_22reduce_config_selectorIN6thrust23THRUST_200600_302600_NS5tupleIblNS6_9null_typeES8_S8_S8_S8_S8_S8_S8_EEEEZNS1_11reduce_implILb1ES3_NS6_12zip_iteratorINS7_INS6_11hip_rocprim26transform_input_iterator_tIbNSD_35transform_pair_of_input_iterators_tIbNS6_6detail15normal_iteratorINS6_10device_ptrIKsEEEESL_NS6_8equal_toIsEEEENSG_9not_fun_tINSD_8identityEEEEENSD_19counting_iterator_tIlEES8_S8_S8_S8_S8_S8_S8_S8_EEEEPS9_S9_NSD_9__find_if7functorIS9_EEEE10hipError_tPvRmT1_T2_T3_mT4_P12ihipStream_tbEUlT_E0_NS1_11comp_targetILNS1_3genE0ELNS1_11target_archE4294967295ELNS1_3gpuE0ELNS1_3repE0EEENS1_30default_config_static_selectorELNS0_4arch9wavefront6targetE0EEEvS14_,comdat
	.protected	_ZN7rocprim17ROCPRIM_400000_NS6detail17trampoline_kernelINS0_14default_configENS1_22reduce_config_selectorIN6thrust23THRUST_200600_302600_NS5tupleIblNS6_9null_typeES8_S8_S8_S8_S8_S8_S8_EEEEZNS1_11reduce_implILb1ES3_NS6_12zip_iteratorINS7_INS6_11hip_rocprim26transform_input_iterator_tIbNSD_35transform_pair_of_input_iterators_tIbNS6_6detail15normal_iteratorINS6_10device_ptrIKsEEEESL_NS6_8equal_toIsEEEENSG_9not_fun_tINSD_8identityEEEEENSD_19counting_iterator_tIlEES8_S8_S8_S8_S8_S8_S8_S8_EEEEPS9_S9_NSD_9__find_if7functorIS9_EEEE10hipError_tPvRmT1_T2_T3_mT4_P12ihipStream_tbEUlT_E0_NS1_11comp_targetILNS1_3genE0ELNS1_11target_archE4294967295ELNS1_3gpuE0ELNS1_3repE0EEENS1_30default_config_static_selectorELNS0_4arch9wavefront6targetE0EEEvS14_ ; -- Begin function _ZN7rocprim17ROCPRIM_400000_NS6detail17trampoline_kernelINS0_14default_configENS1_22reduce_config_selectorIN6thrust23THRUST_200600_302600_NS5tupleIblNS6_9null_typeES8_S8_S8_S8_S8_S8_S8_EEEEZNS1_11reduce_implILb1ES3_NS6_12zip_iteratorINS7_INS6_11hip_rocprim26transform_input_iterator_tIbNSD_35transform_pair_of_input_iterators_tIbNS6_6detail15normal_iteratorINS6_10device_ptrIKsEEEESL_NS6_8equal_toIsEEEENSG_9not_fun_tINSD_8identityEEEEENSD_19counting_iterator_tIlEES8_S8_S8_S8_S8_S8_S8_S8_EEEEPS9_S9_NSD_9__find_if7functorIS9_EEEE10hipError_tPvRmT1_T2_T3_mT4_P12ihipStream_tbEUlT_E0_NS1_11comp_targetILNS1_3genE0ELNS1_11target_archE4294967295ELNS1_3gpuE0ELNS1_3repE0EEENS1_30default_config_static_selectorELNS0_4arch9wavefront6targetE0EEEvS14_
	.globl	_ZN7rocprim17ROCPRIM_400000_NS6detail17trampoline_kernelINS0_14default_configENS1_22reduce_config_selectorIN6thrust23THRUST_200600_302600_NS5tupleIblNS6_9null_typeES8_S8_S8_S8_S8_S8_S8_EEEEZNS1_11reduce_implILb1ES3_NS6_12zip_iteratorINS7_INS6_11hip_rocprim26transform_input_iterator_tIbNSD_35transform_pair_of_input_iterators_tIbNS6_6detail15normal_iteratorINS6_10device_ptrIKsEEEESL_NS6_8equal_toIsEEEENSG_9not_fun_tINSD_8identityEEEEENSD_19counting_iterator_tIlEES8_S8_S8_S8_S8_S8_S8_S8_EEEEPS9_S9_NSD_9__find_if7functorIS9_EEEE10hipError_tPvRmT1_T2_T3_mT4_P12ihipStream_tbEUlT_E0_NS1_11comp_targetILNS1_3genE0ELNS1_11target_archE4294967295ELNS1_3gpuE0ELNS1_3repE0EEENS1_30default_config_static_selectorELNS0_4arch9wavefront6targetE0EEEvS14_
	.p2align	8
	.type	_ZN7rocprim17ROCPRIM_400000_NS6detail17trampoline_kernelINS0_14default_configENS1_22reduce_config_selectorIN6thrust23THRUST_200600_302600_NS5tupleIblNS6_9null_typeES8_S8_S8_S8_S8_S8_S8_EEEEZNS1_11reduce_implILb1ES3_NS6_12zip_iteratorINS7_INS6_11hip_rocprim26transform_input_iterator_tIbNSD_35transform_pair_of_input_iterators_tIbNS6_6detail15normal_iteratorINS6_10device_ptrIKsEEEESL_NS6_8equal_toIsEEEENSG_9not_fun_tINSD_8identityEEEEENSD_19counting_iterator_tIlEES8_S8_S8_S8_S8_S8_S8_S8_EEEEPS9_S9_NSD_9__find_if7functorIS9_EEEE10hipError_tPvRmT1_T2_T3_mT4_P12ihipStream_tbEUlT_E0_NS1_11comp_targetILNS1_3genE0ELNS1_11target_archE4294967295ELNS1_3gpuE0ELNS1_3repE0EEENS1_30default_config_static_selectorELNS0_4arch9wavefront6targetE0EEEvS14_,@function
_ZN7rocprim17ROCPRIM_400000_NS6detail17trampoline_kernelINS0_14default_configENS1_22reduce_config_selectorIN6thrust23THRUST_200600_302600_NS5tupleIblNS6_9null_typeES8_S8_S8_S8_S8_S8_S8_EEEEZNS1_11reduce_implILb1ES3_NS6_12zip_iteratorINS7_INS6_11hip_rocprim26transform_input_iterator_tIbNSD_35transform_pair_of_input_iterators_tIbNS6_6detail15normal_iteratorINS6_10device_ptrIKsEEEESL_NS6_8equal_toIsEEEENSG_9not_fun_tINSD_8identityEEEEENSD_19counting_iterator_tIlEES8_S8_S8_S8_S8_S8_S8_S8_EEEEPS9_S9_NSD_9__find_if7functorIS9_EEEE10hipError_tPvRmT1_T2_T3_mT4_P12ihipStream_tbEUlT_E0_NS1_11comp_targetILNS1_3genE0ELNS1_11target_archE4294967295ELNS1_3gpuE0ELNS1_3repE0EEENS1_30default_config_static_selectorELNS0_4arch9wavefront6targetE0EEEvS14_: ; @_ZN7rocprim17ROCPRIM_400000_NS6detail17trampoline_kernelINS0_14default_configENS1_22reduce_config_selectorIN6thrust23THRUST_200600_302600_NS5tupleIblNS6_9null_typeES8_S8_S8_S8_S8_S8_S8_EEEEZNS1_11reduce_implILb1ES3_NS6_12zip_iteratorINS7_INS6_11hip_rocprim26transform_input_iterator_tIbNSD_35transform_pair_of_input_iterators_tIbNS6_6detail15normal_iteratorINS6_10device_ptrIKsEEEESL_NS6_8equal_toIsEEEENSG_9not_fun_tINSD_8identityEEEEENSD_19counting_iterator_tIlEES8_S8_S8_S8_S8_S8_S8_S8_EEEEPS9_S9_NSD_9__find_if7functorIS9_EEEE10hipError_tPvRmT1_T2_T3_mT4_P12ihipStream_tbEUlT_E0_NS1_11comp_targetILNS1_3genE0ELNS1_11target_archE4294967295ELNS1_3gpuE0ELNS1_3repE0EEENS1_30default_config_static_selectorELNS0_4arch9wavefront6targetE0EEEvS14_
; %bb.0:
	.section	.rodata,"a",@progbits
	.p2align	6, 0x0
	.amdhsa_kernel _ZN7rocprim17ROCPRIM_400000_NS6detail17trampoline_kernelINS0_14default_configENS1_22reduce_config_selectorIN6thrust23THRUST_200600_302600_NS5tupleIblNS6_9null_typeES8_S8_S8_S8_S8_S8_S8_EEEEZNS1_11reduce_implILb1ES3_NS6_12zip_iteratorINS7_INS6_11hip_rocprim26transform_input_iterator_tIbNSD_35transform_pair_of_input_iterators_tIbNS6_6detail15normal_iteratorINS6_10device_ptrIKsEEEESL_NS6_8equal_toIsEEEENSG_9not_fun_tINSD_8identityEEEEENSD_19counting_iterator_tIlEES8_S8_S8_S8_S8_S8_S8_S8_EEEEPS9_S9_NSD_9__find_if7functorIS9_EEEE10hipError_tPvRmT1_T2_T3_mT4_P12ihipStream_tbEUlT_E0_NS1_11comp_targetILNS1_3genE0ELNS1_11target_archE4294967295ELNS1_3gpuE0ELNS1_3repE0EEENS1_30default_config_static_selectorELNS0_4arch9wavefront6targetE0EEEvS14_
		.amdhsa_group_segment_fixed_size 0
		.amdhsa_private_segment_fixed_size 0
		.amdhsa_kernarg_size 104
		.amdhsa_user_sgpr_count 6
		.amdhsa_user_sgpr_private_segment_buffer 1
		.amdhsa_user_sgpr_dispatch_ptr 0
		.amdhsa_user_sgpr_queue_ptr 0
		.amdhsa_user_sgpr_kernarg_segment_ptr 1
		.amdhsa_user_sgpr_dispatch_id 0
		.amdhsa_user_sgpr_flat_scratch_init 0
		.amdhsa_user_sgpr_private_segment_size 0
		.amdhsa_wavefront_size32 1
		.amdhsa_uses_dynamic_stack 0
		.amdhsa_system_sgpr_private_segment_wavefront_offset 0
		.amdhsa_system_sgpr_workgroup_id_x 1
		.amdhsa_system_sgpr_workgroup_id_y 0
		.amdhsa_system_sgpr_workgroup_id_z 0
		.amdhsa_system_sgpr_workgroup_info 0
		.amdhsa_system_vgpr_workitem_id 0
		.amdhsa_next_free_vgpr 1
		.amdhsa_next_free_sgpr 1
		.amdhsa_reserve_vcc 0
		.amdhsa_reserve_flat_scratch 0
		.amdhsa_float_round_mode_32 0
		.amdhsa_float_round_mode_16_64 0
		.amdhsa_float_denorm_mode_32 3
		.amdhsa_float_denorm_mode_16_64 3
		.amdhsa_dx10_clamp 1
		.amdhsa_ieee_mode 1
		.amdhsa_fp16_overflow 0
		.amdhsa_workgroup_processor_mode 1
		.amdhsa_memory_ordered 1
		.amdhsa_forward_progress 1
		.amdhsa_shared_vgpr_count 0
		.amdhsa_exception_fp_ieee_invalid_op 0
		.amdhsa_exception_fp_denorm_src 0
		.amdhsa_exception_fp_ieee_div_zero 0
		.amdhsa_exception_fp_ieee_overflow 0
		.amdhsa_exception_fp_ieee_underflow 0
		.amdhsa_exception_fp_ieee_inexact 0
		.amdhsa_exception_int_div_zero 0
	.end_amdhsa_kernel
	.section	.text._ZN7rocprim17ROCPRIM_400000_NS6detail17trampoline_kernelINS0_14default_configENS1_22reduce_config_selectorIN6thrust23THRUST_200600_302600_NS5tupleIblNS6_9null_typeES8_S8_S8_S8_S8_S8_S8_EEEEZNS1_11reduce_implILb1ES3_NS6_12zip_iteratorINS7_INS6_11hip_rocprim26transform_input_iterator_tIbNSD_35transform_pair_of_input_iterators_tIbNS6_6detail15normal_iteratorINS6_10device_ptrIKsEEEESL_NS6_8equal_toIsEEEENSG_9not_fun_tINSD_8identityEEEEENSD_19counting_iterator_tIlEES8_S8_S8_S8_S8_S8_S8_S8_EEEEPS9_S9_NSD_9__find_if7functorIS9_EEEE10hipError_tPvRmT1_T2_T3_mT4_P12ihipStream_tbEUlT_E0_NS1_11comp_targetILNS1_3genE0ELNS1_11target_archE4294967295ELNS1_3gpuE0ELNS1_3repE0EEENS1_30default_config_static_selectorELNS0_4arch9wavefront6targetE0EEEvS14_,"axG",@progbits,_ZN7rocprim17ROCPRIM_400000_NS6detail17trampoline_kernelINS0_14default_configENS1_22reduce_config_selectorIN6thrust23THRUST_200600_302600_NS5tupleIblNS6_9null_typeES8_S8_S8_S8_S8_S8_S8_EEEEZNS1_11reduce_implILb1ES3_NS6_12zip_iteratorINS7_INS6_11hip_rocprim26transform_input_iterator_tIbNSD_35transform_pair_of_input_iterators_tIbNS6_6detail15normal_iteratorINS6_10device_ptrIKsEEEESL_NS6_8equal_toIsEEEENSG_9not_fun_tINSD_8identityEEEEENSD_19counting_iterator_tIlEES8_S8_S8_S8_S8_S8_S8_S8_EEEEPS9_S9_NSD_9__find_if7functorIS9_EEEE10hipError_tPvRmT1_T2_T3_mT4_P12ihipStream_tbEUlT_E0_NS1_11comp_targetILNS1_3genE0ELNS1_11target_archE4294967295ELNS1_3gpuE0ELNS1_3repE0EEENS1_30default_config_static_selectorELNS0_4arch9wavefront6targetE0EEEvS14_,comdat
.Lfunc_end298:
	.size	_ZN7rocprim17ROCPRIM_400000_NS6detail17trampoline_kernelINS0_14default_configENS1_22reduce_config_selectorIN6thrust23THRUST_200600_302600_NS5tupleIblNS6_9null_typeES8_S8_S8_S8_S8_S8_S8_EEEEZNS1_11reduce_implILb1ES3_NS6_12zip_iteratorINS7_INS6_11hip_rocprim26transform_input_iterator_tIbNSD_35transform_pair_of_input_iterators_tIbNS6_6detail15normal_iteratorINS6_10device_ptrIKsEEEESL_NS6_8equal_toIsEEEENSG_9not_fun_tINSD_8identityEEEEENSD_19counting_iterator_tIlEES8_S8_S8_S8_S8_S8_S8_S8_EEEEPS9_S9_NSD_9__find_if7functorIS9_EEEE10hipError_tPvRmT1_T2_T3_mT4_P12ihipStream_tbEUlT_E0_NS1_11comp_targetILNS1_3genE0ELNS1_11target_archE4294967295ELNS1_3gpuE0ELNS1_3repE0EEENS1_30default_config_static_selectorELNS0_4arch9wavefront6targetE0EEEvS14_, .Lfunc_end298-_ZN7rocprim17ROCPRIM_400000_NS6detail17trampoline_kernelINS0_14default_configENS1_22reduce_config_selectorIN6thrust23THRUST_200600_302600_NS5tupleIblNS6_9null_typeES8_S8_S8_S8_S8_S8_S8_EEEEZNS1_11reduce_implILb1ES3_NS6_12zip_iteratorINS7_INS6_11hip_rocprim26transform_input_iterator_tIbNSD_35transform_pair_of_input_iterators_tIbNS6_6detail15normal_iteratorINS6_10device_ptrIKsEEEESL_NS6_8equal_toIsEEEENSG_9not_fun_tINSD_8identityEEEEENSD_19counting_iterator_tIlEES8_S8_S8_S8_S8_S8_S8_S8_EEEEPS9_S9_NSD_9__find_if7functorIS9_EEEE10hipError_tPvRmT1_T2_T3_mT4_P12ihipStream_tbEUlT_E0_NS1_11comp_targetILNS1_3genE0ELNS1_11target_archE4294967295ELNS1_3gpuE0ELNS1_3repE0EEENS1_30default_config_static_selectorELNS0_4arch9wavefront6targetE0EEEvS14_
                                        ; -- End function
	.set _ZN7rocprim17ROCPRIM_400000_NS6detail17trampoline_kernelINS0_14default_configENS1_22reduce_config_selectorIN6thrust23THRUST_200600_302600_NS5tupleIblNS6_9null_typeES8_S8_S8_S8_S8_S8_S8_EEEEZNS1_11reduce_implILb1ES3_NS6_12zip_iteratorINS7_INS6_11hip_rocprim26transform_input_iterator_tIbNSD_35transform_pair_of_input_iterators_tIbNS6_6detail15normal_iteratorINS6_10device_ptrIKsEEEESL_NS6_8equal_toIsEEEENSG_9not_fun_tINSD_8identityEEEEENSD_19counting_iterator_tIlEES8_S8_S8_S8_S8_S8_S8_S8_EEEEPS9_S9_NSD_9__find_if7functorIS9_EEEE10hipError_tPvRmT1_T2_T3_mT4_P12ihipStream_tbEUlT_E0_NS1_11comp_targetILNS1_3genE0ELNS1_11target_archE4294967295ELNS1_3gpuE0ELNS1_3repE0EEENS1_30default_config_static_selectorELNS0_4arch9wavefront6targetE0EEEvS14_.num_vgpr, 0
	.set _ZN7rocprim17ROCPRIM_400000_NS6detail17trampoline_kernelINS0_14default_configENS1_22reduce_config_selectorIN6thrust23THRUST_200600_302600_NS5tupleIblNS6_9null_typeES8_S8_S8_S8_S8_S8_S8_EEEEZNS1_11reduce_implILb1ES3_NS6_12zip_iteratorINS7_INS6_11hip_rocprim26transform_input_iterator_tIbNSD_35transform_pair_of_input_iterators_tIbNS6_6detail15normal_iteratorINS6_10device_ptrIKsEEEESL_NS6_8equal_toIsEEEENSG_9not_fun_tINSD_8identityEEEEENSD_19counting_iterator_tIlEES8_S8_S8_S8_S8_S8_S8_S8_EEEEPS9_S9_NSD_9__find_if7functorIS9_EEEE10hipError_tPvRmT1_T2_T3_mT4_P12ihipStream_tbEUlT_E0_NS1_11comp_targetILNS1_3genE0ELNS1_11target_archE4294967295ELNS1_3gpuE0ELNS1_3repE0EEENS1_30default_config_static_selectorELNS0_4arch9wavefront6targetE0EEEvS14_.num_agpr, 0
	.set _ZN7rocprim17ROCPRIM_400000_NS6detail17trampoline_kernelINS0_14default_configENS1_22reduce_config_selectorIN6thrust23THRUST_200600_302600_NS5tupleIblNS6_9null_typeES8_S8_S8_S8_S8_S8_S8_EEEEZNS1_11reduce_implILb1ES3_NS6_12zip_iteratorINS7_INS6_11hip_rocprim26transform_input_iterator_tIbNSD_35transform_pair_of_input_iterators_tIbNS6_6detail15normal_iteratorINS6_10device_ptrIKsEEEESL_NS6_8equal_toIsEEEENSG_9not_fun_tINSD_8identityEEEEENSD_19counting_iterator_tIlEES8_S8_S8_S8_S8_S8_S8_S8_EEEEPS9_S9_NSD_9__find_if7functorIS9_EEEE10hipError_tPvRmT1_T2_T3_mT4_P12ihipStream_tbEUlT_E0_NS1_11comp_targetILNS1_3genE0ELNS1_11target_archE4294967295ELNS1_3gpuE0ELNS1_3repE0EEENS1_30default_config_static_selectorELNS0_4arch9wavefront6targetE0EEEvS14_.numbered_sgpr, 0
	.set _ZN7rocprim17ROCPRIM_400000_NS6detail17trampoline_kernelINS0_14default_configENS1_22reduce_config_selectorIN6thrust23THRUST_200600_302600_NS5tupleIblNS6_9null_typeES8_S8_S8_S8_S8_S8_S8_EEEEZNS1_11reduce_implILb1ES3_NS6_12zip_iteratorINS7_INS6_11hip_rocprim26transform_input_iterator_tIbNSD_35transform_pair_of_input_iterators_tIbNS6_6detail15normal_iteratorINS6_10device_ptrIKsEEEESL_NS6_8equal_toIsEEEENSG_9not_fun_tINSD_8identityEEEEENSD_19counting_iterator_tIlEES8_S8_S8_S8_S8_S8_S8_S8_EEEEPS9_S9_NSD_9__find_if7functorIS9_EEEE10hipError_tPvRmT1_T2_T3_mT4_P12ihipStream_tbEUlT_E0_NS1_11comp_targetILNS1_3genE0ELNS1_11target_archE4294967295ELNS1_3gpuE0ELNS1_3repE0EEENS1_30default_config_static_selectorELNS0_4arch9wavefront6targetE0EEEvS14_.num_named_barrier, 0
	.set _ZN7rocprim17ROCPRIM_400000_NS6detail17trampoline_kernelINS0_14default_configENS1_22reduce_config_selectorIN6thrust23THRUST_200600_302600_NS5tupleIblNS6_9null_typeES8_S8_S8_S8_S8_S8_S8_EEEEZNS1_11reduce_implILb1ES3_NS6_12zip_iteratorINS7_INS6_11hip_rocprim26transform_input_iterator_tIbNSD_35transform_pair_of_input_iterators_tIbNS6_6detail15normal_iteratorINS6_10device_ptrIKsEEEESL_NS6_8equal_toIsEEEENSG_9not_fun_tINSD_8identityEEEEENSD_19counting_iterator_tIlEES8_S8_S8_S8_S8_S8_S8_S8_EEEEPS9_S9_NSD_9__find_if7functorIS9_EEEE10hipError_tPvRmT1_T2_T3_mT4_P12ihipStream_tbEUlT_E0_NS1_11comp_targetILNS1_3genE0ELNS1_11target_archE4294967295ELNS1_3gpuE0ELNS1_3repE0EEENS1_30default_config_static_selectorELNS0_4arch9wavefront6targetE0EEEvS14_.private_seg_size, 0
	.set _ZN7rocprim17ROCPRIM_400000_NS6detail17trampoline_kernelINS0_14default_configENS1_22reduce_config_selectorIN6thrust23THRUST_200600_302600_NS5tupleIblNS6_9null_typeES8_S8_S8_S8_S8_S8_S8_EEEEZNS1_11reduce_implILb1ES3_NS6_12zip_iteratorINS7_INS6_11hip_rocprim26transform_input_iterator_tIbNSD_35transform_pair_of_input_iterators_tIbNS6_6detail15normal_iteratorINS6_10device_ptrIKsEEEESL_NS6_8equal_toIsEEEENSG_9not_fun_tINSD_8identityEEEEENSD_19counting_iterator_tIlEES8_S8_S8_S8_S8_S8_S8_S8_EEEEPS9_S9_NSD_9__find_if7functorIS9_EEEE10hipError_tPvRmT1_T2_T3_mT4_P12ihipStream_tbEUlT_E0_NS1_11comp_targetILNS1_3genE0ELNS1_11target_archE4294967295ELNS1_3gpuE0ELNS1_3repE0EEENS1_30default_config_static_selectorELNS0_4arch9wavefront6targetE0EEEvS14_.uses_vcc, 0
	.set _ZN7rocprim17ROCPRIM_400000_NS6detail17trampoline_kernelINS0_14default_configENS1_22reduce_config_selectorIN6thrust23THRUST_200600_302600_NS5tupleIblNS6_9null_typeES8_S8_S8_S8_S8_S8_S8_EEEEZNS1_11reduce_implILb1ES3_NS6_12zip_iteratorINS7_INS6_11hip_rocprim26transform_input_iterator_tIbNSD_35transform_pair_of_input_iterators_tIbNS6_6detail15normal_iteratorINS6_10device_ptrIKsEEEESL_NS6_8equal_toIsEEEENSG_9not_fun_tINSD_8identityEEEEENSD_19counting_iterator_tIlEES8_S8_S8_S8_S8_S8_S8_S8_EEEEPS9_S9_NSD_9__find_if7functorIS9_EEEE10hipError_tPvRmT1_T2_T3_mT4_P12ihipStream_tbEUlT_E0_NS1_11comp_targetILNS1_3genE0ELNS1_11target_archE4294967295ELNS1_3gpuE0ELNS1_3repE0EEENS1_30default_config_static_selectorELNS0_4arch9wavefront6targetE0EEEvS14_.uses_flat_scratch, 0
	.set _ZN7rocprim17ROCPRIM_400000_NS6detail17trampoline_kernelINS0_14default_configENS1_22reduce_config_selectorIN6thrust23THRUST_200600_302600_NS5tupleIblNS6_9null_typeES8_S8_S8_S8_S8_S8_S8_EEEEZNS1_11reduce_implILb1ES3_NS6_12zip_iteratorINS7_INS6_11hip_rocprim26transform_input_iterator_tIbNSD_35transform_pair_of_input_iterators_tIbNS6_6detail15normal_iteratorINS6_10device_ptrIKsEEEESL_NS6_8equal_toIsEEEENSG_9not_fun_tINSD_8identityEEEEENSD_19counting_iterator_tIlEES8_S8_S8_S8_S8_S8_S8_S8_EEEEPS9_S9_NSD_9__find_if7functorIS9_EEEE10hipError_tPvRmT1_T2_T3_mT4_P12ihipStream_tbEUlT_E0_NS1_11comp_targetILNS1_3genE0ELNS1_11target_archE4294967295ELNS1_3gpuE0ELNS1_3repE0EEENS1_30default_config_static_selectorELNS0_4arch9wavefront6targetE0EEEvS14_.has_dyn_sized_stack, 0
	.set _ZN7rocprim17ROCPRIM_400000_NS6detail17trampoline_kernelINS0_14default_configENS1_22reduce_config_selectorIN6thrust23THRUST_200600_302600_NS5tupleIblNS6_9null_typeES8_S8_S8_S8_S8_S8_S8_EEEEZNS1_11reduce_implILb1ES3_NS6_12zip_iteratorINS7_INS6_11hip_rocprim26transform_input_iterator_tIbNSD_35transform_pair_of_input_iterators_tIbNS6_6detail15normal_iteratorINS6_10device_ptrIKsEEEESL_NS6_8equal_toIsEEEENSG_9not_fun_tINSD_8identityEEEEENSD_19counting_iterator_tIlEES8_S8_S8_S8_S8_S8_S8_S8_EEEEPS9_S9_NSD_9__find_if7functorIS9_EEEE10hipError_tPvRmT1_T2_T3_mT4_P12ihipStream_tbEUlT_E0_NS1_11comp_targetILNS1_3genE0ELNS1_11target_archE4294967295ELNS1_3gpuE0ELNS1_3repE0EEENS1_30default_config_static_selectorELNS0_4arch9wavefront6targetE0EEEvS14_.has_recursion, 0
	.set _ZN7rocprim17ROCPRIM_400000_NS6detail17trampoline_kernelINS0_14default_configENS1_22reduce_config_selectorIN6thrust23THRUST_200600_302600_NS5tupleIblNS6_9null_typeES8_S8_S8_S8_S8_S8_S8_EEEEZNS1_11reduce_implILb1ES3_NS6_12zip_iteratorINS7_INS6_11hip_rocprim26transform_input_iterator_tIbNSD_35transform_pair_of_input_iterators_tIbNS6_6detail15normal_iteratorINS6_10device_ptrIKsEEEESL_NS6_8equal_toIsEEEENSG_9not_fun_tINSD_8identityEEEEENSD_19counting_iterator_tIlEES8_S8_S8_S8_S8_S8_S8_S8_EEEEPS9_S9_NSD_9__find_if7functorIS9_EEEE10hipError_tPvRmT1_T2_T3_mT4_P12ihipStream_tbEUlT_E0_NS1_11comp_targetILNS1_3genE0ELNS1_11target_archE4294967295ELNS1_3gpuE0ELNS1_3repE0EEENS1_30default_config_static_selectorELNS0_4arch9wavefront6targetE0EEEvS14_.has_indirect_call, 0
	.section	.AMDGPU.csdata,"",@progbits
; Kernel info:
; codeLenInByte = 0
; TotalNumSgprs: 0
; NumVgprs: 0
; ScratchSize: 0
; MemoryBound: 0
; FloatMode: 240
; IeeeMode: 1
; LDSByteSize: 0 bytes/workgroup (compile time only)
; SGPRBlocks: 0
; VGPRBlocks: 0
; NumSGPRsForWavesPerEU: 1
; NumVGPRsForWavesPerEU: 1
; Occupancy: 16
; WaveLimiterHint : 0
; COMPUTE_PGM_RSRC2:SCRATCH_EN: 0
; COMPUTE_PGM_RSRC2:USER_SGPR: 6
; COMPUTE_PGM_RSRC2:TRAP_HANDLER: 0
; COMPUTE_PGM_RSRC2:TGID_X_EN: 1
; COMPUTE_PGM_RSRC2:TGID_Y_EN: 0
; COMPUTE_PGM_RSRC2:TGID_Z_EN: 0
; COMPUTE_PGM_RSRC2:TIDIG_COMP_CNT: 0
	.section	.text._ZN7rocprim17ROCPRIM_400000_NS6detail17trampoline_kernelINS0_14default_configENS1_22reduce_config_selectorIN6thrust23THRUST_200600_302600_NS5tupleIblNS6_9null_typeES8_S8_S8_S8_S8_S8_S8_EEEEZNS1_11reduce_implILb1ES3_NS6_12zip_iteratorINS7_INS6_11hip_rocprim26transform_input_iterator_tIbNSD_35transform_pair_of_input_iterators_tIbNS6_6detail15normal_iteratorINS6_10device_ptrIKsEEEESL_NS6_8equal_toIsEEEENSG_9not_fun_tINSD_8identityEEEEENSD_19counting_iterator_tIlEES8_S8_S8_S8_S8_S8_S8_S8_EEEEPS9_S9_NSD_9__find_if7functorIS9_EEEE10hipError_tPvRmT1_T2_T3_mT4_P12ihipStream_tbEUlT_E0_NS1_11comp_targetILNS1_3genE5ELNS1_11target_archE942ELNS1_3gpuE9ELNS1_3repE0EEENS1_30default_config_static_selectorELNS0_4arch9wavefront6targetE0EEEvS14_,"axG",@progbits,_ZN7rocprim17ROCPRIM_400000_NS6detail17trampoline_kernelINS0_14default_configENS1_22reduce_config_selectorIN6thrust23THRUST_200600_302600_NS5tupleIblNS6_9null_typeES8_S8_S8_S8_S8_S8_S8_EEEEZNS1_11reduce_implILb1ES3_NS6_12zip_iteratorINS7_INS6_11hip_rocprim26transform_input_iterator_tIbNSD_35transform_pair_of_input_iterators_tIbNS6_6detail15normal_iteratorINS6_10device_ptrIKsEEEESL_NS6_8equal_toIsEEEENSG_9not_fun_tINSD_8identityEEEEENSD_19counting_iterator_tIlEES8_S8_S8_S8_S8_S8_S8_S8_EEEEPS9_S9_NSD_9__find_if7functorIS9_EEEE10hipError_tPvRmT1_T2_T3_mT4_P12ihipStream_tbEUlT_E0_NS1_11comp_targetILNS1_3genE5ELNS1_11target_archE942ELNS1_3gpuE9ELNS1_3repE0EEENS1_30default_config_static_selectorELNS0_4arch9wavefront6targetE0EEEvS14_,comdat
	.protected	_ZN7rocprim17ROCPRIM_400000_NS6detail17trampoline_kernelINS0_14default_configENS1_22reduce_config_selectorIN6thrust23THRUST_200600_302600_NS5tupleIblNS6_9null_typeES8_S8_S8_S8_S8_S8_S8_EEEEZNS1_11reduce_implILb1ES3_NS6_12zip_iteratorINS7_INS6_11hip_rocprim26transform_input_iterator_tIbNSD_35transform_pair_of_input_iterators_tIbNS6_6detail15normal_iteratorINS6_10device_ptrIKsEEEESL_NS6_8equal_toIsEEEENSG_9not_fun_tINSD_8identityEEEEENSD_19counting_iterator_tIlEES8_S8_S8_S8_S8_S8_S8_S8_EEEEPS9_S9_NSD_9__find_if7functorIS9_EEEE10hipError_tPvRmT1_T2_T3_mT4_P12ihipStream_tbEUlT_E0_NS1_11comp_targetILNS1_3genE5ELNS1_11target_archE942ELNS1_3gpuE9ELNS1_3repE0EEENS1_30default_config_static_selectorELNS0_4arch9wavefront6targetE0EEEvS14_ ; -- Begin function _ZN7rocprim17ROCPRIM_400000_NS6detail17trampoline_kernelINS0_14default_configENS1_22reduce_config_selectorIN6thrust23THRUST_200600_302600_NS5tupleIblNS6_9null_typeES8_S8_S8_S8_S8_S8_S8_EEEEZNS1_11reduce_implILb1ES3_NS6_12zip_iteratorINS7_INS6_11hip_rocprim26transform_input_iterator_tIbNSD_35transform_pair_of_input_iterators_tIbNS6_6detail15normal_iteratorINS6_10device_ptrIKsEEEESL_NS6_8equal_toIsEEEENSG_9not_fun_tINSD_8identityEEEEENSD_19counting_iterator_tIlEES8_S8_S8_S8_S8_S8_S8_S8_EEEEPS9_S9_NSD_9__find_if7functorIS9_EEEE10hipError_tPvRmT1_T2_T3_mT4_P12ihipStream_tbEUlT_E0_NS1_11comp_targetILNS1_3genE5ELNS1_11target_archE942ELNS1_3gpuE9ELNS1_3repE0EEENS1_30default_config_static_selectorELNS0_4arch9wavefront6targetE0EEEvS14_
	.globl	_ZN7rocprim17ROCPRIM_400000_NS6detail17trampoline_kernelINS0_14default_configENS1_22reduce_config_selectorIN6thrust23THRUST_200600_302600_NS5tupleIblNS6_9null_typeES8_S8_S8_S8_S8_S8_S8_EEEEZNS1_11reduce_implILb1ES3_NS6_12zip_iteratorINS7_INS6_11hip_rocprim26transform_input_iterator_tIbNSD_35transform_pair_of_input_iterators_tIbNS6_6detail15normal_iteratorINS6_10device_ptrIKsEEEESL_NS6_8equal_toIsEEEENSG_9not_fun_tINSD_8identityEEEEENSD_19counting_iterator_tIlEES8_S8_S8_S8_S8_S8_S8_S8_EEEEPS9_S9_NSD_9__find_if7functorIS9_EEEE10hipError_tPvRmT1_T2_T3_mT4_P12ihipStream_tbEUlT_E0_NS1_11comp_targetILNS1_3genE5ELNS1_11target_archE942ELNS1_3gpuE9ELNS1_3repE0EEENS1_30default_config_static_selectorELNS0_4arch9wavefront6targetE0EEEvS14_
	.p2align	8
	.type	_ZN7rocprim17ROCPRIM_400000_NS6detail17trampoline_kernelINS0_14default_configENS1_22reduce_config_selectorIN6thrust23THRUST_200600_302600_NS5tupleIblNS6_9null_typeES8_S8_S8_S8_S8_S8_S8_EEEEZNS1_11reduce_implILb1ES3_NS6_12zip_iteratorINS7_INS6_11hip_rocprim26transform_input_iterator_tIbNSD_35transform_pair_of_input_iterators_tIbNS6_6detail15normal_iteratorINS6_10device_ptrIKsEEEESL_NS6_8equal_toIsEEEENSG_9not_fun_tINSD_8identityEEEEENSD_19counting_iterator_tIlEES8_S8_S8_S8_S8_S8_S8_S8_EEEEPS9_S9_NSD_9__find_if7functorIS9_EEEE10hipError_tPvRmT1_T2_T3_mT4_P12ihipStream_tbEUlT_E0_NS1_11comp_targetILNS1_3genE5ELNS1_11target_archE942ELNS1_3gpuE9ELNS1_3repE0EEENS1_30default_config_static_selectorELNS0_4arch9wavefront6targetE0EEEvS14_,@function
_ZN7rocprim17ROCPRIM_400000_NS6detail17trampoline_kernelINS0_14default_configENS1_22reduce_config_selectorIN6thrust23THRUST_200600_302600_NS5tupleIblNS6_9null_typeES8_S8_S8_S8_S8_S8_S8_EEEEZNS1_11reduce_implILb1ES3_NS6_12zip_iteratorINS7_INS6_11hip_rocprim26transform_input_iterator_tIbNSD_35transform_pair_of_input_iterators_tIbNS6_6detail15normal_iteratorINS6_10device_ptrIKsEEEESL_NS6_8equal_toIsEEEENSG_9not_fun_tINSD_8identityEEEEENSD_19counting_iterator_tIlEES8_S8_S8_S8_S8_S8_S8_S8_EEEEPS9_S9_NSD_9__find_if7functorIS9_EEEE10hipError_tPvRmT1_T2_T3_mT4_P12ihipStream_tbEUlT_E0_NS1_11comp_targetILNS1_3genE5ELNS1_11target_archE942ELNS1_3gpuE9ELNS1_3repE0EEENS1_30default_config_static_selectorELNS0_4arch9wavefront6targetE0EEEvS14_: ; @_ZN7rocprim17ROCPRIM_400000_NS6detail17trampoline_kernelINS0_14default_configENS1_22reduce_config_selectorIN6thrust23THRUST_200600_302600_NS5tupleIblNS6_9null_typeES8_S8_S8_S8_S8_S8_S8_EEEEZNS1_11reduce_implILb1ES3_NS6_12zip_iteratorINS7_INS6_11hip_rocprim26transform_input_iterator_tIbNSD_35transform_pair_of_input_iterators_tIbNS6_6detail15normal_iteratorINS6_10device_ptrIKsEEEESL_NS6_8equal_toIsEEEENSG_9not_fun_tINSD_8identityEEEEENSD_19counting_iterator_tIlEES8_S8_S8_S8_S8_S8_S8_S8_EEEEPS9_S9_NSD_9__find_if7functorIS9_EEEE10hipError_tPvRmT1_T2_T3_mT4_P12ihipStream_tbEUlT_E0_NS1_11comp_targetILNS1_3genE5ELNS1_11target_archE942ELNS1_3gpuE9ELNS1_3repE0EEENS1_30default_config_static_selectorELNS0_4arch9wavefront6targetE0EEEvS14_
; %bb.0:
	.section	.rodata,"a",@progbits
	.p2align	6, 0x0
	.amdhsa_kernel _ZN7rocprim17ROCPRIM_400000_NS6detail17trampoline_kernelINS0_14default_configENS1_22reduce_config_selectorIN6thrust23THRUST_200600_302600_NS5tupleIblNS6_9null_typeES8_S8_S8_S8_S8_S8_S8_EEEEZNS1_11reduce_implILb1ES3_NS6_12zip_iteratorINS7_INS6_11hip_rocprim26transform_input_iterator_tIbNSD_35transform_pair_of_input_iterators_tIbNS6_6detail15normal_iteratorINS6_10device_ptrIKsEEEESL_NS6_8equal_toIsEEEENSG_9not_fun_tINSD_8identityEEEEENSD_19counting_iterator_tIlEES8_S8_S8_S8_S8_S8_S8_S8_EEEEPS9_S9_NSD_9__find_if7functorIS9_EEEE10hipError_tPvRmT1_T2_T3_mT4_P12ihipStream_tbEUlT_E0_NS1_11comp_targetILNS1_3genE5ELNS1_11target_archE942ELNS1_3gpuE9ELNS1_3repE0EEENS1_30default_config_static_selectorELNS0_4arch9wavefront6targetE0EEEvS14_
		.amdhsa_group_segment_fixed_size 0
		.amdhsa_private_segment_fixed_size 0
		.amdhsa_kernarg_size 104
		.amdhsa_user_sgpr_count 6
		.amdhsa_user_sgpr_private_segment_buffer 1
		.amdhsa_user_sgpr_dispatch_ptr 0
		.amdhsa_user_sgpr_queue_ptr 0
		.amdhsa_user_sgpr_kernarg_segment_ptr 1
		.amdhsa_user_sgpr_dispatch_id 0
		.amdhsa_user_sgpr_flat_scratch_init 0
		.amdhsa_user_sgpr_private_segment_size 0
		.amdhsa_wavefront_size32 1
		.amdhsa_uses_dynamic_stack 0
		.amdhsa_system_sgpr_private_segment_wavefront_offset 0
		.amdhsa_system_sgpr_workgroup_id_x 1
		.amdhsa_system_sgpr_workgroup_id_y 0
		.amdhsa_system_sgpr_workgroup_id_z 0
		.amdhsa_system_sgpr_workgroup_info 0
		.amdhsa_system_vgpr_workitem_id 0
		.amdhsa_next_free_vgpr 1
		.amdhsa_next_free_sgpr 1
		.amdhsa_reserve_vcc 0
		.amdhsa_reserve_flat_scratch 0
		.amdhsa_float_round_mode_32 0
		.amdhsa_float_round_mode_16_64 0
		.amdhsa_float_denorm_mode_32 3
		.amdhsa_float_denorm_mode_16_64 3
		.amdhsa_dx10_clamp 1
		.amdhsa_ieee_mode 1
		.amdhsa_fp16_overflow 0
		.amdhsa_workgroup_processor_mode 1
		.amdhsa_memory_ordered 1
		.amdhsa_forward_progress 1
		.amdhsa_shared_vgpr_count 0
		.amdhsa_exception_fp_ieee_invalid_op 0
		.amdhsa_exception_fp_denorm_src 0
		.amdhsa_exception_fp_ieee_div_zero 0
		.amdhsa_exception_fp_ieee_overflow 0
		.amdhsa_exception_fp_ieee_underflow 0
		.amdhsa_exception_fp_ieee_inexact 0
		.amdhsa_exception_int_div_zero 0
	.end_amdhsa_kernel
	.section	.text._ZN7rocprim17ROCPRIM_400000_NS6detail17trampoline_kernelINS0_14default_configENS1_22reduce_config_selectorIN6thrust23THRUST_200600_302600_NS5tupleIblNS6_9null_typeES8_S8_S8_S8_S8_S8_S8_EEEEZNS1_11reduce_implILb1ES3_NS6_12zip_iteratorINS7_INS6_11hip_rocprim26transform_input_iterator_tIbNSD_35transform_pair_of_input_iterators_tIbNS6_6detail15normal_iteratorINS6_10device_ptrIKsEEEESL_NS6_8equal_toIsEEEENSG_9not_fun_tINSD_8identityEEEEENSD_19counting_iterator_tIlEES8_S8_S8_S8_S8_S8_S8_S8_EEEEPS9_S9_NSD_9__find_if7functorIS9_EEEE10hipError_tPvRmT1_T2_T3_mT4_P12ihipStream_tbEUlT_E0_NS1_11comp_targetILNS1_3genE5ELNS1_11target_archE942ELNS1_3gpuE9ELNS1_3repE0EEENS1_30default_config_static_selectorELNS0_4arch9wavefront6targetE0EEEvS14_,"axG",@progbits,_ZN7rocprim17ROCPRIM_400000_NS6detail17trampoline_kernelINS0_14default_configENS1_22reduce_config_selectorIN6thrust23THRUST_200600_302600_NS5tupleIblNS6_9null_typeES8_S8_S8_S8_S8_S8_S8_EEEEZNS1_11reduce_implILb1ES3_NS6_12zip_iteratorINS7_INS6_11hip_rocprim26transform_input_iterator_tIbNSD_35transform_pair_of_input_iterators_tIbNS6_6detail15normal_iteratorINS6_10device_ptrIKsEEEESL_NS6_8equal_toIsEEEENSG_9not_fun_tINSD_8identityEEEEENSD_19counting_iterator_tIlEES8_S8_S8_S8_S8_S8_S8_S8_EEEEPS9_S9_NSD_9__find_if7functorIS9_EEEE10hipError_tPvRmT1_T2_T3_mT4_P12ihipStream_tbEUlT_E0_NS1_11comp_targetILNS1_3genE5ELNS1_11target_archE942ELNS1_3gpuE9ELNS1_3repE0EEENS1_30default_config_static_selectorELNS0_4arch9wavefront6targetE0EEEvS14_,comdat
.Lfunc_end299:
	.size	_ZN7rocprim17ROCPRIM_400000_NS6detail17trampoline_kernelINS0_14default_configENS1_22reduce_config_selectorIN6thrust23THRUST_200600_302600_NS5tupleIblNS6_9null_typeES8_S8_S8_S8_S8_S8_S8_EEEEZNS1_11reduce_implILb1ES3_NS6_12zip_iteratorINS7_INS6_11hip_rocprim26transform_input_iterator_tIbNSD_35transform_pair_of_input_iterators_tIbNS6_6detail15normal_iteratorINS6_10device_ptrIKsEEEESL_NS6_8equal_toIsEEEENSG_9not_fun_tINSD_8identityEEEEENSD_19counting_iterator_tIlEES8_S8_S8_S8_S8_S8_S8_S8_EEEEPS9_S9_NSD_9__find_if7functorIS9_EEEE10hipError_tPvRmT1_T2_T3_mT4_P12ihipStream_tbEUlT_E0_NS1_11comp_targetILNS1_3genE5ELNS1_11target_archE942ELNS1_3gpuE9ELNS1_3repE0EEENS1_30default_config_static_selectorELNS0_4arch9wavefront6targetE0EEEvS14_, .Lfunc_end299-_ZN7rocprim17ROCPRIM_400000_NS6detail17trampoline_kernelINS0_14default_configENS1_22reduce_config_selectorIN6thrust23THRUST_200600_302600_NS5tupleIblNS6_9null_typeES8_S8_S8_S8_S8_S8_S8_EEEEZNS1_11reduce_implILb1ES3_NS6_12zip_iteratorINS7_INS6_11hip_rocprim26transform_input_iterator_tIbNSD_35transform_pair_of_input_iterators_tIbNS6_6detail15normal_iteratorINS6_10device_ptrIKsEEEESL_NS6_8equal_toIsEEEENSG_9not_fun_tINSD_8identityEEEEENSD_19counting_iterator_tIlEES8_S8_S8_S8_S8_S8_S8_S8_EEEEPS9_S9_NSD_9__find_if7functorIS9_EEEE10hipError_tPvRmT1_T2_T3_mT4_P12ihipStream_tbEUlT_E0_NS1_11comp_targetILNS1_3genE5ELNS1_11target_archE942ELNS1_3gpuE9ELNS1_3repE0EEENS1_30default_config_static_selectorELNS0_4arch9wavefront6targetE0EEEvS14_
                                        ; -- End function
	.set _ZN7rocprim17ROCPRIM_400000_NS6detail17trampoline_kernelINS0_14default_configENS1_22reduce_config_selectorIN6thrust23THRUST_200600_302600_NS5tupleIblNS6_9null_typeES8_S8_S8_S8_S8_S8_S8_EEEEZNS1_11reduce_implILb1ES3_NS6_12zip_iteratorINS7_INS6_11hip_rocprim26transform_input_iterator_tIbNSD_35transform_pair_of_input_iterators_tIbNS6_6detail15normal_iteratorINS6_10device_ptrIKsEEEESL_NS6_8equal_toIsEEEENSG_9not_fun_tINSD_8identityEEEEENSD_19counting_iterator_tIlEES8_S8_S8_S8_S8_S8_S8_S8_EEEEPS9_S9_NSD_9__find_if7functorIS9_EEEE10hipError_tPvRmT1_T2_T3_mT4_P12ihipStream_tbEUlT_E0_NS1_11comp_targetILNS1_3genE5ELNS1_11target_archE942ELNS1_3gpuE9ELNS1_3repE0EEENS1_30default_config_static_selectorELNS0_4arch9wavefront6targetE0EEEvS14_.num_vgpr, 0
	.set _ZN7rocprim17ROCPRIM_400000_NS6detail17trampoline_kernelINS0_14default_configENS1_22reduce_config_selectorIN6thrust23THRUST_200600_302600_NS5tupleIblNS6_9null_typeES8_S8_S8_S8_S8_S8_S8_EEEEZNS1_11reduce_implILb1ES3_NS6_12zip_iteratorINS7_INS6_11hip_rocprim26transform_input_iterator_tIbNSD_35transform_pair_of_input_iterators_tIbNS6_6detail15normal_iteratorINS6_10device_ptrIKsEEEESL_NS6_8equal_toIsEEEENSG_9not_fun_tINSD_8identityEEEEENSD_19counting_iterator_tIlEES8_S8_S8_S8_S8_S8_S8_S8_EEEEPS9_S9_NSD_9__find_if7functorIS9_EEEE10hipError_tPvRmT1_T2_T3_mT4_P12ihipStream_tbEUlT_E0_NS1_11comp_targetILNS1_3genE5ELNS1_11target_archE942ELNS1_3gpuE9ELNS1_3repE0EEENS1_30default_config_static_selectorELNS0_4arch9wavefront6targetE0EEEvS14_.num_agpr, 0
	.set _ZN7rocprim17ROCPRIM_400000_NS6detail17trampoline_kernelINS0_14default_configENS1_22reduce_config_selectorIN6thrust23THRUST_200600_302600_NS5tupleIblNS6_9null_typeES8_S8_S8_S8_S8_S8_S8_EEEEZNS1_11reduce_implILb1ES3_NS6_12zip_iteratorINS7_INS6_11hip_rocprim26transform_input_iterator_tIbNSD_35transform_pair_of_input_iterators_tIbNS6_6detail15normal_iteratorINS6_10device_ptrIKsEEEESL_NS6_8equal_toIsEEEENSG_9not_fun_tINSD_8identityEEEEENSD_19counting_iterator_tIlEES8_S8_S8_S8_S8_S8_S8_S8_EEEEPS9_S9_NSD_9__find_if7functorIS9_EEEE10hipError_tPvRmT1_T2_T3_mT4_P12ihipStream_tbEUlT_E0_NS1_11comp_targetILNS1_3genE5ELNS1_11target_archE942ELNS1_3gpuE9ELNS1_3repE0EEENS1_30default_config_static_selectorELNS0_4arch9wavefront6targetE0EEEvS14_.numbered_sgpr, 0
	.set _ZN7rocprim17ROCPRIM_400000_NS6detail17trampoline_kernelINS0_14default_configENS1_22reduce_config_selectorIN6thrust23THRUST_200600_302600_NS5tupleIblNS6_9null_typeES8_S8_S8_S8_S8_S8_S8_EEEEZNS1_11reduce_implILb1ES3_NS6_12zip_iteratorINS7_INS6_11hip_rocprim26transform_input_iterator_tIbNSD_35transform_pair_of_input_iterators_tIbNS6_6detail15normal_iteratorINS6_10device_ptrIKsEEEESL_NS6_8equal_toIsEEEENSG_9not_fun_tINSD_8identityEEEEENSD_19counting_iterator_tIlEES8_S8_S8_S8_S8_S8_S8_S8_EEEEPS9_S9_NSD_9__find_if7functorIS9_EEEE10hipError_tPvRmT1_T2_T3_mT4_P12ihipStream_tbEUlT_E0_NS1_11comp_targetILNS1_3genE5ELNS1_11target_archE942ELNS1_3gpuE9ELNS1_3repE0EEENS1_30default_config_static_selectorELNS0_4arch9wavefront6targetE0EEEvS14_.num_named_barrier, 0
	.set _ZN7rocprim17ROCPRIM_400000_NS6detail17trampoline_kernelINS0_14default_configENS1_22reduce_config_selectorIN6thrust23THRUST_200600_302600_NS5tupleIblNS6_9null_typeES8_S8_S8_S8_S8_S8_S8_EEEEZNS1_11reduce_implILb1ES3_NS6_12zip_iteratorINS7_INS6_11hip_rocprim26transform_input_iterator_tIbNSD_35transform_pair_of_input_iterators_tIbNS6_6detail15normal_iteratorINS6_10device_ptrIKsEEEESL_NS6_8equal_toIsEEEENSG_9not_fun_tINSD_8identityEEEEENSD_19counting_iterator_tIlEES8_S8_S8_S8_S8_S8_S8_S8_EEEEPS9_S9_NSD_9__find_if7functorIS9_EEEE10hipError_tPvRmT1_T2_T3_mT4_P12ihipStream_tbEUlT_E0_NS1_11comp_targetILNS1_3genE5ELNS1_11target_archE942ELNS1_3gpuE9ELNS1_3repE0EEENS1_30default_config_static_selectorELNS0_4arch9wavefront6targetE0EEEvS14_.private_seg_size, 0
	.set _ZN7rocprim17ROCPRIM_400000_NS6detail17trampoline_kernelINS0_14default_configENS1_22reduce_config_selectorIN6thrust23THRUST_200600_302600_NS5tupleIblNS6_9null_typeES8_S8_S8_S8_S8_S8_S8_EEEEZNS1_11reduce_implILb1ES3_NS6_12zip_iteratorINS7_INS6_11hip_rocprim26transform_input_iterator_tIbNSD_35transform_pair_of_input_iterators_tIbNS6_6detail15normal_iteratorINS6_10device_ptrIKsEEEESL_NS6_8equal_toIsEEEENSG_9not_fun_tINSD_8identityEEEEENSD_19counting_iterator_tIlEES8_S8_S8_S8_S8_S8_S8_S8_EEEEPS9_S9_NSD_9__find_if7functorIS9_EEEE10hipError_tPvRmT1_T2_T3_mT4_P12ihipStream_tbEUlT_E0_NS1_11comp_targetILNS1_3genE5ELNS1_11target_archE942ELNS1_3gpuE9ELNS1_3repE0EEENS1_30default_config_static_selectorELNS0_4arch9wavefront6targetE0EEEvS14_.uses_vcc, 0
	.set _ZN7rocprim17ROCPRIM_400000_NS6detail17trampoline_kernelINS0_14default_configENS1_22reduce_config_selectorIN6thrust23THRUST_200600_302600_NS5tupleIblNS6_9null_typeES8_S8_S8_S8_S8_S8_S8_EEEEZNS1_11reduce_implILb1ES3_NS6_12zip_iteratorINS7_INS6_11hip_rocprim26transform_input_iterator_tIbNSD_35transform_pair_of_input_iterators_tIbNS6_6detail15normal_iteratorINS6_10device_ptrIKsEEEESL_NS6_8equal_toIsEEEENSG_9not_fun_tINSD_8identityEEEEENSD_19counting_iterator_tIlEES8_S8_S8_S8_S8_S8_S8_S8_EEEEPS9_S9_NSD_9__find_if7functorIS9_EEEE10hipError_tPvRmT1_T2_T3_mT4_P12ihipStream_tbEUlT_E0_NS1_11comp_targetILNS1_3genE5ELNS1_11target_archE942ELNS1_3gpuE9ELNS1_3repE0EEENS1_30default_config_static_selectorELNS0_4arch9wavefront6targetE0EEEvS14_.uses_flat_scratch, 0
	.set _ZN7rocprim17ROCPRIM_400000_NS6detail17trampoline_kernelINS0_14default_configENS1_22reduce_config_selectorIN6thrust23THRUST_200600_302600_NS5tupleIblNS6_9null_typeES8_S8_S8_S8_S8_S8_S8_EEEEZNS1_11reduce_implILb1ES3_NS6_12zip_iteratorINS7_INS6_11hip_rocprim26transform_input_iterator_tIbNSD_35transform_pair_of_input_iterators_tIbNS6_6detail15normal_iteratorINS6_10device_ptrIKsEEEESL_NS6_8equal_toIsEEEENSG_9not_fun_tINSD_8identityEEEEENSD_19counting_iterator_tIlEES8_S8_S8_S8_S8_S8_S8_S8_EEEEPS9_S9_NSD_9__find_if7functorIS9_EEEE10hipError_tPvRmT1_T2_T3_mT4_P12ihipStream_tbEUlT_E0_NS1_11comp_targetILNS1_3genE5ELNS1_11target_archE942ELNS1_3gpuE9ELNS1_3repE0EEENS1_30default_config_static_selectorELNS0_4arch9wavefront6targetE0EEEvS14_.has_dyn_sized_stack, 0
	.set _ZN7rocprim17ROCPRIM_400000_NS6detail17trampoline_kernelINS0_14default_configENS1_22reduce_config_selectorIN6thrust23THRUST_200600_302600_NS5tupleIblNS6_9null_typeES8_S8_S8_S8_S8_S8_S8_EEEEZNS1_11reduce_implILb1ES3_NS6_12zip_iteratorINS7_INS6_11hip_rocprim26transform_input_iterator_tIbNSD_35transform_pair_of_input_iterators_tIbNS6_6detail15normal_iteratorINS6_10device_ptrIKsEEEESL_NS6_8equal_toIsEEEENSG_9not_fun_tINSD_8identityEEEEENSD_19counting_iterator_tIlEES8_S8_S8_S8_S8_S8_S8_S8_EEEEPS9_S9_NSD_9__find_if7functorIS9_EEEE10hipError_tPvRmT1_T2_T3_mT4_P12ihipStream_tbEUlT_E0_NS1_11comp_targetILNS1_3genE5ELNS1_11target_archE942ELNS1_3gpuE9ELNS1_3repE0EEENS1_30default_config_static_selectorELNS0_4arch9wavefront6targetE0EEEvS14_.has_recursion, 0
	.set _ZN7rocprim17ROCPRIM_400000_NS6detail17trampoline_kernelINS0_14default_configENS1_22reduce_config_selectorIN6thrust23THRUST_200600_302600_NS5tupleIblNS6_9null_typeES8_S8_S8_S8_S8_S8_S8_EEEEZNS1_11reduce_implILb1ES3_NS6_12zip_iteratorINS7_INS6_11hip_rocprim26transform_input_iterator_tIbNSD_35transform_pair_of_input_iterators_tIbNS6_6detail15normal_iteratorINS6_10device_ptrIKsEEEESL_NS6_8equal_toIsEEEENSG_9not_fun_tINSD_8identityEEEEENSD_19counting_iterator_tIlEES8_S8_S8_S8_S8_S8_S8_S8_EEEEPS9_S9_NSD_9__find_if7functorIS9_EEEE10hipError_tPvRmT1_T2_T3_mT4_P12ihipStream_tbEUlT_E0_NS1_11comp_targetILNS1_3genE5ELNS1_11target_archE942ELNS1_3gpuE9ELNS1_3repE0EEENS1_30default_config_static_selectorELNS0_4arch9wavefront6targetE0EEEvS14_.has_indirect_call, 0
	.section	.AMDGPU.csdata,"",@progbits
; Kernel info:
; codeLenInByte = 0
; TotalNumSgprs: 0
; NumVgprs: 0
; ScratchSize: 0
; MemoryBound: 0
; FloatMode: 240
; IeeeMode: 1
; LDSByteSize: 0 bytes/workgroup (compile time only)
; SGPRBlocks: 0
; VGPRBlocks: 0
; NumSGPRsForWavesPerEU: 1
; NumVGPRsForWavesPerEU: 1
; Occupancy: 16
; WaveLimiterHint : 0
; COMPUTE_PGM_RSRC2:SCRATCH_EN: 0
; COMPUTE_PGM_RSRC2:USER_SGPR: 6
; COMPUTE_PGM_RSRC2:TRAP_HANDLER: 0
; COMPUTE_PGM_RSRC2:TGID_X_EN: 1
; COMPUTE_PGM_RSRC2:TGID_Y_EN: 0
; COMPUTE_PGM_RSRC2:TGID_Z_EN: 0
; COMPUTE_PGM_RSRC2:TIDIG_COMP_CNT: 0
	.section	.text._ZN7rocprim17ROCPRIM_400000_NS6detail17trampoline_kernelINS0_14default_configENS1_22reduce_config_selectorIN6thrust23THRUST_200600_302600_NS5tupleIblNS6_9null_typeES8_S8_S8_S8_S8_S8_S8_EEEEZNS1_11reduce_implILb1ES3_NS6_12zip_iteratorINS7_INS6_11hip_rocprim26transform_input_iterator_tIbNSD_35transform_pair_of_input_iterators_tIbNS6_6detail15normal_iteratorINS6_10device_ptrIKsEEEESL_NS6_8equal_toIsEEEENSG_9not_fun_tINSD_8identityEEEEENSD_19counting_iterator_tIlEES8_S8_S8_S8_S8_S8_S8_S8_EEEEPS9_S9_NSD_9__find_if7functorIS9_EEEE10hipError_tPvRmT1_T2_T3_mT4_P12ihipStream_tbEUlT_E0_NS1_11comp_targetILNS1_3genE4ELNS1_11target_archE910ELNS1_3gpuE8ELNS1_3repE0EEENS1_30default_config_static_selectorELNS0_4arch9wavefront6targetE0EEEvS14_,"axG",@progbits,_ZN7rocprim17ROCPRIM_400000_NS6detail17trampoline_kernelINS0_14default_configENS1_22reduce_config_selectorIN6thrust23THRUST_200600_302600_NS5tupleIblNS6_9null_typeES8_S8_S8_S8_S8_S8_S8_EEEEZNS1_11reduce_implILb1ES3_NS6_12zip_iteratorINS7_INS6_11hip_rocprim26transform_input_iterator_tIbNSD_35transform_pair_of_input_iterators_tIbNS6_6detail15normal_iteratorINS6_10device_ptrIKsEEEESL_NS6_8equal_toIsEEEENSG_9not_fun_tINSD_8identityEEEEENSD_19counting_iterator_tIlEES8_S8_S8_S8_S8_S8_S8_S8_EEEEPS9_S9_NSD_9__find_if7functorIS9_EEEE10hipError_tPvRmT1_T2_T3_mT4_P12ihipStream_tbEUlT_E0_NS1_11comp_targetILNS1_3genE4ELNS1_11target_archE910ELNS1_3gpuE8ELNS1_3repE0EEENS1_30default_config_static_selectorELNS0_4arch9wavefront6targetE0EEEvS14_,comdat
	.protected	_ZN7rocprim17ROCPRIM_400000_NS6detail17trampoline_kernelINS0_14default_configENS1_22reduce_config_selectorIN6thrust23THRUST_200600_302600_NS5tupleIblNS6_9null_typeES8_S8_S8_S8_S8_S8_S8_EEEEZNS1_11reduce_implILb1ES3_NS6_12zip_iteratorINS7_INS6_11hip_rocprim26transform_input_iterator_tIbNSD_35transform_pair_of_input_iterators_tIbNS6_6detail15normal_iteratorINS6_10device_ptrIKsEEEESL_NS6_8equal_toIsEEEENSG_9not_fun_tINSD_8identityEEEEENSD_19counting_iterator_tIlEES8_S8_S8_S8_S8_S8_S8_S8_EEEEPS9_S9_NSD_9__find_if7functorIS9_EEEE10hipError_tPvRmT1_T2_T3_mT4_P12ihipStream_tbEUlT_E0_NS1_11comp_targetILNS1_3genE4ELNS1_11target_archE910ELNS1_3gpuE8ELNS1_3repE0EEENS1_30default_config_static_selectorELNS0_4arch9wavefront6targetE0EEEvS14_ ; -- Begin function _ZN7rocprim17ROCPRIM_400000_NS6detail17trampoline_kernelINS0_14default_configENS1_22reduce_config_selectorIN6thrust23THRUST_200600_302600_NS5tupleIblNS6_9null_typeES8_S8_S8_S8_S8_S8_S8_EEEEZNS1_11reduce_implILb1ES3_NS6_12zip_iteratorINS7_INS6_11hip_rocprim26transform_input_iterator_tIbNSD_35transform_pair_of_input_iterators_tIbNS6_6detail15normal_iteratorINS6_10device_ptrIKsEEEESL_NS6_8equal_toIsEEEENSG_9not_fun_tINSD_8identityEEEEENSD_19counting_iterator_tIlEES8_S8_S8_S8_S8_S8_S8_S8_EEEEPS9_S9_NSD_9__find_if7functorIS9_EEEE10hipError_tPvRmT1_T2_T3_mT4_P12ihipStream_tbEUlT_E0_NS1_11comp_targetILNS1_3genE4ELNS1_11target_archE910ELNS1_3gpuE8ELNS1_3repE0EEENS1_30default_config_static_selectorELNS0_4arch9wavefront6targetE0EEEvS14_
	.globl	_ZN7rocprim17ROCPRIM_400000_NS6detail17trampoline_kernelINS0_14default_configENS1_22reduce_config_selectorIN6thrust23THRUST_200600_302600_NS5tupleIblNS6_9null_typeES8_S8_S8_S8_S8_S8_S8_EEEEZNS1_11reduce_implILb1ES3_NS6_12zip_iteratorINS7_INS6_11hip_rocprim26transform_input_iterator_tIbNSD_35transform_pair_of_input_iterators_tIbNS6_6detail15normal_iteratorINS6_10device_ptrIKsEEEESL_NS6_8equal_toIsEEEENSG_9not_fun_tINSD_8identityEEEEENSD_19counting_iterator_tIlEES8_S8_S8_S8_S8_S8_S8_S8_EEEEPS9_S9_NSD_9__find_if7functorIS9_EEEE10hipError_tPvRmT1_T2_T3_mT4_P12ihipStream_tbEUlT_E0_NS1_11comp_targetILNS1_3genE4ELNS1_11target_archE910ELNS1_3gpuE8ELNS1_3repE0EEENS1_30default_config_static_selectorELNS0_4arch9wavefront6targetE0EEEvS14_
	.p2align	8
	.type	_ZN7rocprim17ROCPRIM_400000_NS6detail17trampoline_kernelINS0_14default_configENS1_22reduce_config_selectorIN6thrust23THRUST_200600_302600_NS5tupleIblNS6_9null_typeES8_S8_S8_S8_S8_S8_S8_EEEEZNS1_11reduce_implILb1ES3_NS6_12zip_iteratorINS7_INS6_11hip_rocprim26transform_input_iterator_tIbNSD_35transform_pair_of_input_iterators_tIbNS6_6detail15normal_iteratorINS6_10device_ptrIKsEEEESL_NS6_8equal_toIsEEEENSG_9not_fun_tINSD_8identityEEEEENSD_19counting_iterator_tIlEES8_S8_S8_S8_S8_S8_S8_S8_EEEEPS9_S9_NSD_9__find_if7functorIS9_EEEE10hipError_tPvRmT1_T2_T3_mT4_P12ihipStream_tbEUlT_E0_NS1_11comp_targetILNS1_3genE4ELNS1_11target_archE910ELNS1_3gpuE8ELNS1_3repE0EEENS1_30default_config_static_selectorELNS0_4arch9wavefront6targetE0EEEvS14_,@function
_ZN7rocprim17ROCPRIM_400000_NS6detail17trampoline_kernelINS0_14default_configENS1_22reduce_config_selectorIN6thrust23THRUST_200600_302600_NS5tupleIblNS6_9null_typeES8_S8_S8_S8_S8_S8_S8_EEEEZNS1_11reduce_implILb1ES3_NS6_12zip_iteratorINS7_INS6_11hip_rocprim26transform_input_iterator_tIbNSD_35transform_pair_of_input_iterators_tIbNS6_6detail15normal_iteratorINS6_10device_ptrIKsEEEESL_NS6_8equal_toIsEEEENSG_9not_fun_tINSD_8identityEEEEENSD_19counting_iterator_tIlEES8_S8_S8_S8_S8_S8_S8_S8_EEEEPS9_S9_NSD_9__find_if7functorIS9_EEEE10hipError_tPvRmT1_T2_T3_mT4_P12ihipStream_tbEUlT_E0_NS1_11comp_targetILNS1_3genE4ELNS1_11target_archE910ELNS1_3gpuE8ELNS1_3repE0EEENS1_30default_config_static_selectorELNS0_4arch9wavefront6targetE0EEEvS14_: ; @_ZN7rocprim17ROCPRIM_400000_NS6detail17trampoline_kernelINS0_14default_configENS1_22reduce_config_selectorIN6thrust23THRUST_200600_302600_NS5tupleIblNS6_9null_typeES8_S8_S8_S8_S8_S8_S8_EEEEZNS1_11reduce_implILb1ES3_NS6_12zip_iteratorINS7_INS6_11hip_rocprim26transform_input_iterator_tIbNSD_35transform_pair_of_input_iterators_tIbNS6_6detail15normal_iteratorINS6_10device_ptrIKsEEEESL_NS6_8equal_toIsEEEENSG_9not_fun_tINSD_8identityEEEEENSD_19counting_iterator_tIlEES8_S8_S8_S8_S8_S8_S8_S8_EEEEPS9_S9_NSD_9__find_if7functorIS9_EEEE10hipError_tPvRmT1_T2_T3_mT4_P12ihipStream_tbEUlT_E0_NS1_11comp_targetILNS1_3genE4ELNS1_11target_archE910ELNS1_3gpuE8ELNS1_3repE0EEENS1_30default_config_static_selectorELNS0_4arch9wavefront6targetE0EEEvS14_
; %bb.0:
	.section	.rodata,"a",@progbits
	.p2align	6, 0x0
	.amdhsa_kernel _ZN7rocprim17ROCPRIM_400000_NS6detail17trampoline_kernelINS0_14default_configENS1_22reduce_config_selectorIN6thrust23THRUST_200600_302600_NS5tupleIblNS6_9null_typeES8_S8_S8_S8_S8_S8_S8_EEEEZNS1_11reduce_implILb1ES3_NS6_12zip_iteratorINS7_INS6_11hip_rocprim26transform_input_iterator_tIbNSD_35transform_pair_of_input_iterators_tIbNS6_6detail15normal_iteratorINS6_10device_ptrIKsEEEESL_NS6_8equal_toIsEEEENSG_9not_fun_tINSD_8identityEEEEENSD_19counting_iterator_tIlEES8_S8_S8_S8_S8_S8_S8_S8_EEEEPS9_S9_NSD_9__find_if7functorIS9_EEEE10hipError_tPvRmT1_T2_T3_mT4_P12ihipStream_tbEUlT_E0_NS1_11comp_targetILNS1_3genE4ELNS1_11target_archE910ELNS1_3gpuE8ELNS1_3repE0EEENS1_30default_config_static_selectorELNS0_4arch9wavefront6targetE0EEEvS14_
		.amdhsa_group_segment_fixed_size 0
		.amdhsa_private_segment_fixed_size 0
		.amdhsa_kernarg_size 104
		.amdhsa_user_sgpr_count 6
		.amdhsa_user_sgpr_private_segment_buffer 1
		.amdhsa_user_sgpr_dispatch_ptr 0
		.amdhsa_user_sgpr_queue_ptr 0
		.amdhsa_user_sgpr_kernarg_segment_ptr 1
		.amdhsa_user_sgpr_dispatch_id 0
		.amdhsa_user_sgpr_flat_scratch_init 0
		.amdhsa_user_sgpr_private_segment_size 0
		.amdhsa_wavefront_size32 1
		.amdhsa_uses_dynamic_stack 0
		.amdhsa_system_sgpr_private_segment_wavefront_offset 0
		.amdhsa_system_sgpr_workgroup_id_x 1
		.amdhsa_system_sgpr_workgroup_id_y 0
		.amdhsa_system_sgpr_workgroup_id_z 0
		.amdhsa_system_sgpr_workgroup_info 0
		.amdhsa_system_vgpr_workitem_id 0
		.amdhsa_next_free_vgpr 1
		.amdhsa_next_free_sgpr 1
		.amdhsa_reserve_vcc 0
		.amdhsa_reserve_flat_scratch 0
		.amdhsa_float_round_mode_32 0
		.amdhsa_float_round_mode_16_64 0
		.amdhsa_float_denorm_mode_32 3
		.amdhsa_float_denorm_mode_16_64 3
		.amdhsa_dx10_clamp 1
		.amdhsa_ieee_mode 1
		.amdhsa_fp16_overflow 0
		.amdhsa_workgroup_processor_mode 1
		.amdhsa_memory_ordered 1
		.amdhsa_forward_progress 1
		.amdhsa_shared_vgpr_count 0
		.amdhsa_exception_fp_ieee_invalid_op 0
		.amdhsa_exception_fp_denorm_src 0
		.amdhsa_exception_fp_ieee_div_zero 0
		.amdhsa_exception_fp_ieee_overflow 0
		.amdhsa_exception_fp_ieee_underflow 0
		.amdhsa_exception_fp_ieee_inexact 0
		.amdhsa_exception_int_div_zero 0
	.end_amdhsa_kernel
	.section	.text._ZN7rocprim17ROCPRIM_400000_NS6detail17trampoline_kernelINS0_14default_configENS1_22reduce_config_selectorIN6thrust23THRUST_200600_302600_NS5tupleIblNS6_9null_typeES8_S8_S8_S8_S8_S8_S8_EEEEZNS1_11reduce_implILb1ES3_NS6_12zip_iteratorINS7_INS6_11hip_rocprim26transform_input_iterator_tIbNSD_35transform_pair_of_input_iterators_tIbNS6_6detail15normal_iteratorINS6_10device_ptrIKsEEEESL_NS6_8equal_toIsEEEENSG_9not_fun_tINSD_8identityEEEEENSD_19counting_iterator_tIlEES8_S8_S8_S8_S8_S8_S8_S8_EEEEPS9_S9_NSD_9__find_if7functorIS9_EEEE10hipError_tPvRmT1_T2_T3_mT4_P12ihipStream_tbEUlT_E0_NS1_11comp_targetILNS1_3genE4ELNS1_11target_archE910ELNS1_3gpuE8ELNS1_3repE0EEENS1_30default_config_static_selectorELNS0_4arch9wavefront6targetE0EEEvS14_,"axG",@progbits,_ZN7rocprim17ROCPRIM_400000_NS6detail17trampoline_kernelINS0_14default_configENS1_22reduce_config_selectorIN6thrust23THRUST_200600_302600_NS5tupleIblNS6_9null_typeES8_S8_S8_S8_S8_S8_S8_EEEEZNS1_11reduce_implILb1ES3_NS6_12zip_iteratorINS7_INS6_11hip_rocprim26transform_input_iterator_tIbNSD_35transform_pair_of_input_iterators_tIbNS6_6detail15normal_iteratorINS6_10device_ptrIKsEEEESL_NS6_8equal_toIsEEEENSG_9not_fun_tINSD_8identityEEEEENSD_19counting_iterator_tIlEES8_S8_S8_S8_S8_S8_S8_S8_EEEEPS9_S9_NSD_9__find_if7functorIS9_EEEE10hipError_tPvRmT1_T2_T3_mT4_P12ihipStream_tbEUlT_E0_NS1_11comp_targetILNS1_3genE4ELNS1_11target_archE910ELNS1_3gpuE8ELNS1_3repE0EEENS1_30default_config_static_selectorELNS0_4arch9wavefront6targetE0EEEvS14_,comdat
.Lfunc_end300:
	.size	_ZN7rocprim17ROCPRIM_400000_NS6detail17trampoline_kernelINS0_14default_configENS1_22reduce_config_selectorIN6thrust23THRUST_200600_302600_NS5tupleIblNS6_9null_typeES8_S8_S8_S8_S8_S8_S8_EEEEZNS1_11reduce_implILb1ES3_NS6_12zip_iteratorINS7_INS6_11hip_rocprim26transform_input_iterator_tIbNSD_35transform_pair_of_input_iterators_tIbNS6_6detail15normal_iteratorINS6_10device_ptrIKsEEEESL_NS6_8equal_toIsEEEENSG_9not_fun_tINSD_8identityEEEEENSD_19counting_iterator_tIlEES8_S8_S8_S8_S8_S8_S8_S8_EEEEPS9_S9_NSD_9__find_if7functorIS9_EEEE10hipError_tPvRmT1_T2_T3_mT4_P12ihipStream_tbEUlT_E0_NS1_11comp_targetILNS1_3genE4ELNS1_11target_archE910ELNS1_3gpuE8ELNS1_3repE0EEENS1_30default_config_static_selectorELNS0_4arch9wavefront6targetE0EEEvS14_, .Lfunc_end300-_ZN7rocprim17ROCPRIM_400000_NS6detail17trampoline_kernelINS0_14default_configENS1_22reduce_config_selectorIN6thrust23THRUST_200600_302600_NS5tupleIblNS6_9null_typeES8_S8_S8_S8_S8_S8_S8_EEEEZNS1_11reduce_implILb1ES3_NS6_12zip_iteratorINS7_INS6_11hip_rocprim26transform_input_iterator_tIbNSD_35transform_pair_of_input_iterators_tIbNS6_6detail15normal_iteratorINS6_10device_ptrIKsEEEESL_NS6_8equal_toIsEEEENSG_9not_fun_tINSD_8identityEEEEENSD_19counting_iterator_tIlEES8_S8_S8_S8_S8_S8_S8_S8_EEEEPS9_S9_NSD_9__find_if7functorIS9_EEEE10hipError_tPvRmT1_T2_T3_mT4_P12ihipStream_tbEUlT_E0_NS1_11comp_targetILNS1_3genE4ELNS1_11target_archE910ELNS1_3gpuE8ELNS1_3repE0EEENS1_30default_config_static_selectorELNS0_4arch9wavefront6targetE0EEEvS14_
                                        ; -- End function
	.set _ZN7rocprim17ROCPRIM_400000_NS6detail17trampoline_kernelINS0_14default_configENS1_22reduce_config_selectorIN6thrust23THRUST_200600_302600_NS5tupleIblNS6_9null_typeES8_S8_S8_S8_S8_S8_S8_EEEEZNS1_11reduce_implILb1ES3_NS6_12zip_iteratorINS7_INS6_11hip_rocprim26transform_input_iterator_tIbNSD_35transform_pair_of_input_iterators_tIbNS6_6detail15normal_iteratorINS6_10device_ptrIKsEEEESL_NS6_8equal_toIsEEEENSG_9not_fun_tINSD_8identityEEEEENSD_19counting_iterator_tIlEES8_S8_S8_S8_S8_S8_S8_S8_EEEEPS9_S9_NSD_9__find_if7functorIS9_EEEE10hipError_tPvRmT1_T2_T3_mT4_P12ihipStream_tbEUlT_E0_NS1_11comp_targetILNS1_3genE4ELNS1_11target_archE910ELNS1_3gpuE8ELNS1_3repE0EEENS1_30default_config_static_selectorELNS0_4arch9wavefront6targetE0EEEvS14_.num_vgpr, 0
	.set _ZN7rocprim17ROCPRIM_400000_NS6detail17trampoline_kernelINS0_14default_configENS1_22reduce_config_selectorIN6thrust23THRUST_200600_302600_NS5tupleIblNS6_9null_typeES8_S8_S8_S8_S8_S8_S8_EEEEZNS1_11reduce_implILb1ES3_NS6_12zip_iteratorINS7_INS6_11hip_rocprim26transform_input_iterator_tIbNSD_35transform_pair_of_input_iterators_tIbNS6_6detail15normal_iteratorINS6_10device_ptrIKsEEEESL_NS6_8equal_toIsEEEENSG_9not_fun_tINSD_8identityEEEEENSD_19counting_iterator_tIlEES8_S8_S8_S8_S8_S8_S8_S8_EEEEPS9_S9_NSD_9__find_if7functorIS9_EEEE10hipError_tPvRmT1_T2_T3_mT4_P12ihipStream_tbEUlT_E0_NS1_11comp_targetILNS1_3genE4ELNS1_11target_archE910ELNS1_3gpuE8ELNS1_3repE0EEENS1_30default_config_static_selectorELNS0_4arch9wavefront6targetE0EEEvS14_.num_agpr, 0
	.set _ZN7rocprim17ROCPRIM_400000_NS6detail17trampoline_kernelINS0_14default_configENS1_22reduce_config_selectorIN6thrust23THRUST_200600_302600_NS5tupleIblNS6_9null_typeES8_S8_S8_S8_S8_S8_S8_EEEEZNS1_11reduce_implILb1ES3_NS6_12zip_iteratorINS7_INS6_11hip_rocprim26transform_input_iterator_tIbNSD_35transform_pair_of_input_iterators_tIbNS6_6detail15normal_iteratorINS6_10device_ptrIKsEEEESL_NS6_8equal_toIsEEEENSG_9not_fun_tINSD_8identityEEEEENSD_19counting_iterator_tIlEES8_S8_S8_S8_S8_S8_S8_S8_EEEEPS9_S9_NSD_9__find_if7functorIS9_EEEE10hipError_tPvRmT1_T2_T3_mT4_P12ihipStream_tbEUlT_E0_NS1_11comp_targetILNS1_3genE4ELNS1_11target_archE910ELNS1_3gpuE8ELNS1_3repE0EEENS1_30default_config_static_selectorELNS0_4arch9wavefront6targetE0EEEvS14_.numbered_sgpr, 0
	.set _ZN7rocprim17ROCPRIM_400000_NS6detail17trampoline_kernelINS0_14default_configENS1_22reduce_config_selectorIN6thrust23THRUST_200600_302600_NS5tupleIblNS6_9null_typeES8_S8_S8_S8_S8_S8_S8_EEEEZNS1_11reduce_implILb1ES3_NS6_12zip_iteratorINS7_INS6_11hip_rocprim26transform_input_iterator_tIbNSD_35transform_pair_of_input_iterators_tIbNS6_6detail15normal_iteratorINS6_10device_ptrIKsEEEESL_NS6_8equal_toIsEEEENSG_9not_fun_tINSD_8identityEEEEENSD_19counting_iterator_tIlEES8_S8_S8_S8_S8_S8_S8_S8_EEEEPS9_S9_NSD_9__find_if7functorIS9_EEEE10hipError_tPvRmT1_T2_T3_mT4_P12ihipStream_tbEUlT_E0_NS1_11comp_targetILNS1_3genE4ELNS1_11target_archE910ELNS1_3gpuE8ELNS1_3repE0EEENS1_30default_config_static_selectorELNS0_4arch9wavefront6targetE0EEEvS14_.num_named_barrier, 0
	.set _ZN7rocprim17ROCPRIM_400000_NS6detail17trampoline_kernelINS0_14default_configENS1_22reduce_config_selectorIN6thrust23THRUST_200600_302600_NS5tupleIblNS6_9null_typeES8_S8_S8_S8_S8_S8_S8_EEEEZNS1_11reduce_implILb1ES3_NS6_12zip_iteratorINS7_INS6_11hip_rocprim26transform_input_iterator_tIbNSD_35transform_pair_of_input_iterators_tIbNS6_6detail15normal_iteratorINS6_10device_ptrIKsEEEESL_NS6_8equal_toIsEEEENSG_9not_fun_tINSD_8identityEEEEENSD_19counting_iterator_tIlEES8_S8_S8_S8_S8_S8_S8_S8_EEEEPS9_S9_NSD_9__find_if7functorIS9_EEEE10hipError_tPvRmT1_T2_T3_mT4_P12ihipStream_tbEUlT_E0_NS1_11comp_targetILNS1_3genE4ELNS1_11target_archE910ELNS1_3gpuE8ELNS1_3repE0EEENS1_30default_config_static_selectorELNS0_4arch9wavefront6targetE0EEEvS14_.private_seg_size, 0
	.set _ZN7rocprim17ROCPRIM_400000_NS6detail17trampoline_kernelINS0_14default_configENS1_22reduce_config_selectorIN6thrust23THRUST_200600_302600_NS5tupleIblNS6_9null_typeES8_S8_S8_S8_S8_S8_S8_EEEEZNS1_11reduce_implILb1ES3_NS6_12zip_iteratorINS7_INS6_11hip_rocprim26transform_input_iterator_tIbNSD_35transform_pair_of_input_iterators_tIbNS6_6detail15normal_iteratorINS6_10device_ptrIKsEEEESL_NS6_8equal_toIsEEEENSG_9not_fun_tINSD_8identityEEEEENSD_19counting_iterator_tIlEES8_S8_S8_S8_S8_S8_S8_S8_EEEEPS9_S9_NSD_9__find_if7functorIS9_EEEE10hipError_tPvRmT1_T2_T3_mT4_P12ihipStream_tbEUlT_E0_NS1_11comp_targetILNS1_3genE4ELNS1_11target_archE910ELNS1_3gpuE8ELNS1_3repE0EEENS1_30default_config_static_selectorELNS0_4arch9wavefront6targetE0EEEvS14_.uses_vcc, 0
	.set _ZN7rocprim17ROCPRIM_400000_NS6detail17trampoline_kernelINS0_14default_configENS1_22reduce_config_selectorIN6thrust23THRUST_200600_302600_NS5tupleIblNS6_9null_typeES8_S8_S8_S8_S8_S8_S8_EEEEZNS1_11reduce_implILb1ES3_NS6_12zip_iteratorINS7_INS6_11hip_rocprim26transform_input_iterator_tIbNSD_35transform_pair_of_input_iterators_tIbNS6_6detail15normal_iteratorINS6_10device_ptrIKsEEEESL_NS6_8equal_toIsEEEENSG_9not_fun_tINSD_8identityEEEEENSD_19counting_iterator_tIlEES8_S8_S8_S8_S8_S8_S8_S8_EEEEPS9_S9_NSD_9__find_if7functorIS9_EEEE10hipError_tPvRmT1_T2_T3_mT4_P12ihipStream_tbEUlT_E0_NS1_11comp_targetILNS1_3genE4ELNS1_11target_archE910ELNS1_3gpuE8ELNS1_3repE0EEENS1_30default_config_static_selectorELNS0_4arch9wavefront6targetE0EEEvS14_.uses_flat_scratch, 0
	.set _ZN7rocprim17ROCPRIM_400000_NS6detail17trampoline_kernelINS0_14default_configENS1_22reduce_config_selectorIN6thrust23THRUST_200600_302600_NS5tupleIblNS6_9null_typeES8_S8_S8_S8_S8_S8_S8_EEEEZNS1_11reduce_implILb1ES3_NS6_12zip_iteratorINS7_INS6_11hip_rocprim26transform_input_iterator_tIbNSD_35transform_pair_of_input_iterators_tIbNS6_6detail15normal_iteratorINS6_10device_ptrIKsEEEESL_NS6_8equal_toIsEEEENSG_9not_fun_tINSD_8identityEEEEENSD_19counting_iterator_tIlEES8_S8_S8_S8_S8_S8_S8_S8_EEEEPS9_S9_NSD_9__find_if7functorIS9_EEEE10hipError_tPvRmT1_T2_T3_mT4_P12ihipStream_tbEUlT_E0_NS1_11comp_targetILNS1_3genE4ELNS1_11target_archE910ELNS1_3gpuE8ELNS1_3repE0EEENS1_30default_config_static_selectorELNS0_4arch9wavefront6targetE0EEEvS14_.has_dyn_sized_stack, 0
	.set _ZN7rocprim17ROCPRIM_400000_NS6detail17trampoline_kernelINS0_14default_configENS1_22reduce_config_selectorIN6thrust23THRUST_200600_302600_NS5tupleIblNS6_9null_typeES8_S8_S8_S8_S8_S8_S8_EEEEZNS1_11reduce_implILb1ES3_NS6_12zip_iteratorINS7_INS6_11hip_rocprim26transform_input_iterator_tIbNSD_35transform_pair_of_input_iterators_tIbNS6_6detail15normal_iteratorINS6_10device_ptrIKsEEEESL_NS6_8equal_toIsEEEENSG_9not_fun_tINSD_8identityEEEEENSD_19counting_iterator_tIlEES8_S8_S8_S8_S8_S8_S8_S8_EEEEPS9_S9_NSD_9__find_if7functorIS9_EEEE10hipError_tPvRmT1_T2_T3_mT4_P12ihipStream_tbEUlT_E0_NS1_11comp_targetILNS1_3genE4ELNS1_11target_archE910ELNS1_3gpuE8ELNS1_3repE0EEENS1_30default_config_static_selectorELNS0_4arch9wavefront6targetE0EEEvS14_.has_recursion, 0
	.set _ZN7rocprim17ROCPRIM_400000_NS6detail17trampoline_kernelINS0_14default_configENS1_22reduce_config_selectorIN6thrust23THRUST_200600_302600_NS5tupleIblNS6_9null_typeES8_S8_S8_S8_S8_S8_S8_EEEEZNS1_11reduce_implILb1ES3_NS6_12zip_iteratorINS7_INS6_11hip_rocprim26transform_input_iterator_tIbNSD_35transform_pair_of_input_iterators_tIbNS6_6detail15normal_iteratorINS6_10device_ptrIKsEEEESL_NS6_8equal_toIsEEEENSG_9not_fun_tINSD_8identityEEEEENSD_19counting_iterator_tIlEES8_S8_S8_S8_S8_S8_S8_S8_EEEEPS9_S9_NSD_9__find_if7functorIS9_EEEE10hipError_tPvRmT1_T2_T3_mT4_P12ihipStream_tbEUlT_E0_NS1_11comp_targetILNS1_3genE4ELNS1_11target_archE910ELNS1_3gpuE8ELNS1_3repE0EEENS1_30default_config_static_selectorELNS0_4arch9wavefront6targetE0EEEvS14_.has_indirect_call, 0
	.section	.AMDGPU.csdata,"",@progbits
; Kernel info:
; codeLenInByte = 0
; TotalNumSgprs: 0
; NumVgprs: 0
; ScratchSize: 0
; MemoryBound: 0
; FloatMode: 240
; IeeeMode: 1
; LDSByteSize: 0 bytes/workgroup (compile time only)
; SGPRBlocks: 0
; VGPRBlocks: 0
; NumSGPRsForWavesPerEU: 1
; NumVGPRsForWavesPerEU: 1
; Occupancy: 16
; WaveLimiterHint : 0
; COMPUTE_PGM_RSRC2:SCRATCH_EN: 0
; COMPUTE_PGM_RSRC2:USER_SGPR: 6
; COMPUTE_PGM_RSRC2:TRAP_HANDLER: 0
; COMPUTE_PGM_RSRC2:TGID_X_EN: 1
; COMPUTE_PGM_RSRC2:TGID_Y_EN: 0
; COMPUTE_PGM_RSRC2:TGID_Z_EN: 0
; COMPUTE_PGM_RSRC2:TIDIG_COMP_CNT: 0
	.section	.text._ZN7rocprim17ROCPRIM_400000_NS6detail17trampoline_kernelINS0_14default_configENS1_22reduce_config_selectorIN6thrust23THRUST_200600_302600_NS5tupleIblNS6_9null_typeES8_S8_S8_S8_S8_S8_S8_EEEEZNS1_11reduce_implILb1ES3_NS6_12zip_iteratorINS7_INS6_11hip_rocprim26transform_input_iterator_tIbNSD_35transform_pair_of_input_iterators_tIbNS6_6detail15normal_iteratorINS6_10device_ptrIKsEEEESL_NS6_8equal_toIsEEEENSG_9not_fun_tINSD_8identityEEEEENSD_19counting_iterator_tIlEES8_S8_S8_S8_S8_S8_S8_S8_EEEEPS9_S9_NSD_9__find_if7functorIS9_EEEE10hipError_tPvRmT1_T2_T3_mT4_P12ihipStream_tbEUlT_E0_NS1_11comp_targetILNS1_3genE3ELNS1_11target_archE908ELNS1_3gpuE7ELNS1_3repE0EEENS1_30default_config_static_selectorELNS0_4arch9wavefront6targetE0EEEvS14_,"axG",@progbits,_ZN7rocprim17ROCPRIM_400000_NS6detail17trampoline_kernelINS0_14default_configENS1_22reduce_config_selectorIN6thrust23THRUST_200600_302600_NS5tupleIblNS6_9null_typeES8_S8_S8_S8_S8_S8_S8_EEEEZNS1_11reduce_implILb1ES3_NS6_12zip_iteratorINS7_INS6_11hip_rocprim26transform_input_iterator_tIbNSD_35transform_pair_of_input_iterators_tIbNS6_6detail15normal_iteratorINS6_10device_ptrIKsEEEESL_NS6_8equal_toIsEEEENSG_9not_fun_tINSD_8identityEEEEENSD_19counting_iterator_tIlEES8_S8_S8_S8_S8_S8_S8_S8_EEEEPS9_S9_NSD_9__find_if7functorIS9_EEEE10hipError_tPvRmT1_T2_T3_mT4_P12ihipStream_tbEUlT_E0_NS1_11comp_targetILNS1_3genE3ELNS1_11target_archE908ELNS1_3gpuE7ELNS1_3repE0EEENS1_30default_config_static_selectorELNS0_4arch9wavefront6targetE0EEEvS14_,comdat
	.protected	_ZN7rocprim17ROCPRIM_400000_NS6detail17trampoline_kernelINS0_14default_configENS1_22reduce_config_selectorIN6thrust23THRUST_200600_302600_NS5tupleIblNS6_9null_typeES8_S8_S8_S8_S8_S8_S8_EEEEZNS1_11reduce_implILb1ES3_NS6_12zip_iteratorINS7_INS6_11hip_rocprim26transform_input_iterator_tIbNSD_35transform_pair_of_input_iterators_tIbNS6_6detail15normal_iteratorINS6_10device_ptrIKsEEEESL_NS6_8equal_toIsEEEENSG_9not_fun_tINSD_8identityEEEEENSD_19counting_iterator_tIlEES8_S8_S8_S8_S8_S8_S8_S8_EEEEPS9_S9_NSD_9__find_if7functorIS9_EEEE10hipError_tPvRmT1_T2_T3_mT4_P12ihipStream_tbEUlT_E0_NS1_11comp_targetILNS1_3genE3ELNS1_11target_archE908ELNS1_3gpuE7ELNS1_3repE0EEENS1_30default_config_static_selectorELNS0_4arch9wavefront6targetE0EEEvS14_ ; -- Begin function _ZN7rocprim17ROCPRIM_400000_NS6detail17trampoline_kernelINS0_14default_configENS1_22reduce_config_selectorIN6thrust23THRUST_200600_302600_NS5tupleIblNS6_9null_typeES8_S8_S8_S8_S8_S8_S8_EEEEZNS1_11reduce_implILb1ES3_NS6_12zip_iteratorINS7_INS6_11hip_rocprim26transform_input_iterator_tIbNSD_35transform_pair_of_input_iterators_tIbNS6_6detail15normal_iteratorINS6_10device_ptrIKsEEEESL_NS6_8equal_toIsEEEENSG_9not_fun_tINSD_8identityEEEEENSD_19counting_iterator_tIlEES8_S8_S8_S8_S8_S8_S8_S8_EEEEPS9_S9_NSD_9__find_if7functorIS9_EEEE10hipError_tPvRmT1_T2_T3_mT4_P12ihipStream_tbEUlT_E0_NS1_11comp_targetILNS1_3genE3ELNS1_11target_archE908ELNS1_3gpuE7ELNS1_3repE0EEENS1_30default_config_static_selectorELNS0_4arch9wavefront6targetE0EEEvS14_
	.globl	_ZN7rocprim17ROCPRIM_400000_NS6detail17trampoline_kernelINS0_14default_configENS1_22reduce_config_selectorIN6thrust23THRUST_200600_302600_NS5tupleIblNS6_9null_typeES8_S8_S8_S8_S8_S8_S8_EEEEZNS1_11reduce_implILb1ES3_NS6_12zip_iteratorINS7_INS6_11hip_rocprim26transform_input_iterator_tIbNSD_35transform_pair_of_input_iterators_tIbNS6_6detail15normal_iteratorINS6_10device_ptrIKsEEEESL_NS6_8equal_toIsEEEENSG_9not_fun_tINSD_8identityEEEEENSD_19counting_iterator_tIlEES8_S8_S8_S8_S8_S8_S8_S8_EEEEPS9_S9_NSD_9__find_if7functorIS9_EEEE10hipError_tPvRmT1_T2_T3_mT4_P12ihipStream_tbEUlT_E0_NS1_11comp_targetILNS1_3genE3ELNS1_11target_archE908ELNS1_3gpuE7ELNS1_3repE0EEENS1_30default_config_static_selectorELNS0_4arch9wavefront6targetE0EEEvS14_
	.p2align	8
	.type	_ZN7rocprim17ROCPRIM_400000_NS6detail17trampoline_kernelINS0_14default_configENS1_22reduce_config_selectorIN6thrust23THRUST_200600_302600_NS5tupleIblNS6_9null_typeES8_S8_S8_S8_S8_S8_S8_EEEEZNS1_11reduce_implILb1ES3_NS6_12zip_iteratorINS7_INS6_11hip_rocprim26transform_input_iterator_tIbNSD_35transform_pair_of_input_iterators_tIbNS6_6detail15normal_iteratorINS6_10device_ptrIKsEEEESL_NS6_8equal_toIsEEEENSG_9not_fun_tINSD_8identityEEEEENSD_19counting_iterator_tIlEES8_S8_S8_S8_S8_S8_S8_S8_EEEEPS9_S9_NSD_9__find_if7functorIS9_EEEE10hipError_tPvRmT1_T2_T3_mT4_P12ihipStream_tbEUlT_E0_NS1_11comp_targetILNS1_3genE3ELNS1_11target_archE908ELNS1_3gpuE7ELNS1_3repE0EEENS1_30default_config_static_selectorELNS0_4arch9wavefront6targetE0EEEvS14_,@function
_ZN7rocprim17ROCPRIM_400000_NS6detail17trampoline_kernelINS0_14default_configENS1_22reduce_config_selectorIN6thrust23THRUST_200600_302600_NS5tupleIblNS6_9null_typeES8_S8_S8_S8_S8_S8_S8_EEEEZNS1_11reduce_implILb1ES3_NS6_12zip_iteratorINS7_INS6_11hip_rocprim26transform_input_iterator_tIbNSD_35transform_pair_of_input_iterators_tIbNS6_6detail15normal_iteratorINS6_10device_ptrIKsEEEESL_NS6_8equal_toIsEEEENSG_9not_fun_tINSD_8identityEEEEENSD_19counting_iterator_tIlEES8_S8_S8_S8_S8_S8_S8_S8_EEEEPS9_S9_NSD_9__find_if7functorIS9_EEEE10hipError_tPvRmT1_T2_T3_mT4_P12ihipStream_tbEUlT_E0_NS1_11comp_targetILNS1_3genE3ELNS1_11target_archE908ELNS1_3gpuE7ELNS1_3repE0EEENS1_30default_config_static_selectorELNS0_4arch9wavefront6targetE0EEEvS14_: ; @_ZN7rocprim17ROCPRIM_400000_NS6detail17trampoline_kernelINS0_14default_configENS1_22reduce_config_selectorIN6thrust23THRUST_200600_302600_NS5tupleIblNS6_9null_typeES8_S8_S8_S8_S8_S8_S8_EEEEZNS1_11reduce_implILb1ES3_NS6_12zip_iteratorINS7_INS6_11hip_rocprim26transform_input_iterator_tIbNSD_35transform_pair_of_input_iterators_tIbNS6_6detail15normal_iteratorINS6_10device_ptrIKsEEEESL_NS6_8equal_toIsEEEENSG_9not_fun_tINSD_8identityEEEEENSD_19counting_iterator_tIlEES8_S8_S8_S8_S8_S8_S8_S8_EEEEPS9_S9_NSD_9__find_if7functorIS9_EEEE10hipError_tPvRmT1_T2_T3_mT4_P12ihipStream_tbEUlT_E0_NS1_11comp_targetILNS1_3genE3ELNS1_11target_archE908ELNS1_3gpuE7ELNS1_3repE0EEENS1_30default_config_static_selectorELNS0_4arch9wavefront6targetE0EEEvS14_
; %bb.0:
	.section	.rodata,"a",@progbits
	.p2align	6, 0x0
	.amdhsa_kernel _ZN7rocprim17ROCPRIM_400000_NS6detail17trampoline_kernelINS0_14default_configENS1_22reduce_config_selectorIN6thrust23THRUST_200600_302600_NS5tupleIblNS6_9null_typeES8_S8_S8_S8_S8_S8_S8_EEEEZNS1_11reduce_implILb1ES3_NS6_12zip_iteratorINS7_INS6_11hip_rocprim26transform_input_iterator_tIbNSD_35transform_pair_of_input_iterators_tIbNS6_6detail15normal_iteratorINS6_10device_ptrIKsEEEESL_NS6_8equal_toIsEEEENSG_9not_fun_tINSD_8identityEEEEENSD_19counting_iterator_tIlEES8_S8_S8_S8_S8_S8_S8_S8_EEEEPS9_S9_NSD_9__find_if7functorIS9_EEEE10hipError_tPvRmT1_T2_T3_mT4_P12ihipStream_tbEUlT_E0_NS1_11comp_targetILNS1_3genE3ELNS1_11target_archE908ELNS1_3gpuE7ELNS1_3repE0EEENS1_30default_config_static_selectorELNS0_4arch9wavefront6targetE0EEEvS14_
		.amdhsa_group_segment_fixed_size 0
		.amdhsa_private_segment_fixed_size 0
		.amdhsa_kernarg_size 104
		.amdhsa_user_sgpr_count 6
		.amdhsa_user_sgpr_private_segment_buffer 1
		.amdhsa_user_sgpr_dispatch_ptr 0
		.amdhsa_user_sgpr_queue_ptr 0
		.amdhsa_user_sgpr_kernarg_segment_ptr 1
		.amdhsa_user_sgpr_dispatch_id 0
		.amdhsa_user_sgpr_flat_scratch_init 0
		.amdhsa_user_sgpr_private_segment_size 0
		.amdhsa_wavefront_size32 1
		.amdhsa_uses_dynamic_stack 0
		.amdhsa_system_sgpr_private_segment_wavefront_offset 0
		.amdhsa_system_sgpr_workgroup_id_x 1
		.amdhsa_system_sgpr_workgroup_id_y 0
		.amdhsa_system_sgpr_workgroup_id_z 0
		.amdhsa_system_sgpr_workgroup_info 0
		.amdhsa_system_vgpr_workitem_id 0
		.amdhsa_next_free_vgpr 1
		.amdhsa_next_free_sgpr 1
		.amdhsa_reserve_vcc 0
		.amdhsa_reserve_flat_scratch 0
		.amdhsa_float_round_mode_32 0
		.amdhsa_float_round_mode_16_64 0
		.amdhsa_float_denorm_mode_32 3
		.amdhsa_float_denorm_mode_16_64 3
		.amdhsa_dx10_clamp 1
		.amdhsa_ieee_mode 1
		.amdhsa_fp16_overflow 0
		.amdhsa_workgroup_processor_mode 1
		.amdhsa_memory_ordered 1
		.amdhsa_forward_progress 1
		.amdhsa_shared_vgpr_count 0
		.amdhsa_exception_fp_ieee_invalid_op 0
		.amdhsa_exception_fp_denorm_src 0
		.amdhsa_exception_fp_ieee_div_zero 0
		.amdhsa_exception_fp_ieee_overflow 0
		.amdhsa_exception_fp_ieee_underflow 0
		.amdhsa_exception_fp_ieee_inexact 0
		.amdhsa_exception_int_div_zero 0
	.end_amdhsa_kernel
	.section	.text._ZN7rocprim17ROCPRIM_400000_NS6detail17trampoline_kernelINS0_14default_configENS1_22reduce_config_selectorIN6thrust23THRUST_200600_302600_NS5tupleIblNS6_9null_typeES8_S8_S8_S8_S8_S8_S8_EEEEZNS1_11reduce_implILb1ES3_NS6_12zip_iteratorINS7_INS6_11hip_rocprim26transform_input_iterator_tIbNSD_35transform_pair_of_input_iterators_tIbNS6_6detail15normal_iteratorINS6_10device_ptrIKsEEEESL_NS6_8equal_toIsEEEENSG_9not_fun_tINSD_8identityEEEEENSD_19counting_iterator_tIlEES8_S8_S8_S8_S8_S8_S8_S8_EEEEPS9_S9_NSD_9__find_if7functorIS9_EEEE10hipError_tPvRmT1_T2_T3_mT4_P12ihipStream_tbEUlT_E0_NS1_11comp_targetILNS1_3genE3ELNS1_11target_archE908ELNS1_3gpuE7ELNS1_3repE0EEENS1_30default_config_static_selectorELNS0_4arch9wavefront6targetE0EEEvS14_,"axG",@progbits,_ZN7rocprim17ROCPRIM_400000_NS6detail17trampoline_kernelINS0_14default_configENS1_22reduce_config_selectorIN6thrust23THRUST_200600_302600_NS5tupleIblNS6_9null_typeES8_S8_S8_S8_S8_S8_S8_EEEEZNS1_11reduce_implILb1ES3_NS6_12zip_iteratorINS7_INS6_11hip_rocprim26transform_input_iterator_tIbNSD_35transform_pair_of_input_iterators_tIbNS6_6detail15normal_iteratorINS6_10device_ptrIKsEEEESL_NS6_8equal_toIsEEEENSG_9not_fun_tINSD_8identityEEEEENSD_19counting_iterator_tIlEES8_S8_S8_S8_S8_S8_S8_S8_EEEEPS9_S9_NSD_9__find_if7functorIS9_EEEE10hipError_tPvRmT1_T2_T3_mT4_P12ihipStream_tbEUlT_E0_NS1_11comp_targetILNS1_3genE3ELNS1_11target_archE908ELNS1_3gpuE7ELNS1_3repE0EEENS1_30default_config_static_selectorELNS0_4arch9wavefront6targetE0EEEvS14_,comdat
.Lfunc_end301:
	.size	_ZN7rocprim17ROCPRIM_400000_NS6detail17trampoline_kernelINS0_14default_configENS1_22reduce_config_selectorIN6thrust23THRUST_200600_302600_NS5tupleIblNS6_9null_typeES8_S8_S8_S8_S8_S8_S8_EEEEZNS1_11reduce_implILb1ES3_NS6_12zip_iteratorINS7_INS6_11hip_rocprim26transform_input_iterator_tIbNSD_35transform_pair_of_input_iterators_tIbNS6_6detail15normal_iteratorINS6_10device_ptrIKsEEEESL_NS6_8equal_toIsEEEENSG_9not_fun_tINSD_8identityEEEEENSD_19counting_iterator_tIlEES8_S8_S8_S8_S8_S8_S8_S8_EEEEPS9_S9_NSD_9__find_if7functorIS9_EEEE10hipError_tPvRmT1_T2_T3_mT4_P12ihipStream_tbEUlT_E0_NS1_11comp_targetILNS1_3genE3ELNS1_11target_archE908ELNS1_3gpuE7ELNS1_3repE0EEENS1_30default_config_static_selectorELNS0_4arch9wavefront6targetE0EEEvS14_, .Lfunc_end301-_ZN7rocprim17ROCPRIM_400000_NS6detail17trampoline_kernelINS0_14default_configENS1_22reduce_config_selectorIN6thrust23THRUST_200600_302600_NS5tupleIblNS6_9null_typeES8_S8_S8_S8_S8_S8_S8_EEEEZNS1_11reduce_implILb1ES3_NS6_12zip_iteratorINS7_INS6_11hip_rocprim26transform_input_iterator_tIbNSD_35transform_pair_of_input_iterators_tIbNS6_6detail15normal_iteratorINS6_10device_ptrIKsEEEESL_NS6_8equal_toIsEEEENSG_9not_fun_tINSD_8identityEEEEENSD_19counting_iterator_tIlEES8_S8_S8_S8_S8_S8_S8_S8_EEEEPS9_S9_NSD_9__find_if7functorIS9_EEEE10hipError_tPvRmT1_T2_T3_mT4_P12ihipStream_tbEUlT_E0_NS1_11comp_targetILNS1_3genE3ELNS1_11target_archE908ELNS1_3gpuE7ELNS1_3repE0EEENS1_30default_config_static_selectorELNS0_4arch9wavefront6targetE0EEEvS14_
                                        ; -- End function
	.set _ZN7rocprim17ROCPRIM_400000_NS6detail17trampoline_kernelINS0_14default_configENS1_22reduce_config_selectorIN6thrust23THRUST_200600_302600_NS5tupleIblNS6_9null_typeES8_S8_S8_S8_S8_S8_S8_EEEEZNS1_11reduce_implILb1ES3_NS6_12zip_iteratorINS7_INS6_11hip_rocprim26transform_input_iterator_tIbNSD_35transform_pair_of_input_iterators_tIbNS6_6detail15normal_iteratorINS6_10device_ptrIKsEEEESL_NS6_8equal_toIsEEEENSG_9not_fun_tINSD_8identityEEEEENSD_19counting_iterator_tIlEES8_S8_S8_S8_S8_S8_S8_S8_EEEEPS9_S9_NSD_9__find_if7functorIS9_EEEE10hipError_tPvRmT1_T2_T3_mT4_P12ihipStream_tbEUlT_E0_NS1_11comp_targetILNS1_3genE3ELNS1_11target_archE908ELNS1_3gpuE7ELNS1_3repE0EEENS1_30default_config_static_selectorELNS0_4arch9wavefront6targetE0EEEvS14_.num_vgpr, 0
	.set _ZN7rocprim17ROCPRIM_400000_NS6detail17trampoline_kernelINS0_14default_configENS1_22reduce_config_selectorIN6thrust23THRUST_200600_302600_NS5tupleIblNS6_9null_typeES8_S8_S8_S8_S8_S8_S8_EEEEZNS1_11reduce_implILb1ES3_NS6_12zip_iteratorINS7_INS6_11hip_rocprim26transform_input_iterator_tIbNSD_35transform_pair_of_input_iterators_tIbNS6_6detail15normal_iteratorINS6_10device_ptrIKsEEEESL_NS6_8equal_toIsEEEENSG_9not_fun_tINSD_8identityEEEEENSD_19counting_iterator_tIlEES8_S8_S8_S8_S8_S8_S8_S8_EEEEPS9_S9_NSD_9__find_if7functorIS9_EEEE10hipError_tPvRmT1_T2_T3_mT4_P12ihipStream_tbEUlT_E0_NS1_11comp_targetILNS1_3genE3ELNS1_11target_archE908ELNS1_3gpuE7ELNS1_3repE0EEENS1_30default_config_static_selectorELNS0_4arch9wavefront6targetE0EEEvS14_.num_agpr, 0
	.set _ZN7rocprim17ROCPRIM_400000_NS6detail17trampoline_kernelINS0_14default_configENS1_22reduce_config_selectorIN6thrust23THRUST_200600_302600_NS5tupleIblNS6_9null_typeES8_S8_S8_S8_S8_S8_S8_EEEEZNS1_11reduce_implILb1ES3_NS6_12zip_iteratorINS7_INS6_11hip_rocprim26transform_input_iterator_tIbNSD_35transform_pair_of_input_iterators_tIbNS6_6detail15normal_iteratorINS6_10device_ptrIKsEEEESL_NS6_8equal_toIsEEEENSG_9not_fun_tINSD_8identityEEEEENSD_19counting_iterator_tIlEES8_S8_S8_S8_S8_S8_S8_S8_EEEEPS9_S9_NSD_9__find_if7functorIS9_EEEE10hipError_tPvRmT1_T2_T3_mT4_P12ihipStream_tbEUlT_E0_NS1_11comp_targetILNS1_3genE3ELNS1_11target_archE908ELNS1_3gpuE7ELNS1_3repE0EEENS1_30default_config_static_selectorELNS0_4arch9wavefront6targetE0EEEvS14_.numbered_sgpr, 0
	.set _ZN7rocprim17ROCPRIM_400000_NS6detail17trampoline_kernelINS0_14default_configENS1_22reduce_config_selectorIN6thrust23THRUST_200600_302600_NS5tupleIblNS6_9null_typeES8_S8_S8_S8_S8_S8_S8_EEEEZNS1_11reduce_implILb1ES3_NS6_12zip_iteratorINS7_INS6_11hip_rocprim26transform_input_iterator_tIbNSD_35transform_pair_of_input_iterators_tIbNS6_6detail15normal_iteratorINS6_10device_ptrIKsEEEESL_NS6_8equal_toIsEEEENSG_9not_fun_tINSD_8identityEEEEENSD_19counting_iterator_tIlEES8_S8_S8_S8_S8_S8_S8_S8_EEEEPS9_S9_NSD_9__find_if7functorIS9_EEEE10hipError_tPvRmT1_T2_T3_mT4_P12ihipStream_tbEUlT_E0_NS1_11comp_targetILNS1_3genE3ELNS1_11target_archE908ELNS1_3gpuE7ELNS1_3repE0EEENS1_30default_config_static_selectorELNS0_4arch9wavefront6targetE0EEEvS14_.num_named_barrier, 0
	.set _ZN7rocprim17ROCPRIM_400000_NS6detail17trampoline_kernelINS0_14default_configENS1_22reduce_config_selectorIN6thrust23THRUST_200600_302600_NS5tupleIblNS6_9null_typeES8_S8_S8_S8_S8_S8_S8_EEEEZNS1_11reduce_implILb1ES3_NS6_12zip_iteratorINS7_INS6_11hip_rocprim26transform_input_iterator_tIbNSD_35transform_pair_of_input_iterators_tIbNS6_6detail15normal_iteratorINS6_10device_ptrIKsEEEESL_NS6_8equal_toIsEEEENSG_9not_fun_tINSD_8identityEEEEENSD_19counting_iterator_tIlEES8_S8_S8_S8_S8_S8_S8_S8_EEEEPS9_S9_NSD_9__find_if7functorIS9_EEEE10hipError_tPvRmT1_T2_T3_mT4_P12ihipStream_tbEUlT_E0_NS1_11comp_targetILNS1_3genE3ELNS1_11target_archE908ELNS1_3gpuE7ELNS1_3repE0EEENS1_30default_config_static_selectorELNS0_4arch9wavefront6targetE0EEEvS14_.private_seg_size, 0
	.set _ZN7rocprim17ROCPRIM_400000_NS6detail17trampoline_kernelINS0_14default_configENS1_22reduce_config_selectorIN6thrust23THRUST_200600_302600_NS5tupleIblNS6_9null_typeES8_S8_S8_S8_S8_S8_S8_EEEEZNS1_11reduce_implILb1ES3_NS6_12zip_iteratorINS7_INS6_11hip_rocprim26transform_input_iterator_tIbNSD_35transform_pair_of_input_iterators_tIbNS6_6detail15normal_iteratorINS6_10device_ptrIKsEEEESL_NS6_8equal_toIsEEEENSG_9not_fun_tINSD_8identityEEEEENSD_19counting_iterator_tIlEES8_S8_S8_S8_S8_S8_S8_S8_EEEEPS9_S9_NSD_9__find_if7functorIS9_EEEE10hipError_tPvRmT1_T2_T3_mT4_P12ihipStream_tbEUlT_E0_NS1_11comp_targetILNS1_3genE3ELNS1_11target_archE908ELNS1_3gpuE7ELNS1_3repE0EEENS1_30default_config_static_selectorELNS0_4arch9wavefront6targetE0EEEvS14_.uses_vcc, 0
	.set _ZN7rocprim17ROCPRIM_400000_NS6detail17trampoline_kernelINS0_14default_configENS1_22reduce_config_selectorIN6thrust23THRUST_200600_302600_NS5tupleIblNS6_9null_typeES8_S8_S8_S8_S8_S8_S8_EEEEZNS1_11reduce_implILb1ES3_NS6_12zip_iteratorINS7_INS6_11hip_rocprim26transform_input_iterator_tIbNSD_35transform_pair_of_input_iterators_tIbNS6_6detail15normal_iteratorINS6_10device_ptrIKsEEEESL_NS6_8equal_toIsEEEENSG_9not_fun_tINSD_8identityEEEEENSD_19counting_iterator_tIlEES8_S8_S8_S8_S8_S8_S8_S8_EEEEPS9_S9_NSD_9__find_if7functorIS9_EEEE10hipError_tPvRmT1_T2_T3_mT4_P12ihipStream_tbEUlT_E0_NS1_11comp_targetILNS1_3genE3ELNS1_11target_archE908ELNS1_3gpuE7ELNS1_3repE0EEENS1_30default_config_static_selectorELNS0_4arch9wavefront6targetE0EEEvS14_.uses_flat_scratch, 0
	.set _ZN7rocprim17ROCPRIM_400000_NS6detail17trampoline_kernelINS0_14default_configENS1_22reduce_config_selectorIN6thrust23THRUST_200600_302600_NS5tupleIblNS6_9null_typeES8_S8_S8_S8_S8_S8_S8_EEEEZNS1_11reduce_implILb1ES3_NS6_12zip_iteratorINS7_INS6_11hip_rocprim26transform_input_iterator_tIbNSD_35transform_pair_of_input_iterators_tIbNS6_6detail15normal_iteratorINS6_10device_ptrIKsEEEESL_NS6_8equal_toIsEEEENSG_9not_fun_tINSD_8identityEEEEENSD_19counting_iterator_tIlEES8_S8_S8_S8_S8_S8_S8_S8_EEEEPS9_S9_NSD_9__find_if7functorIS9_EEEE10hipError_tPvRmT1_T2_T3_mT4_P12ihipStream_tbEUlT_E0_NS1_11comp_targetILNS1_3genE3ELNS1_11target_archE908ELNS1_3gpuE7ELNS1_3repE0EEENS1_30default_config_static_selectorELNS0_4arch9wavefront6targetE0EEEvS14_.has_dyn_sized_stack, 0
	.set _ZN7rocprim17ROCPRIM_400000_NS6detail17trampoline_kernelINS0_14default_configENS1_22reduce_config_selectorIN6thrust23THRUST_200600_302600_NS5tupleIblNS6_9null_typeES8_S8_S8_S8_S8_S8_S8_EEEEZNS1_11reduce_implILb1ES3_NS6_12zip_iteratorINS7_INS6_11hip_rocprim26transform_input_iterator_tIbNSD_35transform_pair_of_input_iterators_tIbNS6_6detail15normal_iteratorINS6_10device_ptrIKsEEEESL_NS6_8equal_toIsEEEENSG_9not_fun_tINSD_8identityEEEEENSD_19counting_iterator_tIlEES8_S8_S8_S8_S8_S8_S8_S8_EEEEPS9_S9_NSD_9__find_if7functorIS9_EEEE10hipError_tPvRmT1_T2_T3_mT4_P12ihipStream_tbEUlT_E0_NS1_11comp_targetILNS1_3genE3ELNS1_11target_archE908ELNS1_3gpuE7ELNS1_3repE0EEENS1_30default_config_static_selectorELNS0_4arch9wavefront6targetE0EEEvS14_.has_recursion, 0
	.set _ZN7rocprim17ROCPRIM_400000_NS6detail17trampoline_kernelINS0_14default_configENS1_22reduce_config_selectorIN6thrust23THRUST_200600_302600_NS5tupleIblNS6_9null_typeES8_S8_S8_S8_S8_S8_S8_EEEEZNS1_11reduce_implILb1ES3_NS6_12zip_iteratorINS7_INS6_11hip_rocprim26transform_input_iterator_tIbNSD_35transform_pair_of_input_iterators_tIbNS6_6detail15normal_iteratorINS6_10device_ptrIKsEEEESL_NS6_8equal_toIsEEEENSG_9not_fun_tINSD_8identityEEEEENSD_19counting_iterator_tIlEES8_S8_S8_S8_S8_S8_S8_S8_EEEEPS9_S9_NSD_9__find_if7functorIS9_EEEE10hipError_tPvRmT1_T2_T3_mT4_P12ihipStream_tbEUlT_E0_NS1_11comp_targetILNS1_3genE3ELNS1_11target_archE908ELNS1_3gpuE7ELNS1_3repE0EEENS1_30default_config_static_selectorELNS0_4arch9wavefront6targetE0EEEvS14_.has_indirect_call, 0
	.section	.AMDGPU.csdata,"",@progbits
; Kernel info:
; codeLenInByte = 0
; TotalNumSgprs: 0
; NumVgprs: 0
; ScratchSize: 0
; MemoryBound: 0
; FloatMode: 240
; IeeeMode: 1
; LDSByteSize: 0 bytes/workgroup (compile time only)
; SGPRBlocks: 0
; VGPRBlocks: 0
; NumSGPRsForWavesPerEU: 1
; NumVGPRsForWavesPerEU: 1
; Occupancy: 16
; WaveLimiterHint : 0
; COMPUTE_PGM_RSRC2:SCRATCH_EN: 0
; COMPUTE_PGM_RSRC2:USER_SGPR: 6
; COMPUTE_PGM_RSRC2:TRAP_HANDLER: 0
; COMPUTE_PGM_RSRC2:TGID_X_EN: 1
; COMPUTE_PGM_RSRC2:TGID_Y_EN: 0
; COMPUTE_PGM_RSRC2:TGID_Z_EN: 0
; COMPUTE_PGM_RSRC2:TIDIG_COMP_CNT: 0
	.section	.text._ZN7rocprim17ROCPRIM_400000_NS6detail17trampoline_kernelINS0_14default_configENS1_22reduce_config_selectorIN6thrust23THRUST_200600_302600_NS5tupleIblNS6_9null_typeES8_S8_S8_S8_S8_S8_S8_EEEEZNS1_11reduce_implILb1ES3_NS6_12zip_iteratorINS7_INS6_11hip_rocprim26transform_input_iterator_tIbNSD_35transform_pair_of_input_iterators_tIbNS6_6detail15normal_iteratorINS6_10device_ptrIKsEEEESL_NS6_8equal_toIsEEEENSG_9not_fun_tINSD_8identityEEEEENSD_19counting_iterator_tIlEES8_S8_S8_S8_S8_S8_S8_S8_EEEEPS9_S9_NSD_9__find_if7functorIS9_EEEE10hipError_tPvRmT1_T2_T3_mT4_P12ihipStream_tbEUlT_E0_NS1_11comp_targetILNS1_3genE2ELNS1_11target_archE906ELNS1_3gpuE6ELNS1_3repE0EEENS1_30default_config_static_selectorELNS0_4arch9wavefront6targetE0EEEvS14_,"axG",@progbits,_ZN7rocprim17ROCPRIM_400000_NS6detail17trampoline_kernelINS0_14default_configENS1_22reduce_config_selectorIN6thrust23THRUST_200600_302600_NS5tupleIblNS6_9null_typeES8_S8_S8_S8_S8_S8_S8_EEEEZNS1_11reduce_implILb1ES3_NS6_12zip_iteratorINS7_INS6_11hip_rocprim26transform_input_iterator_tIbNSD_35transform_pair_of_input_iterators_tIbNS6_6detail15normal_iteratorINS6_10device_ptrIKsEEEESL_NS6_8equal_toIsEEEENSG_9not_fun_tINSD_8identityEEEEENSD_19counting_iterator_tIlEES8_S8_S8_S8_S8_S8_S8_S8_EEEEPS9_S9_NSD_9__find_if7functorIS9_EEEE10hipError_tPvRmT1_T2_T3_mT4_P12ihipStream_tbEUlT_E0_NS1_11comp_targetILNS1_3genE2ELNS1_11target_archE906ELNS1_3gpuE6ELNS1_3repE0EEENS1_30default_config_static_selectorELNS0_4arch9wavefront6targetE0EEEvS14_,comdat
	.protected	_ZN7rocprim17ROCPRIM_400000_NS6detail17trampoline_kernelINS0_14default_configENS1_22reduce_config_selectorIN6thrust23THRUST_200600_302600_NS5tupleIblNS6_9null_typeES8_S8_S8_S8_S8_S8_S8_EEEEZNS1_11reduce_implILb1ES3_NS6_12zip_iteratorINS7_INS6_11hip_rocprim26transform_input_iterator_tIbNSD_35transform_pair_of_input_iterators_tIbNS6_6detail15normal_iteratorINS6_10device_ptrIKsEEEESL_NS6_8equal_toIsEEEENSG_9not_fun_tINSD_8identityEEEEENSD_19counting_iterator_tIlEES8_S8_S8_S8_S8_S8_S8_S8_EEEEPS9_S9_NSD_9__find_if7functorIS9_EEEE10hipError_tPvRmT1_T2_T3_mT4_P12ihipStream_tbEUlT_E0_NS1_11comp_targetILNS1_3genE2ELNS1_11target_archE906ELNS1_3gpuE6ELNS1_3repE0EEENS1_30default_config_static_selectorELNS0_4arch9wavefront6targetE0EEEvS14_ ; -- Begin function _ZN7rocprim17ROCPRIM_400000_NS6detail17trampoline_kernelINS0_14default_configENS1_22reduce_config_selectorIN6thrust23THRUST_200600_302600_NS5tupleIblNS6_9null_typeES8_S8_S8_S8_S8_S8_S8_EEEEZNS1_11reduce_implILb1ES3_NS6_12zip_iteratorINS7_INS6_11hip_rocprim26transform_input_iterator_tIbNSD_35transform_pair_of_input_iterators_tIbNS6_6detail15normal_iteratorINS6_10device_ptrIKsEEEESL_NS6_8equal_toIsEEEENSG_9not_fun_tINSD_8identityEEEEENSD_19counting_iterator_tIlEES8_S8_S8_S8_S8_S8_S8_S8_EEEEPS9_S9_NSD_9__find_if7functorIS9_EEEE10hipError_tPvRmT1_T2_T3_mT4_P12ihipStream_tbEUlT_E0_NS1_11comp_targetILNS1_3genE2ELNS1_11target_archE906ELNS1_3gpuE6ELNS1_3repE0EEENS1_30default_config_static_selectorELNS0_4arch9wavefront6targetE0EEEvS14_
	.globl	_ZN7rocprim17ROCPRIM_400000_NS6detail17trampoline_kernelINS0_14default_configENS1_22reduce_config_selectorIN6thrust23THRUST_200600_302600_NS5tupleIblNS6_9null_typeES8_S8_S8_S8_S8_S8_S8_EEEEZNS1_11reduce_implILb1ES3_NS6_12zip_iteratorINS7_INS6_11hip_rocprim26transform_input_iterator_tIbNSD_35transform_pair_of_input_iterators_tIbNS6_6detail15normal_iteratorINS6_10device_ptrIKsEEEESL_NS6_8equal_toIsEEEENSG_9not_fun_tINSD_8identityEEEEENSD_19counting_iterator_tIlEES8_S8_S8_S8_S8_S8_S8_S8_EEEEPS9_S9_NSD_9__find_if7functorIS9_EEEE10hipError_tPvRmT1_T2_T3_mT4_P12ihipStream_tbEUlT_E0_NS1_11comp_targetILNS1_3genE2ELNS1_11target_archE906ELNS1_3gpuE6ELNS1_3repE0EEENS1_30default_config_static_selectorELNS0_4arch9wavefront6targetE0EEEvS14_
	.p2align	8
	.type	_ZN7rocprim17ROCPRIM_400000_NS6detail17trampoline_kernelINS0_14default_configENS1_22reduce_config_selectorIN6thrust23THRUST_200600_302600_NS5tupleIblNS6_9null_typeES8_S8_S8_S8_S8_S8_S8_EEEEZNS1_11reduce_implILb1ES3_NS6_12zip_iteratorINS7_INS6_11hip_rocprim26transform_input_iterator_tIbNSD_35transform_pair_of_input_iterators_tIbNS6_6detail15normal_iteratorINS6_10device_ptrIKsEEEESL_NS6_8equal_toIsEEEENSG_9not_fun_tINSD_8identityEEEEENSD_19counting_iterator_tIlEES8_S8_S8_S8_S8_S8_S8_S8_EEEEPS9_S9_NSD_9__find_if7functorIS9_EEEE10hipError_tPvRmT1_T2_T3_mT4_P12ihipStream_tbEUlT_E0_NS1_11comp_targetILNS1_3genE2ELNS1_11target_archE906ELNS1_3gpuE6ELNS1_3repE0EEENS1_30default_config_static_selectorELNS0_4arch9wavefront6targetE0EEEvS14_,@function
_ZN7rocprim17ROCPRIM_400000_NS6detail17trampoline_kernelINS0_14default_configENS1_22reduce_config_selectorIN6thrust23THRUST_200600_302600_NS5tupleIblNS6_9null_typeES8_S8_S8_S8_S8_S8_S8_EEEEZNS1_11reduce_implILb1ES3_NS6_12zip_iteratorINS7_INS6_11hip_rocprim26transform_input_iterator_tIbNSD_35transform_pair_of_input_iterators_tIbNS6_6detail15normal_iteratorINS6_10device_ptrIKsEEEESL_NS6_8equal_toIsEEEENSG_9not_fun_tINSD_8identityEEEEENSD_19counting_iterator_tIlEES8_S8_S8_S8_S8_S8_S8_S8_EEEEPS9_S9_NSD_9__find_if7functorIS9_EEEE10hipError_tPvRmT1_T2_T3_mT4_P12ihipStream_tbEUlT_E0_NS1_11comp_targetILNS1_3genE2ELNS1_11target_archE906ELNS1_3gpuE6ELNS1_3repE0EEENS1_30default_config_static_selectorELNS0_4arch9wavefront6targetE0EEEvS14_: ; @_ZN7rocprim17ROCPRIM_400000_NS6detail17trampoline_kernelINS0_14default_configENS1_22reduce_config_selectorIN6thrust23THRUST_200600_302600_NS5tupleIblNS6_9null_typeES8_S8_S8_S8_S8_S8_S8_EEEEZNS1_11reduce_implILb1ES3_NS6_12zip_iteratorINS7_INS6_11hip_rocprim26transform_input_iterator_tIbNSD_35transform_pair_of_input_iterators_tIbNS6_6detail15normal_iteratorINS6_10device_ptrIKsEEEESL_NS6_8equal_toIsEEEENSG_9not_fun_tINSD_8identityEEEEENSD_19counting_iterator_tIlEES8_S8_S8_S8_S8_S8_S8_S8_EEEEPS9_S9_NSD_9__find_if7functorIS9_EEEE10hipError_tPvRmT1_T2_T3_mT4_P12ihipStream_tbEUlT_E0_NS1_11comp_targetILNS1_3genE2ELNS1_11target_archE906ELNS1_3gpuE6ELNS1_3repE0EEENS1_30default_config_static_selectorELNS0_4arch9wavefront6targetE0EEEvS14_
; %bb.0:
	.section	.rodata,"a",@progbits
	.p2align	6, 0x0
	.amdhsa_kernel _ZN7rocprim17ROCPRIM_400000_NS6detail17trampoline_kernelINS0_14default_configENS1_22reduce_config_selectorIN6thrust23THRUST_200600_302600_NS5tupleIblNS6_9null_typeES8_S8_S8_S8_S8_S8_S8_EEEEZNS1_11reduce_implILb1ES3_NS6_12zip_iteratorINS7_INS6_11hip_rocprim26transform_input_iterator_tIbNSD_35transform_pair_of_input_iterators_tIbNS6_6detail15normal_iteratorINS6_10device_ptrIKsEEEESL_NS6_8equal_toIsEEEENSG_9not_fun_tINSD_8identityEEEEENSD_19counting_iterator_tIlEES8_S8_S8_S8_S8_S8_S8_S8_EEEEPS9_S9_NSD_9__find_if7functorIS9_EEEE10hipError_tPvRmT1_T2_T3_mT4_P12ihipStream_tbEUlT_E0_NS1_11comp_targetILNS1_3genE2ELNS1_11target_archE906ELNS1_3gpuE6ELNS1_3repE0EEENS1_30default_config_static_selectorELNS0_4arch9wavefront6targetE0EEEvS14_
		.amdhsa_group_segment_fixed_size 0
		.amdhsa_private_segment_fixed_size 0
		.amdhsa_kernarg_size 104
		.amdhsa_user_sgpr_count 6
		.amdhsa_user_sgpr_private_segment_buffer 1
		.amdhsa_user_sgpr_dispatch_ptr 0
		.amdhsa_user_sgpr_queue_ptr 0
		.amdhsa_user_sgpr_kernarg_segment_ptr 1
		.amdhsa_user_sgpr_dispatch_id 0
		.amdhsa_user_sgpr_flat_scratch_init 0
		.amdhsa_user_sgpr_private_segment_size 0
		.amdhsa_wavefront_size32 1
		.amdhsa_uses_dynamic_stack 0
		.amdhsa_system_sgpr_private_segment_wavefront_offset 0
		.amdhsa_system_sgpr_workgroup_id_x 1
		.amdhsa_system_sgpr_workgroup_id_y 0
		.amdhsa_system_sgpr_workgroup_id_z 0
		.amdhsa_system_sgpr_workgroup_info 0
		.amdhsa_system_vgpr_workitem_id 0
		.amdhsa_next_free_vgpr 1
		.amdhsa_next_free_sgpr 1
		.amdhsa_reserve_vcc 0
		.amdhsa_reserve_flat_scratch 0
		.amdhsa_float_round_mode_32 0
		.amdhsa_float_round_mode_16_64 0
		.amdhsa_float_denorm_mode_32 3
		.amdhsa_float_denorm_mode_16_64 3
		.amdhsa_dx10_clamp 1
		.amdhsa_ieee_mode 1
		.amdhsa_fp16_overflow 0
		.amdhsa_workgroup_processor_mode 1
		.amdhsa_memory_ordered 1
		.amdhsa_forward_progress 1
		.amdhsa_shared_vgpr_count 0
		.amdhsa_exception_fp_ieee_invalid_op 0
		.amdhsa_exception_fp_denorm_src 0
		.amdhsa_exception_fp_ieee_div_zero 0
		.amdhsa_exception_fp_ieee_overflow 0
		.amdhsa_exception_fp_ieee_underflow 0
		.amdhsa_exception_fp_ieee_inexact 0
		.amdhsa_exception_int_div_zero 0
	.end_amdhsa_kernel
	.section	.text._ZN7rocprim17ROCPRIM_400000_NS6detail17trampoline_kernelINS0_14default_configENS1_22reduce_config_selectorIN6thrust23THRUST_200600_302600_NS5tupleIblNS6_9null_typeES8_S8_S8_S8_S8_S8_S8_EEEEZNS1_11reduce_implILb1ES3_NS6_12zip_iteratorINS7_INS6_11hip_rocprim26transform_input_iterator_tIbNSD_35transform_pair_of_input_iterators_tIbNS6_6detail15normal_iteratorINS6_10device_ptrIKsEEEESL_NS6_8equal_toIsEEEENSG_9not_fun_tINSD_8identityEEEEENSD_19counting_iterator_tIlEES8_S8_S8_S8_S8_S8_S8_S8_EEEEPS9_S9_NSD_9__find_if7functorIS9_EEEE10hipError_tPvRmT1_T2_T3_mT4_P12ihipStream_tbEUlT_E0_NS1_11comp_targetILNS1_3genE2ELNS1_11target_archE906ELNS1_3gpuE6ELNS1_3repE0EEENS1_30default_config_static_selectorELNS0_4arch9wavefront6targetE0EEEvS14_,"axG",@progbits,_ZN7rocprim17ROCPRIM_400000_NS6detail17trampoline_kernelINS0_14default_configENS1_22reduce_config_selectorIN6thrust23THRUST_200600_302600_NS5tupleIblNS6_9null_typeES8_S8_S8_S8_S8_S8_S8_EEEEZNS1_11reduce_implILb1ES3_NS6_12zip_iteratorINS7_INS6_11hip_rocprim26transform_input_iterator_tIbNSD_35transform_pair_of_input_iterators_tIbNS6_6detail15normal_iteratorINS6_10device_ptrIKsEEEESL_NS6_8equal_toIsEEEENSG_9not_fun_tINSD_8identityEEEEENSD_19counting_iterator_tIlEES8_S8_S8_S8_S8_S8_S8_S8_EEEEPS9_S9_NSD_9__find_if7functorIS9_EEEE10hipError_tPvRmT1_T2_T3_mT4_P12ihipStream_tbEUlT_E0_NS1_11comp_targetILNS1_3genE2ELNS1_11target_archE906ELNS1_3gpuE6ELNS1_3repE0EEENS1_30default_config_static_selectorELNS0_4arch9wavefront6targetE0EEEvS14_,comdat
.Lfunc_end302:
	.size	_ZN7rocprim17ROCPRIM_400000_NS6detail17trampoline_kernelINS0_14default_configENS1_22reduce_config_selectorIN6thrust23THRUST_200600_302600_NS5tupleIblNS6_9null_typeES8_S8_S8_S8_S8_S8_S8_EEEEZNS1_11reduce_implILb1ES3_NS6_12zip_iteratorINS7_INS6_11hip_rocprim26transform_input_iterator_tIbNSD_35transform_pair_of_input_iterators_tIbNS6_6detail15normal_iteratorINS6_10device_ptrIKsEEEESL_NS6_8equal_toIsEEEENSG_9not_fun_tINSD_8identityEEEEENSD_19counting_iterator_tIlEES8_S8_S8_S8_S8_S8_S8_S8_EEEEPS9_S9_NSD_9__find_if7functorIS9_EEEE10hipError_tPvRmT1_T2_T3_mT4_P12ihipStream_tbEUlT_E0_NS1_11comp_targetILNS1_3genE2ELNS1_11target_archE906ELNS1_3gpuE6ELNS1_3repE0EEENS1_30default_config_static_selectorELNS0_4arch9wavefront6targetE0EEEvS14_, .Lfunc_end302-_ZN7rocprim17ROCPRIM_400000_NS6detail17trampoline_kernelINS0_14default_configENS1_22reduce_config_selectorIN6thrust23THRUST_200600_302600_NS5tupleIblNS6_9null_typeES8_S8_S8_S8_S8_S8_S8_EEEEZNS1_11reduce_implILb1ES3_NS6_12zip_iteratorINS7_INS6_11hip_rocprim26transform_input_iterator_tIbNSD_35transform_pair_of_input_iterators_tIbNS6_6detail15normal_iteratorINS6_10device_ptrIKsEEEESL_NS6_8equal_toIsEEEENSG_9not_fun_tINSD_8identityEEEEENSD_19counting_iterator_tIlEES8_S8_S8_S8_S8_S8_S8_S8_EEEEPS9_S9_NSD_9__find_if7functorIS9_EEEE10hipError_tPvRmT1_T2_T3_mT4_P12ihipStream_tbEUlT_E0_NS1_11comp_targetILNS1_3genE2ELNS1_11target_archE906ELNS1_3gpuE6ELNS1_3repE0EEENS1_30default_config_static_selectorELNS0_4arch9wavefront6targetE0EEEvS14_
                                        ; -- End function
	.set _ZN7rocprim17ROCPRIM_400000_NS6detail17trampoline_kernelINS0_14default_configENS1_22reduce_config_selectorIN6thrust23THRUST_200600_302600_NS5tupleIblNS6_9null_typeES8_S8_S8_S8_S8_S8_S8_EEEEZNS1_11reduce_implILb1ES3_NS6_12zip_iteratorINS7_INS6_11hip_rocprim26transform_input_iterator_tIbNSD_35transform_pair_of_input_iterators_tIbNS6_6detail15normal_iteratorINS6_10device_ptrIKsEEEESL_NS6_8equal_toIsEEEENSG_9not_fun_tINSD_8identityEEEEENSD_19counting_iterator_tIlEES8_S8_S8_S8_S8_S8_S8_S8_EEEEPS9_S9_NSD_9__find_if7functorIS9_EEEE10hipError_tPvRmT1_T2_T3_mT4_P12ihipStream_tbEUlT_E0_NS1_11comp_targetILNS1_3genE2ELNS1_11target_archE906ELNS1_3gpuE6ELNS1_3repE0EEENS1_30default_config_static_selectorELNS0_4arch9wavefront6targetE0EEEvS14_.num_vgpr, 0
	.set _ZN7rocprim17ROCPRIM_400000_NS6detail17trampoline_kernelINS0_14default_configENS1_22reduce_config_selectorIN6thrust23THRUST_200600_302600_NS5tupleIblNS6_9null_typeES8_S8_S8_S8_S8_S8_S8_EEEEZNS1_11reduce_implILb1ES3_NS6_12zip_iteratorINS7_INS6_11hip_rocprim26transform_input_iterator_tIbNSD_35transform_pair_of_input_iterators_tIbNS6_6detail15normal_iteratorINS6_10device_ptrIKsEEEESL_NS6_8equal_toIsEEEENSG_9not_fun_tINSD_8identityEEEEENSD_19counting_iterator_tIlEES8_S8_S8_S8_S8_S8_S8_S8_EEEEPS9_S9_NSD_9__find_if7functorIS9_EEEE10hipError_tPvRmT1_T2_T3_mT4_P12ihipStream_tbEUlT_E0_NS1_11comp_targetILNS1_3genE2ELNS1_11target_archE906ELNS1_3gpuE6ELNS1_3repE0EEENS1_30default_config_static_selectorELNS0_4arch9wavefront6targetE0EEEvS14_.num_agpr, 0
	.set _ZN7rocprim17ROCPRIM_400000_NS6detail17trampoline_kernelINS0_14default_configENS1_22reduce_config_selectorIN6thrust23THRUST_200600_302600_NS5tupleIblNS6_9null_typeES8_S8_S8_S8_S8_S8_S8_EEEEZNS1_11reduce_implILb1ES3_NS6_12zip_iteratorINS7_INS6_11hip_rocprim26transform_input_iterator_tIbNSD_35transform_pair_of_input_iterators_tIbNS6_6detail15normal_iteratorINS6_10device_ptrIKsEEEESL_NS6_8equal_toIsEEEENSG_9not_fun_tINSD_8identityEEEEENSD_19counting_iterator_tIlEES8_S8_S8_S8_S8_S8_S8_S8_EEEEPS9_S9_NSD_9__find_if7functorIS9_EEEE10hipError_tPvRmT1_T2_T3_mT4_P12ihipStream_tbEUlT_E0_NS1_11comp_targetILNS1_3genE2ELNS1_11target_archE906ELNS1_3gpuE6ELNS1_3repE0EEENS1_30default_config_static_selectorELNS0_4arch9wavefront6targetE0EEEvS14_.numbered_sgpr, 0
	.set _ZN7rocprim17ROCPRIM_400000_NS6detail17trampoline_kernelINS0_14default_configENS1_22reduce_config_selectorIN6thrust23THRUST_200600_302600_NS5tupleIblNS6_9null_typeES8_S8_S8_S8_S8_S8_S8_EEEEZNS1_11reduce_implILb1ES3_NS6_12zip_iteratorINS7_INS6_11hip_rocprim26transform_input_iterator_tIbNSD_35transform_pair_of_input_iterators_tIbNS6_6detail15normal_iteratorINS6_10device_ptrIKsEEEESL_NS6_8equal_toIsEEEENSG_9not_fun_tINSD_8identityEEEEENSD_19counting_iterator_tIlEES8_S8_S8_S8_S8_S8_S8_S8_EEEEPS9_S9_NSD_9__find_if7functorIS9_EEEE10hipError_tPvRmT1_T2_T3_mT4_P12ihipStream_tbEUlT_E0_NS1_11comp_targetILNS1_3genE2ELNS1_11target_archE906ELNS1_3gpuE6ELNS1_3repE0EEENS1_30default_config_static_selectorELNS0_4arch9wavefront6targetE0EEEvS14_.num_named_barrier, 0
	.set _ZN7rocprim17ROCPRIM_400000_NS6detail17trampoline_kernelINS0_14default_configENS1_22reduce_config_selectorIN6thrust23THRUST_200600_302600_NS5tupleIblNS6_9null_typeES8_S8_S8_S8_S8_S8_S8_EEEEZNS1_11reduce_implILb1ES3_NS6_12zip_iteratorINS7_INS6_11hip_rocprim26transform_input_iterator_tIbNSD_35transform_pair_of_input_iterators_tIbNS6_6detail15normal_iteratorINS6_10device_ptrIKsEEEESL_NS6_8equal_toIsEEEENSG_9not_fun_tINSD_8identityEEEEENSD_19counting_iterator_tIlEES8_S8_S8_S8_S8_S8_S8_S8_EEEEPS9_S9_NSD_9__find_if7functorIS9_EEEE10hipError_tPvRmT1_T2_T3_mT4_P12ihipStream_tbEUlT_E0_NS1_11comp_targetILNS1_3genE2ELNS1_11target_archE906ELNS1_3gpuE6ELNS1_3repE0EEENS1_30default_config_static_selectorELNS0_4arch9wavefront6targetE0EEEvS14_.private_seg_size, 0
	.set _ZN7rocprim17ROCPRIM_400000_NS6detail17trampoline_kernelINS0_14default_configENS1_22reduce_config_selectorIN6thrust23THRUST_200600_302600_NS5tupleIblNS6_9null_typeES8_S8_S8_S8_S8_S8_S8_EEEEZNS1_11reduce_implILb1ES3_NS6_12zip_iteratorINS7_INS6_11hip_rocprim26transform_input_iterator_tIbNSD_35transform_pair_of_input_iterators_tIbNS6_6detail15normal_iteratorINS6_10device_ptrIKsEEEESL_NS6_8equal_toIsEEEENSG_9not_fun_tINSD_8identityEEEEENSD_19counting_iterator_tIlEES8_S8_S8_S8_S8_S8_S8_S8_EEEEPS9_S9_NSD_9__find_if7functorIS9_EEEE10hipError_tPvRmT1_T2_T3_mT4_P12ihipStream_tbEUlT_E0_NS1_11comp_targetILNS1_3genE2ELNS1_11target_archE906ELNS1_3gpuE6ELNS1_3repE0EEENS1_30default_config_static_selectorELNS0_4arch9wavefront6targetE0EEEvS14_.uses_vcc, 0
	.set _ZN7rocprim17ROCPRIM_400000_NS6detail17trampoline_kernelINS0_14default_configENS1_22reduce_config_selectorIN6thrust23THRUST_200600_302600_NS5tupleIblNS6_9null_typeES8_S8_S8_S8_S8_S8_S8_EEEEZNS1_11reduce_implILb1ES3_NS6_12zip_iteratorINS7_INS6_11hip_rocprim26transform_input_iterator_tIbNSD_35transform_pair_of_input_iterators_tIbNS6_6detail15normal_iteratorINS6_10device_ptrIKsEEEESL_NS6_8equal_toIsEEEENSG_9not_fun_tINSD_8identityEEEEENSD_19counting_iterator_tIlEES8_S8_S8_S8_S8_S8_S8_S8_EEEEPS9_S9_NSD_9__find_if7functorIS9_EEEE10hipError_tPvRmT1_T2_T3_mT4_P12ihipStream_tbEUlT_E0_NS1_11comp_targetILNS1_3genE2ELNS1_11target_archE906ELNS1_3gpuE6ELNS1_3repE0EEENS1_30default_config_static_selectorELNS0_4arch9wavefront6targetE0EEEvS14_.uses_flat_scratch, 0
	.set _ZN7rocprim17ROCPRIM_400000_NS6detail17trampoline_kernelINS0_14default_configENS1_22reduce_config_selectorIN6thrust23THRUST_200600_302600_NS5tupleIblNS6_9null_typeES8_S8_S8_S8_S8_S8_S8_EEEEZNS1_11reduce_implILb1ES3_NS6_12zip_iteratorINS7_INS6_11hip_rocprim26transform_input_iterator_tIbNSD_35transform_pair_of_input_iterators_tIbNS6_6detail15normal_iteratorINS6_10device_ptrIKsEEEESL_NS6_8equal_toIsEEEENSG_9not_fun_tINSD_8identityEEEEENSD_19counting_iterator_tIlEES8_S8_S8_S8_S8_S8_S8_S8_EEEEPS9_S9_NSD_9__find_if7functorIS9_EEEE10hipError_tPvRmT1_T2_T3_mT4_P12ihipStream_tbEUlT_E0_NS1_11comp_targetILNS1_3genE2ELNS1_11target_archE906ELNS1_3gpuE6ELNS1_3repE0EEENS1_30default_config_static_selectorELNS0_4arch9wavefront6targetE0EEEvS14_.has_dyn_sized_stack, 0
	.set _ZN7rocprim17ROCPRIM_400000_NS6detail17trampoline_kernelINS0_14default_configENS1_22reduce_config_selectorIN6thrust23THRUST_200600_302600_NS5tupleIblNS6_9null_typeES8_S8_S8_S8_S8_S8_S8_EEEEZNS1_11reduce_implILb1ES3_NS6_12zip_iteratorINS7_INS6_11hip_rocprim26transform_input_iterator_tIbNSD_35transform_pair_of_input_iterators_tIbNS6_6detail15normal_iteratorINS6_10device_ptrIKsEEEESL_NS6_8equal_toIsEEEENSG_9not_fun_tINSD_8identityEEEEENSD_19counting_iterator_tIlEES8_S8_S8_S8_S8_S8_S8_S8_EEEEPS9_S9_NSD_9__find_if7functorIS9_EEEE10hipError_tPvRmT1_T2_T3_mT4_P12ihipStream_tbEUlT_E0_NS1_11comp_targetILNS1_3genE2ELNS1_11target_archE906ELNS1_3gpuE6ELNS1_3repE0EEENS1_30default_config_static_selectorELNS0_4arch9wavefront6targetE0EEEvS14_.has_recursion, 0
	.set _ZN7rocprim17ROCPRIM_400000_NS6detail17trampoline_kernelINS0_14default_configENS1_22reduce_config_selectorIN6thrust23THRUST_200600_302600_NS5tupleIblNS6_9null_typeES8_S8_S8_S8_S8_S8_S8_EEEEZNS1_11reduce_implILb1ES3_NS6_12zip_iteratorINS7_INS6_11hip_rocprim26transform_input_iterator_tIbNSD_35transform_pair_of_input_iterators_tIbNS6_6detail15normal_iteratorINS6_10device_ptrIKsEEEESL_NS6_8equal_toIsEEEENSG_9not_fun_tINSD_8identityEEEEENSD_19counting_iterator_tIlEES8_S8_S8_S8_S8_S8_S8_S8_EEEEPS9_S9_NSD_9__find_if7functorIS9_EEEE10hipError_tPvRmT1_T2_T3_mT4_P12ihipStream_tbEUlT_E0_NS1_11comp_targetILNS1_3genE2ELNS1_11target_archE906ELNS1_3gpuE6ELNS1_3repE0EEENS1_30default_config_static_selectorELNS0_4arch9wavefront6targetE0EEEvS14_.has_indirect_call, 0
	.section	.AMDGPU.csdata,"",@progbits
; Kernel info:
; codeLenInByte = 0
; TotalNumSgprs: 0
; NumVgprs: 0
; ScratchSize: 0
; MemoryBound: 0
; FloatMode: 240
; IeeeMode: 1
; LDSByteSize: 0 bytes/workgroup (compile time only)
; SGPRBlocks: 0
; VGPRBlocks: 0
; NumSGPRsForWavesPerEU: 1
; NumVGPRsForWavesPerEU: 1
; Occupancy: 16
; WaveLimiterHint : 0
; COMPUTE_PGM_RSRC2:SCRATCH_EN: 0
; COMPUTE_PGM_RSRC2:USER_SGPR: 6
; COMPUTE_PGM_RSRC2:TRAP_HANDLER: 0
; COMPUTE_PGM_RSRC2:TGID_X_EN: 1
; COMPUTE_PGM_RSRC2:TGID_Y_EN: 0
; COMPUTE_PGM_RSRC2:TGID_Z_EN: 0
; COMPUTE_PGM_RSRC2:TIDIG_COMP_CNT: 0
	.section	.text._ZN7rocprim17ROCPRIM_400000_NS6detail17trampoline_kernelINS0_14default_configENS1_22reduce_config_selectorIN6thrust23THRUST_200600_302600_NS5tupleIblNS6_9null_typeES8_S8_S8_S8_S8_S8_S8_EEEEZNS1_11reduce_implILb1ES3_NS6_12zip_iteratorINS7_INS6_11hip_rocprim26transform_input_iterator_tIbNSD_35transform_pair_of_input_iterators_tIbNS6_6detail15normal_iteratorINS6_10device_ptrIKsEEEESL_NS6_8equal_toIsEEEENSG_9not_fun_tINSD_8identityEEEEENSD_19counting_iterator_tIlEES8_S8_S8_S8_S8_S8_S8_S8_EEEEPS9_S9_NSD_9__find_if7functorIS9_EEEE10hipError_tPvRmT1_T2_T3_mT4_P12ihipStream_tbEUlT_E0_NS1_11comp_targetILNS1_3genE10ELNS1_11target_archE1201ELNS1_3gpuE5ELNS1_3repE0EEENS1_30default_config_static_selectorELNS0_4arch9wavefront6targetE0EEEvS14_,"axG",@progbits,_ZN7rocprim17ROCPRIM_400000_NS6detail17trampoline_kernelINS0_14default_configENS1_22reduce_config_selectorIN6thrust23THRUST_200600_302600_NS5tupleIblNS6_9null_typeES8_S8_S8_S8_S8_S8_S8_EEEEZNS1_11reduce_implILb1ES3_NS6_12zip_iteratorINS7_INS6_11hip_rocprim26transform_input_iterator_tIbNSD_35transform_pair_of_input_iterators_tIbNS6_6detail15normal_iteratorINS6_10device_ptrIKsEEEESL_NS6_8equal_toIsEEEENSG_9not_fun_tINSD_8identityEEEEENSD_19counting_iterator_tIlEES8_S8_S8_S8_S8_S8_S8_S8_EEEEPS9_S9_NSD_9__find_if7functorIS9_EEEE10hipError_tPvRmT1_T2_T3_mT4_P12ihipStream_tbEUlT_E0_NS1_11comp_targetILNS1_3genE10ELNS1_11target_archE1201ELNS1_3gpuE5ELNS1_3repE0EEENS1_30default_config_static_selectorELNS0_4arch9wavefront6targetE0EEEvS14_,comdat
	.protected	_ZN7rocprim17ROCPRIM_400000_NS6detail17trampoline_kernelINS0_14default_configENS1_22reduce_config_selectorIN6thrust23THRUST_200600_302600_NS5tupleIblNS6_9null_typeES8_S8_S8_S8_S8_S8_S8_EEEEZNS1_11reduce_implILb1ES3_NS6_12zip_iteratorINS7_INS6_11hip_rocprim26transform_input_iterator_tIbNSD_35transform_pair_of_input_iterators_tIbNS6_6detail15normal_iteratorINS6_10device_ptrIKsEEEESL_NS6_8equal_toIsEEEENSG_9not_fun_tINSD_8identityEEEEENSD_19counting_iterator_tIlEES8_S8_S8_S8_S8_S8_S8_S8_EEEEPS9_S9_NSD_9__find_if7functorIS9_EEEE10hipError_tPvRmT1_T2_T3_mT4_P12ihipStream_tbEUlT_E0_NS1_11comp_targetILNS1_3genE10ELNS1_11target_archE1201ELNS1_3gpuE5ELNS1_3repE0EEENS1_30default_config_static_selectorELNS0_4arch9wavefront6targetE0EEEvS14_ ; -- Begin function _ZN7rocprim17ROCPRIM_400000_NS6detail17trampoline_kernelINS0_14default_configENS1_22reduce_config_selectorIN6thrust23THRUST_200600_302600_NS5tupleIblNS6_9null_typeES8_S8_S8_S8_S8_S8_S8_EEEEZNS1_11reduce_implILb1ES3_NS6_12zip_iteratorINS7_INS6_11hip_rocprim26transform_input_iterator_tIbNSD_35transform_pair_of_input_iterators_tIbNS6_6detail15normal_iteratorINS6_10device_ptrIKsEEEESL_NS6_8equal_toIsEEEENSG_9not_fun_tINSD_8identityEEEEENSD_19counting_iterator_tIlEES8_S8_S8_S8_S8_S8_S8_S8_EEEEPS9_S9_NSD_9__find_if7functorIS9_EEEE10hipError_tPvRmT1_T2_T3_mT4_P12ihipStream_tbEUlT_E0_NS1_11comp_targetILNS1_3genE10ELNS1_11target_archE1201ELNS1_3gpuE5ELNS1_3repE0EEENS1_30default_config_static_selectorELNS0_4arch9wavefront6targetE0EEEvS14_
	.globl	_ZN7rocprim17ROCPRIM_400000_NS6detail17trampoline_kernelINS0_14default_configENS1_22reduce_config_selectorIN6thrust23THRUST_200600_302600_NS5tupleIblNS6_9null_typeES8_S8_S8_S8_S8_S8_S8_EEEEZNS1_11reduce_implILb1ES3_NS6_12zip_iteratorINS7_INS6_11hip_rocprim26transform_input_iterator_tIbNSD_35transform_pair_of_input_iterators_tIbNS6_6detail15normal_iteratorINS6_10device_ptrIKsEEEESL_NS6_8equal_toIsEEEENSG_9not_fun_tINSD_8identityEEEEENSD_19counting_iterator_tIlEES8_S8_S8_S8_S8_S8_S8_S8_EEEEPS9_S9_NSD_9__find_if7functorIS9_EEEE10hipError_tPvRmT1_T2_T3_mT4_P12ihipStream_tbEUlT_E0_NS1_11comp_targetILNS1_3genE10ELNS1_11target_archE1201ELNS1_3gpuE5ELNS1_3repE0EEENS1_30default_config_static_selectorELNS0_4arch9wavefront6targetE0EEEvS14_
	.p2align	8
	.type	_ZN7rocprim17ROCPRIM_400000_NS6detail17trampoline_kernelINS0_14default_configENS1_22reduce_config_selectorIN6thrust23THRUST_200600_302600_NS5tupleIblNS6_9null_typeES8_S8_S8_S8_S8_S8_S8_EEEEZNS1_11reduce_implILb1ES3_NS6_12zip_iteratorINS7_INS6_11hip_rocprim26transform_input_iterator_tIbNSD_35transform_pair_of_input_iterators_tIbNS6_6detail15normal_iteratorINS6_10device_ptrIKsEEEESL_NS6_8equal_toIsEEEENSG_9not_fun_tINSD_8identityEEEEENSD_19counting_iterator_tIlEES8_S8_S8_S8_S8_S8_S8_S8_EEEEPS9_S9_NSD_9__find_if7functorIS9_EEEE10hipError_tPvRmT1_T2_T3_mT4_P12ihipStream_tbEUlT_E0_NS1_11comp_targetILNS1_3genE10ELNS1_11target_archE1201ELNS1_3gpuE5ELNS1_3repE0EEENS1_30default_config_static_selectorELNS0_4arch9wavefront6targetE0EEEvS14_,@function
_ZN7rocprim17ROCPRIM_400000_NS6detail17trampoline_kernelINS0_14default_configENS1_22reduce_config_selectorIN6thrust23THRUST_200600_302600_NS5tupleIblNS6_9null_typeES8_S8_S8_S8_S8_S8_S8_EEEEZNS1_11reduce_implILb1ES3_NS6_12zip_iteratorINS7_INS6_11hip_rocprim26transform_input_iterator_tIbNSD_35transform_pair_of_input_iterators_tIbNS6_6detail15normal_iteratorINS6_10device_ptrIKsEEEESL_NS6_8equal_toIsEEEENSG_9not_fun_tINSD_8identityEEEEENSD_19counting_iterator_tIlEES8_S8_S8_S8_S8_S8_S8_S8_EEEEPS9_S9_NSD_9__find_if7functorIS9_EEEE10hipError_tPvRmT1_T2_T3_mT4_P12ihipStream_tbEUlT_E0_NS1_11comp_targetILNS1_3genE10ELNS1_11target_archE1201ELNS1_3gpuE5ELNS1_3repE0EEENS1_30default_config_static_selectorELNS0_4arch9wavefront6targetE0EEEvS14_: ; @_ZN7rocprim17ROCPRIM_400000_NS6detail17trampoline_kernelINS0_14default_configENS1_22reduce_config_selectorIN6thrust23THRUST_200600_302600_NS5tupleIblNS6_9null_typeES8_S8_S8_S8_S8_S8_S8_EEEEZNS1_11reduce_implILb1ES3_NS6_12zip_iteratorINS7_INS6_11hip_rocprim26transform_input_iterator_tIbNSD_35transform_pair_of_input_iterators_tIbNS6_6detail15normal_iteratorINS6_10device_ptrIKsEEEESL_NS6_8equal_toIsEEEENSG_9not_fun_tINSD_8identityEEEEENSD_19counting_iterator_tIlEES8_S8_S8_S8_S8_S8_S8_S8_EEEEPS9_S9_NSD_9__find_if7functorIS9_EEEE10hipError_tPvRmT1_T2_T3_mT4_P12ihipStream_tbEUlT_E0_NS1_11comp_targetILNS1_3genE10ELNS1_11target_archE1201ELNS1_3gpuE5ELNS1_3repE0EEENS1_30default_config_static_selectorELNS0_4arch9wavefront6targetE0EEEvS14_
; %bb.0:
	.section	.rodata,"a",@progbits
	.p2align	6, 0x0
	.amdhsa_kernel _ZN7rocprim17ROCPRIM_400000_NS6detail17trampoline_kernelINS0_14default_configENS1_22reduce_config_selectorIN6thrust23THRUST_200600_302600_NS5tupleIblNS6_9null_typeES8_S8_S8_S8_S8_S8_S8_EEEEZNS1_11reduce_implILb1ES3_NS6_12zip_iteratorINS7_INS6_11hip_rocprim26transform_input_iterator_tIbNSD_35transform_pair_of_input_iterators_tIbNS6_6detail15normal_iteratorINS6_10device_ptrIKsEEEESL_NS6_8equal_toIsEEEENSG_9not_fun_tINSD_8identityEEEEENSD_19counting_iterator_tIlEES8_S8_S8_S8_S8_S8_S8_S8_EEEEPS9_S9_NSD_9__find_if7functorIS9_EEEE10hipError_tPvRmT1_T2_T3_mT4_P12ihipStream_tbEUlT_E0_NS1_11comp_targetILNS1_3genE10ELNS1_11target_archE1201ELNS1_3gpuE5ELNS1_3repE0EEENS1_30default_config_static_selectorELNS0_4arch9wavefront6targetE0EEEvS14_
		.amdhsa_group_segment_fixed_size 0
		.amdhsa_private_segment_fixed_size 0
		.amdhsa_kernarg_size 104
		.amdhsa_user_sgpr_count 6
		.amdhsa_user_sgpr_private_segment_buffer 1
		.amdhsa_user_sgpr_dispatch_ptr 0
		.amdhsa_user_sgpr_queue_ptr 0
		.amdhsa_user_sgpr_kernarg_segment_ptr 1
		.amdhsa_user_sgpr_dispatch_id 0
		.amdhsa_user_sgpr_flat_scratch_init 0
		.amdhsa_user_sgpr_private_segment_size 0
		.amdhsa_wavefront_size32 1
		.amdhsa_uses_dynamic_stack 0
		.amdhsa_system_sgpr_private_segment_wavefront_offset 0
		.amdhsa_system_sgpr_workgroup_id_x 1
		.amdhsa_system_sgpr_workgroup_id_y 0
		.amdhsa_system_sgpr_workgroup_id_z 0
		.amdhsa_system_sgpr_workgroup_info 0
		.amdhsa_system_vgpr_workitem_id 0
		.amdhsa_next_free_vgpr 1
		.amdhsa_next_free_sgpr 1
		.amdhsa_reserve_vcc 0
		.amdhsa_reserve_flat_scratch 0
		.amdhsa_float_round_mode_32 0
		.amdhsa_float_round_mode_16_64 0
		.amdhsa_float_denorm_mode_32 3
		.amdhsa_float_denorm_mode_16_64 3
		.amdhsa_dx10_clamp 1
		.amdhsa_ieee_mode 1
		.amdhsa_fp16_overflow 0
		.amdhsa_workgroup_processor_mode 1
		.amdhsa_memory_ordered 1
		.amdhsa_forward_progress 1
		.amdhsa_shared_vgpr_count 0
		.amdhsa_exception_fp_ieee_invalid_op 0
		.amdhsa_exception_fp_denorm_src 0
		.amdhsa_exception_fp_ieee_div_zero 0
		.amdhsa_exception_fp_ieee_overflow 0
		.amdhsa_exception_fp_ieee_underflow 0
		.amdhsa_exception_fp_ieee_inexact 0
		.amdhsa_exception_int_div_zero 0
	.end_amdhsa_kernel
	.section	.text._ZN7rocprim17ROCPRIM_400000_NS6detail17trampoline_kernelINS0_14default_configENS1_22reduce_config_selectorIN6thrust23THRUST_200600_302600_NS5tupleIblNS6_9null_typeES8_S8_S8_S8_S8_S8_S8_EEEEZNS1_11reduce_implILb1ES3_NS6_12zip_iteratorINS7_INS6_11hip_rocprim26transform_input_iterator_tIbNSD_35transform_pair_of_input_iterators_tIbNS6_6detail15normal_iteratorINS6_10device_ptrIKsEEEESL_NS6_8equal_toIsEEEENSG_9not_fun_tINSD_8identityEEEEENSD_19counting_iterator_tIlEES8_S8_S8_S8_S8_S8_S8_S8_EEEEPS9_S9_NSD_9__find_if7functorIS9_EEEE10hipError_tPvRmT1_T2_T3_mT4_P12ihipStream_tbEUlT_E0_NS1_11comp_targetILNS1_3genE10ELNS1_11target_archE1201ELNS1_3gpuE5ELNS1_3repE0EEENS1_30default_config_static_selectorELNS0_4arch9wavefront6targetE0EEEvS14_,"axG",@progbits,_ZN7rocprim17ROCPRIM_400000_NS6detail17trampoline_kernelINS0_14default_configENS1_22reduce_config_selectorIN6thrust23THRUST_200600_302600_NS5tupleIblNS6_9null_typeES8_S8_S8_S8_S8_S8_S8_EEEEZNS1_11reduce_implILb1ES3_NS6_12zip_iteratorINS7_INS6_11hip_rocprim26transform_input_iterator_tIbNSD_35transform_pair_of_input_iterators_tIbNS6_6detail15normal_iteratorINS6_10device_ptrIKsEEEESL_NS6_8equal_toIsEEEENSG_9not_fun_tINSD_8identityEEEEENSD_19counting_iterator_tIlEES8_S8_S8_S8_S8_S8_S8_S8_EEEEPS9_S9_NSD_9__find_if7functorIS9_EEEE10hipError_tPvRmT1_T2_T3_mT4_P12ihipStream_tbEUlT_E0_NS1_11comp_targetILNS1_3genE10ELNS1_11target_archE1201ELNS1_3gpuE5ELNS1_3repE0EEENS1_30default_config_static_selectorELNS0_4arch9wavefront6targetE0EEEvS14_,comdat
.Lfunc_end303:
	.size	_ZN7rocprim17ROCPRIM_400000_NS6detail17trampoline_kernelINS0_14default_configENS1_22reduce_config_selectorIN6thrust23THRUST_200600_302600_NS5tupleIblNS6_9null_typeES8_S8_S8_S8_S8_S8_S8_EEEEZNS1_11reduce_implILb1ES3_NS6_12zip_iteratorINS7_INS6_11hip_rocprim26transform_input_iterator_tIbNSD_35transform_pair_of_input_iterators_tIbNS6_6detail15normal_iteratorINS6_10device_ptrIKsEEEESL_NS6_8equal_toIsEEEENSG_9not_fun_tINSD_8identityEEEEENSD_19counting_iterator_tIlEES8_S8_S8_S8_S8_S8_S8_S8_EEEEPS9_S9_NSD_9__find_if7functorIS9_EEEE10hipError_tPvRmT1_T2_T3_mT4_P12ihipStream_tbEUlT_E0_NS1_11comp_targetILNS1_3genE10ELNS1_11target_archE1201ELNS1_3gpuE5ELNS1_3repE0EEENS1_30default_config_static_selectorELNS0_4arch9wavefront6targetE0EEEvS14_, .Lfunc_end303-_ZN7rocprim17ROCPRIM_400000_NS6detail17trampoline_kernelINS0_14default_configENS1_22reduce_config_selectorIN6thrust23THRUST_200600_302600_NS5tupleIblNS6_9null_typeES8_S8_S8_S8_S8_S8_S8_EEEEZNS1_11reduce_implILb1ES3_NS6_12zip_iteratorINS7_INS6_11hip_rocprim26transform_input_iterator_tIbNSD_35transform_pair_of_input_iterators_tIbNS6_6detail15normal_iteratorINS6_10device_ptrIKsEEEESL_NS6_8equal_toIsEEEENSG_9not_fun_tINSD_8identityEEEEENSD_19counting_iterator_tIlEES8_S8_S8_S8_S8_S8_S8_S8_EEEEPS9_S9_NSD_9__find_if7functorIS9_EEEE10hipError_tPvRmT1_T2_T3_mT4_P12ihipStream_tbEUlT_E0_NS1_11comp_targetILNS1_3genE10ELNS1_11target_archE1201ELNS1_3gpuE5ELNS1_3repE0EEENS1_30default_config_static_selectorELNS0_4arch9wavefront6targetE0EEEvS14_
                                        ; -- End function
	.set _ZN7rocprim17ROCPRIM_400000_NS6detail17trampoline_kernelINS0_14default_configENS1_22reduce_config_selectorIN6thrust23THRUST_200600_302600_NS5tupleIblNS6_9null_typeES8_S8_S8_S8_S8_S8_S8_EEEEZNS1_11reduce_implILb1ES3_NS6_12zip_iteratorINS7_INS6_11hip_rocprim26transform_input_iterator_tIbNSD_35transform_pair_of_input_iterators_tIbNS6_6detail15normal_iteratorINS6_10device_ptrIKsEEEESL_NS6_8equal_toIsEEEENSG_9not_fun_tINSD_8identityEEEEENSD_19counting_iterator_tIlEES8_S8_S8_S8_S8_S8_S8_S8_EEEEPS9_S9_NSD_9__find_if7functorIS9_EEEE10hipError_tPvRmT1_T2_T3_mT4_P12ihipStream_tbEUlT_E0_NS1_11comp_targetILNS1_3genE10ELNS1_11target_archE1201ELNS1_3gpuE5ELNS1_3repE0EEENS1_30default_config_static_selectorELNS0_4arch9wavefront6targetE0EEEvS14_.num_vgpr, 0
	.set _ZN7rocprim17ROCPRIM_400000_NS6detail17trampoline_kernelINS0_14default_configENS1_22reduce_config_selectorIN6thrust23THRUST_200600_302600_NS5tupleIblNS6_9null_typeES8_S8_S8_S8_S8_S8_S8_EEEEZNS1_11reduce_implILb1ES3_NS6_12zip_iteratorINS7_INS6_11hip_rocprim26transform_input_iterator_tIbNSD_35transform_pair_of_input_iterators_tIbNS6_6detail15normal_iteratorINS6_10device_ptrIKsEEEESL_NS6_8equal_toIsEEEENSG_9not_fun_tINSD_8identityEEEEENSD_19counting_iterator_tIlEES8_S8_S8_S8_S8_S8_S8_S8_EEEEPS9_S9_NSD_9__find_if7functorIS9_EEEE10hipError_tPvRmT1_T2_T3_mT4_P12ihipStream_tbEUlT_E0_NS1_11comp_targetILNS1_3genE10ELNS1_11target_archE1201ELNS1_3gpuE5ELNS1_3repE0EEENS1_30default_config_static_selectorELNS0_4arch9wavefront6targetE0EEEvS14_.num_agpr, 0
	.set _ZN7rocprim17ROCPRIM_400000_NS6detail17trampoline_kernelINS0_14default_configENS1_22reduce_config_selectorIN6thrust23THRUST_200600_302600_NS5tupleIblNS6_9null_typeES8_S8_S8_S8_S8_S8_S8_EEEEZNS1_11reduce_implILb1ES3_NS6_12zip_iteratorINS7_INS6_11hip_rocprim26transform_input_iterator_tIbNSD_35transform_pair_of_input_iterators_tIbNS6_6detail15normal_iteratorINS6_10device_ptrIKsEEEESL_NS6_8equal_toIsEEEENSG_9not_fun_tINSD_8identityEEEEENSD_19counting_iterator_tIlEES8_S8_S8_S8_S8_S8_S8_S8_EEEEPS9_S9_NSD_9__find_if7functorIS9_EEEE10hipError_tPvRmT1_T2_T3_mT4_P12ihipStream_tbEUlT_E0_NS1_11comp_targetILNS1_3genE10ELNS1_11target_archE1201ELNS1_3gpuE5ELNS1_3repE0EEENS1_30default_config_static_selectorELNS0_4arch9wavefront6targetE0EEEvS14_.numbered_sgpr, 0
	.set _ZN7rocprim17ROCPRIM_400000_NS6detail17trampoline_kernelINS0_14default_configENS1_22reduce_config_selectorIN6thrust23THRUST_200600_302600_NS5tupleIblNS6_9null_typeES8_S8_S8_S8_S8_S8_S8_EEEEZNS1_11reduce_implILb1ES3_NS6_12zip_iteratorINS7_INS6_11hip_rocprim26transform_input_iterator_tIbNSD_35transform_pair_of_input_iterators_tIbNS6_6detail15normal_iteratorINS6_10device_ptrIKsEEEESL_NS6_8equal_toIsEEEENSG_9not_fun_tINSD_8identityEEEEENSD_19counting_iterator_tIlEES8_S8_S8_S8_S8_S8_S8_S8_EEEEPS9_S9_NSD_9__find_if7functorIS9_EEEE10hipError_tPvRmT1_T2_T3_mT4_P12ihipStream_tbEUlT_E0_NS1_11comp_targetILNS1_3genE10ELNS1_11target_archE1201ELNS1_3gpuE5ELNS1_3repE0EEENS1_30default_config_static_selectorELNS0_4arch9wavefront6targetE0EEEvS14_.num_named_barrier, 0
	.set _ZN7rocprim17ROCPRIM_400000_NS6detail17trampoline_kernelINS0_14default_configENS1_22reduce_config_selectorIN6thrust23THRUST_200600_302600_NS5tupleIblNS6_9null_typeES8_S8_S8_S8_S8_S8_S8_EEEEZNS1_11reduce_implILb1ES3_NS6_12zip_iteratorINS7_INS6_11hip_rocprim26transform_input_iterator_tIbNSD_35transform_pair_of_input_iterators_tIbNS6_6detail15normal_iteratorINS6_10device_ptrIKsEEEESL_NS6_8equal_toIsEEEENSG_9not_fun_tINSD_8identityEEEEENSD_19counting_iterator_tIlEES8_S8_S8_S8_S8_S8_S8_S8_EEEEPS9_S9_NSD_9__find_if7functorIS9_EEEE10hipError_tPvRmT1_T2_T3_mT4_P12ihipStream_tbEUlT_E0_NS1_11comp_targetILNS1_3genE10ELNS1_11target_archE1201ELNS1_3gpuE5ELNS1_3repE0EEENS1_30default_config_static_selectorELNS0_4arch9wavefront6targetE0EEEvS14_.private_seg_size, 0
	.set _ZN7rocprim17ROCPRIM_400000_NS6detail17trampoline_kernelINS0_14default_configENS1_22reduce_config_selectorIN6thrust23THRUST_200600_302600_NS5tupleIblNS6_9null_typeES8_S8_S8_S8_S8_S8_S8_EEEEZNS1_11reduce_implILb1ES3_NS6_12zip_iteratorINS7_INS6_11hip_rocprim26transform_input_iterator_tIbNSD_35transform_pair_of_input_iterators_tIbNS6_6detail15normal_iteratorINS6_10device_ptrIKsEEEESL_NS6_8equal_toIsEEEENSG_9not_fun_tINSD_8identityEEEEENSD_19counting_iterator_tIlEES8_S8_S8_S8_S8_S8_S8_S8_EEEEPS9_S9_NSD_9__find_if7functorIS9_EEEE10hipError_tPvRmT1_T2_T3_mT4_P12ihipStream_tbEUlT_E0_NS1_11comp_targetILNS1_3genE10ELNS1_11target_archE1201ELNS1_3gpuE5ELNS1_3repE0EEENS1_30default_config_static_selectorELNS0_4arch9wavefront6targetE0EEEvS14_.uses_vcc, 0
	.set _ZN7rocprim17ROCPRIM_400000_NS6detail17trampoline_kernelINS0_14default_configENS1_22reduce_config_selectorIN6thrust23THRUST_200600_302600_NS5tupleIblNS6_9null_typeES8_S8_S8_S8_S8_S8_S8_EEEEZNS1_11reduce_implILb1ES3_NS6_12zip_iteratorINS7_INS6_11hip_rocprim26transform_input_iterator_tIbNSD_35transform_pair_of_input_iterators_tIbNS6_6detail15normal_iteratorINS6_10device_ptrIKsEEEESL_NS6_8equal_toIsEEEENSG_9not_fun_tINSD_8identityEEEEENSD_19counting_iterator_tIlEES8_S8_S8_S8_S8_S8_S8_S8_EEEEPS9_S9_NSD_9__find_if7functorIS9_EEEE10hipError_tPvRmT1_T2_T3_mT4_P12ihipStream_tbEUlT_E0_NS1_11comp_targetILNS1_3genE10ELNS1_11target_archE1201ELNS1_3gpuE5ELNS1_3repE0EEENS1_30default_config_static_selectorELNS0_4arch9wavefront6targetE0EEEvS14_.uses_flat_scratch, 0
	.set _ZN7rocprim17ROCPRIM_400000_NS6detail17trampoline_kernelINS0_14default_configENS1_22reduce_config_selectorIN6thrust23THRUST_200600_302600_NS5tupleIblNS6_9null_typeES8_S8_S8_S8_S8_S8_S8_EEEEZNS1_11reduce_implILb1ES3_NS6_12zip_iteratorINS7_INS6_11hip_rocprim26transform_input_iterator_tIbNSD_35transform_pair_of_input_iterators_tIbNS6_6detail15normal_iteratorINS6_10device_ptrIKsEEEESL_NS6_8equal_toIsEEEENSG_9not_fun_tINSD_8identityEEEEENSD_19counting_iterator_tIlEES8_S8_S8_S8_S8_S8_S8_S8_EEEEPS9_S9_NSD_9__find_if7functorIS9_EEEE10hipError_tPvRmT1_T2_T3_mT4_P12ihipStream_tbEUlT_E0_NS1_11comp_targetILNS1_3genE10ELNS1_11target_archE1201ELNS1_3gpuE5ELNS1_3repE0EEENS1_30default_config_static_selectorELNS0_4arch9wavefront6targetE0EEEvS14_.has_dyn_sized_stack, 0
	.set _ZN7rocprim17ROCPRIM_400000_NS6detail17trampoline_kernelINS0_14default_configENS1_22reduce_config_selectorIN6thrust23THRUST_200600_302600_NS5tupleIblNS6_9null_typeES8_S8_S8_S8_S8_S8_S8_EEEEZNS1_11reduce_implILb1ES3_NS6_12zip_iteratorINS7_INS6_11hip_rocprim26transform_input_iterator_tIbNSD_35transform_pair_of_input_iterators_tIbNS6_6detail15normal_iteratorINS6_10device_ptrIKsEEEESL_NS6_8equal_toIsEEEENSG_9not_fun_tINSD_8identityEEEEENSD_19counting_iterator_tIlEES8_S8_S8_S8_S8_S8_S8_S8_EEEEPS9_S9_NSD_9__find_if7functorIS9_EEEE10hipError_tPvRmT1_T2_T3_mT4_P12ihipStream_tbEUlT_E0_NS1_11comp_targetILNS1_3genE10ELNS1_11target_archE1201ELNS1_3gpuE5ELNS1_3repE0EEENS1_30default_config_static_selectorELNS0_4arch9wavefront6targetE0EEEvS14_.has_recursion, 0
	.set _ZN7rocprim17ROCPRIM_400000_NS6detail17trampoline_kernelINS0_14default_configENS1_22reduce_config_selectorIN6thrust23THRUST_200600_302600_NS5tupleIblNS6_9null_typeES8_S8_S8_S8_S8_S8_S8_EEEEZNS1_11reduce_implILb1ES3_NS6_12zip_iteratorINS7_INS6_11hip_rocprim26transform_input_iterator_tIbNSD_35transform_pair_of_input_iterators_tIbNS6_6detail15normal_iteratorINS6_10device_ptrIKsEEEESL_NS6_8equal_toIsEEEENSG_9not_fun_tINSD_8identityEEEEENSD_19counting_iterator_tIlEES8_S8_S8_S8_S8_S8_S8_S8_EEEEPS9_S9_NSD_9__find_if7functorIS9_EEEE10hipError_tPvRmT1_T2_T3_mT4_P12ihipStream_tbEUlT_E0_NS1_11comp_targetILNS1_3genE10ELNS1_11target_archE1201ELNS1_3gpuE5ELNS1_3repE0EEENS1_30default_config_static_selectorELNS0_4arch9wavefront6targetE0EEEvS14_.has_indirect_call, 0
	.section	.AMDGPU.csdata,"",@progbits
; Kernel info:
; codeLenInByte = 0
; TotalNumSgprs: 0
; NumVgprs: 0
; ScratchSize: 0
; MemoryBound: 0
; FloatMode: 240
; IeeeMode: 1
; LDSByteSize: 0 bytes/workgroup (compile time only)
; SGPRBlocks: 0
; VGPRBlocks: 0
; NumSGPRsForWavesPerEU: 1
; NumVGPRsForWavesPerEU: 1
; Occupancy: 16
; WaveLimiterHint : 0
; COMPUTE_PGM_RSRC2:SCRATCH_EN: 0
; COMPUTE_PGM_RSRC2:USER_SGPR: 6
; COMPUTE_PGM_RSRC2:TRAP_HANDLER: 0
; COMPUTE_PGM_RSRC2:TGID_X_EN: 1
; COMPUTE_PGM_RSRC2:TGID_Y_EN: 0
; COMPUTE_PGM_RSRC2:TGID_Z_EN: 0
; COMPUTE_PGM_RSRC2:TIDIG_COMP_CNT: 0
	.section	.text._ZN7rocprim17ROCPRIM_400000_NS6detail17trampoline_kernelINS0_14default_configENS1_22reduce_config_selectorIN6thrust23THRUST_200600_302600_NS5tupleIblNS6_9null_typeES8_S8_S8_S8_S8_S8_S8_EEEEZNS1_11reduce_implILb1ES3_NS6_12zip_iteratorINS7_INS6_11hip_rocprim26transform_input_iterator_tIbNSD_35transform_pair_of_input_iterators_tIbNS6_6detail15normal_iteratorINS6_10device_ptrIKsEEEESL_NS6_8equal_toIsEEEENSG_9not_fun_tINSD_8identityEEEEENSD_19counting_iterator_tIlEES8_S8_S8_S8_S8_S8_S8_S8_EEEEPS9_S9_NSD_9__find_if7functorIS9_EEEE10hipError_tPvRmT1_T2_T3_mT4_P12ihipStream_tbEUlT_E0_NS1_11comp_targetILNS1_3genE10ELNS1_11target_archE1200ELNS1_3gpuE4ELNS1_3repE0EEENS1_30default_config_static_selectorELNS0_4arch9wavefront6targetE0EEEvS14_,"axG",@progbits,_ZN7rocprim17ROCPRIM_400000_NS6detail17trampoline_kernelINS0_14default_configENS1_22reduce_config_selectorIN6thrust23THRUST_200600_302600_NS5tupleIblNS6_9null_typeES8_S8_S8_S8_S8_S8_S8_EEEEZNS1_11reduce_implILb1ES3_NS6_12zip_iteratorINS7_INS6_11hip_rocprim26transform_input_iterator_tIbNSD_35transform_pair_of_input_iterators_tIbNS6_6detail15normal_iteratorINS6_10device_ptrIKsEEEESL_NS6_8equal_toIsEEEENSG_9not_fun_tINSD_8identityEEEEENSD_19counting_iterator_tIlEES8_S8_S8_S8_S8_S8_S8_S8_EEEEPS9_S9_NSD_9__find_if7functorIS9_EEEE10hipError_tPvRmT1_T2_T3_mT4_P12ihipStream_tbEUlT_E0_NS1_11comp_targetILNS1_3genE10ELNS1_11target_archE1200ELNS1_3gpuE4ELNS1_3repE0EEENS1_30default_config_static_selectorELNS0_4arch9wavefront6targetE0EEEvS14_,comdat
	.protected	_ZN7rocprim17ROCPRIM_400000_NS6detail17trampoline_kernelINS0_14default_configENS1_22reduce_config_selectorIN6thrust23THRUST_200600_302600_NS5tupleIblNS6_9null_typeES8_S8_S8_S8_S8_S8_S8_EEEEZNS1_11reduce_implILb1ES3_NS6_12zip_iteratorINS7_INS6_11hip_rocprim26transform_input_iterator_tIbNSD_35transform_pair_of_input_iterators_tIbNS6_6detail15normal_iteratorINS6_10device_ptrIKsEEEESL_NS6_8equal_toIsEEEENSG_9not_fun_tINSD_8identityEEEEENSD_19counting_iterator_tIlEES8_S8_S8_S8_S8_S8_S8_S8_EEEEPS9_S9_NSD_9__find_if7functorIS9_EEEE10hipError_tPvRmT1_T2_T3_mT4_P12ihipStream_tbEUlT_E0_NS1_11comp_targetILNS1_3genE10ELNS1_11target_archE1200ELNS1_3gpuE4ELNS1_3repE0EEENS1_30default_config_static_selectorELNS0_4arch9wavefront6targetE0EEEvS14_ ; -- Begin function _ZN7rocprim17ROCPRIM_400000_NS6detail17trampoline_kernelINS0_14default_configENS1_22reduce_config_selectorIN6thrust23THRUST_200600_302600_NS5tupleIblNS6_9null_typeES8_S8_S8_S8_S8_S8_S8_EEEEZNS1_11reduce_implILb1ES3_NS6_12zip_iteratorINS7_INS6_11hip_rocprim26transform_input_iterator_tIbNSD_35transform_pair_of_input_iterators_tIbNS6_6detail15normal_iteratorINS6_10device_ptrIKsEEEESL_NS6_8equal_toIsEEEENSG_9not_fun_tINSD_8identityEEEEENSD_19counting_iterator_tIlEES8_S8_S8_S8_S8_S8_S8_S8_EEEEPS9_S9_NSD_9__find_if7functorIS9_EEEE10hipError_tPvRmT1_T2_T3_mT4_P12ihipStream_tbEUlT_E0_NS1_11comp_targetILNS1_3genE10ELNS1_11target_archE1200ELNS1_3gpuE4ELNS1_3repE0EEENS1_30default_config_static_selectorELNS0_4arch9wavefront6targetE0EEEvS14_
	.globl	_ZN7rocprim17ROCPRIM_400000_NS6detail17trampoline_kernelINS0_14default_configENS1_22reduce_config_selectorIN6thrust23THRUST_200600_302600_NS5tupleIblNS6_9null_typeES8_S8_S8_S8_S8_S8_S8_EEEEZNS1_11reduce_implILb1ES3_NS6_12zip_iteratorINS7_INS6_11hip_rocprim26transform_input_iterator_tIbNSD_35transform_pair_of_input_iterators_tIbNS6_6detail15normal_iteratorINS6_10device_ptrIKsEEEESL_NS6_8equal_toIsEEEENSG_9not_fun_tINSD_8identityEEEEENSD_19counting_iterator_tIlEES8_S8_S8_S8_S8_S8_S8_S8_EEEEPS9_S9_NSD_9__find_if7functorIS9_EEEE10hipError_tPvRmT1_T2_T3_mT4_P12ihipStream_tbEUlT_E0_NS1_11comp_targetILNS1_3genE10ELNS1_11target_archE1200ELNS1_3gpuE4ELNS1_3repE0EEENS1_30default_config_static_selectorELNS0_4arch9wavefront6targetE0EEEvS14_
	.p2align	8
	.type	_ZN7rocprim17ROCPRIM_400000_NS6detail17trampoline_kernelINS0_14default_configENS1_22reduce_config_selectorIN6thrust23THRUST_200600_302600_NS5tupleIblNS6_9null_typeES8_S8_S8_S8_S8_S8_S8_EEEEZNS1_11reduce_implILb1ES3_NS6_12zip_iteratorINS7_INS6_11hip_rocprim26transform_input_iterator_tIbNSD_35transform_pair_of_input_iterators_tIbNS6_6detail15normal_iteratorINS6_10device_ptrIKsEEEESL_NS6_8equal_toIsEEEENSG_9not_fun_tINSD_8identityEEEEENSD_19counting_iterator_tIlEES8_S8_S8_S8_S8_S8_S8_S8_EEEEPS9_S9_NSD_9__find_if7functorIS9_EEEE10hipError_tPvRmT1_T2_T3_mT4_P12ihipStream_tbEUlT_E0_NS1_11comp_targetILNS1_3genE10ELNS1_11target_archE1200ELNS1_3gpuE4ELNS1_3repE0EEENS1_30default_config_static_selectorELNS0_4arch9wavefront6targetE0EEEvS14_,@function
_ZN7rocprim17ROCPRIM_400000_NS6detail17trampoline_kernelINS0_14default_configENS1_22reduce_config_selectorIN6thrust23THRUST_200600_302600_NS5tupleIblNS6_9null_typeES8_S8_S8_S8_S8_S8_S8_EEEEZNS1_11reduce_implILb1ES3_NS6_12zip_iteratorINS7_INS6_11hip_rocprim26transform_input_iterator_tIbNSD_35transform_pair_of_input_iterators_tIbNS6_6detail15normal_iteratorINS6_10device_ptrIKsEEEESL_NS6_8equal_toIsEEEENSG_9not_fun_tINSD_8identityEEEEENSD_19counting_iterator_tIlEES8_S8_S8_S8_S8_S8_S8_S8_EEEEPS9_S9_NSD_9__find_if7functorIS9_EEEE10hipError_tPvRmT1_T2_T3_mT4_P12ihipStream_tbEUlT_E0_NS1_11comp_targetILNS1_3genE10ELNS1_11target_archE1200ELNS1_3gpuE4ELNS1_3repE0EEENS1_30default_config_static_selectorELNS0_4arch9wavefront6targetE0EEEvS14_: ; @_ZN7rocprim17ROCPRIM_400000_NS6detail17trampoline_kernelINS0_14default_configENS1_22reduce_config_selectorIN6thrust23THRUST_200600_302600_NS5tupleIblNS6_9null_typeES8_S8_S8_S8_S8_S8_S8_EEEEZNS1_11reduce_implILb1ES3_NS6_12zip_iteratorINS7_INS6_11hip_rocprim26transform_input_iterator_tIbNSD_35transform_pair_of_input_iterators_tIbNS6_6detail15normal_iteratorINS6_10device_ptrIKsEEEESL_NS6_8equal_toIsEEEENSG_9not_fun_tINSD_8identityEEEEENSD_19counting_iterator_tIlEES8_S8_S8_S8_S8_S8_S8_S8_EEEEPS9_S9_NSD_9__find_if7functorIS9_EEEE10hipError_tPvRmT1_T2_T3_mT4_P12ihipStream_tbEUlT_E0_NS1_11comp_targetILNS1_3genE10ELNS1_11target_archE1200ELNS1_3gpuE4ELNS1_3repE0EEENS1_30default_config_static_selectorELNS0_4arch9wavefront6targetE0EEEvS14_
; %bb.0:
	.section	.rodata,"a",@progbits
	.p2align	6, 0x0
	.amdhsa_kernel _ZN7rocprim17ROCPRIM_400000_NS6detail17trampoline_kernelINS0_14default_configENS1_22reduce_config_selectorIN6thrust23THRUST_200600_302600_NS5tupleIblNS6_9null_typeES8_S8_S8_S8_S8_S8_S8_EEEEZNS1_11reduce_implILb1ES3_NS6_12zip_iteratorINS7_INS6_11hip_rocprim26transform_input_iterator_tIbNSD_35transform_pair_of_input_iterators_tIbNS6_6detail15normal_iteratorINS6_10device_ptrIKsEEEESL_NS6_8equal_toIsEEEENSG_9not_fun_tINSD_8identityEEEEENSD_19counting_iterator_tIlEES8_S8_S8_S8_S8_S8_S8_S8_EEEEPS9_S9_NSD_9__find_if7functorIS9_EEEE10hipError_tPvRmT1_T2_T3_mT4_P12ihipStream_tbEUlT_E0_NS1_11comp_targetILNS1_3genE10ELNS1_11target_archE1200ELNS1_3gpuE4ELNS1_3repE0EEENS1_30default_config_static_selectorELNS0_4arch9wavefront6targetE0EEEvS14_
		.amdhsa_group_segment_fixed_size 0
		.amdhsa_private_segment_fixed_size 0
		.amdhsa_kernarg_size 104
		.amdhsa_user_sgpr_count 6
		.amdhsa_user_sgpr_private_segment_buffer 1
		.amdhsa_user_sgpr_dispatch_ptr 0
		.amdhsa_user_sgpr_queue_ptr 0
		.amdhsa_user_sgpr_kernarg_segment_ptr 1
		.amdhsa_user_sgpr_dispatch_id 0
		.amdhsa_user_sgpr_flat_scratch_init 0
		.amdhsa_user_sgpr_private_segment_size 0
		.amdhsa_wavefront_size32 1
		.amdhsa_uses_dynamic_stack 0
		.amdhsa_system_sgpr_private_segment_wavefront_offset 0
		.amdhsa_system_sgpr_workgroup_id_x 1
		.amdhsa_system_sgpr_workgroup_id_y 0
		.amdhsa_system_sgpr_workgroup_id_z 0
		.amdhsa_system_sgpr_workgroup_info 0
		.amdhsa_system_vgpr_workitem_id 0
		.amdhsa_next_free_vgpr 1
		.amdhsa_next_free_sgpr 1
		.amdhsa_reserve_vcc 0
		.amdhsa_reserve_flat_scratch 0
		.amdhsa_float_round_mode_32 0
		.amdhsa_float_round_mode_16_64 0
		.amdhsa_float_denorm_mode_32 3
		.amdhsa_float_denorm_mode_16_64 3
		.amdhsa_dx10_clamp 1
		.amdhsa_ieee_mode 1
		.amdhsa_fp16_overflow 0
		.amdhsa_workgroup_processor_mode 1
		.amdhsa_memory_ordered 1
		.amdhsa_forward_progress 1
		.amdhsa_shared_vgpr_count 0
		.amdhsa_exception_fp_ieee_invalid_op 0
		.amdhsa_exception_fp_denorm_src 0
		.amdhsa_exception_fp_ieee_div_zero 0
		.amdhsa_exception_fp_ieee_overflow 0
		.amdhsa_exception_fp_ieee_underflow 0
		.amdhsa_exception_fp_ieee_inexact 0
		.amdhsa_exception_int_div_zero 0
	.end_amdhsa_kernel
	.section	.text._ZN7rocprim17ROCPRIM_400000_NS6detail17trampoline_kernelINS0_14default_configENS1_22reduce_config_selectorIN6thrust23THRUST_200600_302600_NS5tupleIblNS6_9null_typeES8_S8_S8_S8_S8_S8_S8_EEEEZNS1_11reduce_implILb1ES3_NS6_12zip_iteratorINS7_INS6_11hip_rocprim26transform_input_iterator_tIbNSD_35transform_pair_of_input_iterators_tIbNS6_6detail15normal_iteratorINS6_10device_ptrIKsEEEESL_NS6_8equal_toIsEEEENSG_9not_fun_tINSD_8identityEEEEENSD_19counting_iterator_tIlEES8_S8_S8_S8_S8_S8_S8_S8_EEEEPS9_S9_NSD_9__find_if7functorIS9_EEEE10hipError_tPvRmT1_T2_T3_mT4_P12ihipStream_tbEUlT_E0_NS1_11comp_targetILNS1_3genE10ELNS1_11target_archE1200ELNS1_3gpuE4ELNS1_3repE0EEENS1_30default_config_static_selectorELNS0_4arch9wavefront6targetE0EEEvS14_,"axG",@progbits,_ZN7rocprim17ROCPRIM_400000_NS6detail17trampoline_kernelINS0_14default_configENS1_22reduce_config_selectorIN6thrust23THRUST_200600_302600_NS5tupleIblNS6_9null_typeES8_S8_S8_S8_S8_S8_S8_EEEEZNS1_11reduce_implILb1ES3_NS6_12zip_iteratorINS7_INS6_11hip_rocprim26transform_input_iterator_tIbNSD_35transform_pair_of_input_iterators_tIbNS6_6detail15normal_iteratorINS6_10device_ptrIKsEEEESL_NS6_8equal_toIsEEEENSG_9not_fun_tINSD_8identityEEEEENSD_19counting_iterator_tIlEES8_S8_S8_S8_S8_S8_S8_S8_EEEEPS9_S9_NSD_9__find_if7functorIS9_EEEE10hipError_tPvRmT1_T2_T3_mT4_P12ihipStream_tbEUlT_E0_NS1_11comp_targetILNS1_3genE10ELNS1_11target_archE1200ELNS1_3gpuE4ELNS1_3repE0EEENS1_30default_config_static_selectorELNS0_4arch9wavefront6targetE0EEEvS14_,comdat
.Lfunc_end304:
	.size	_ZN7rocprim17ROCPRIM_400000_NS6detail17trampoline_kernelINS0_14default_configENS1_22reduce_config_selectorIN6thrust23THRUST_200600_302600_NS5tupleIblNS6_9null_typeES8_S8_S8_S8_S8_S8_S8_EEEEZNS1_11reduce_implILb1ES3_NS6_12zip_iteratorINS7_INS6_11hip_rocprim26transform_input_iterator_tIbNSD_35transform_pair_of_input_iterators_tIbNS6_6detail15normal_iteratorINS6_10device_ptrIKsEEEESL_NS6_8equal_toIsEEEENSG_9not_fun_tINSD_8identityEEEEENSD_19counting_iterator_tIlEES8_S8_S8_S8_S8_S8_S8_S8_EEEEPS9_S9_NSD_9__find_if7functorIS9_EEEE10hipError_tPvRmT1_T2_T3_mT4_P12ihipStream_tbEUlT_E0_NS1_11comp_targetILNS1_3genE10ELNS1_11target_archE1200ELNS1_3gpuE4ELNS1_3repE0EEENS1_30default_config_static_selectorELNS0_4arch9wavefront6targetE0EEEvS14_, .Lfunc_end304-_ZN7rocprim17ROCPRIM_400000_NS6detail17trampoline_kernelINS0_14default_configENS1_22reduce_config_selectorIN6thrust23THRUST_200600_302600_NS5tupleIblNS6_9null_typeES8_S8_S8_S8_S8_S8_S8_EEEEZNS1_11reduce_implILb1ES3_NS6_12zip_iteratorINS7_INS6_11hip_rocprim26transform_input_iterator_tIbNSD_35transform_pair_of_input_iterators_tIbNS6_6detail15normal_iteratorINS6_10device_ptrIKsEEEESL_NS6_8equal_toIsEEEENSG_9not_fun_tINSD_8identityEEEEENSD_19counting_iterator_tIlEES8_S8_S8_S8_S8_S8_S8_S8_EEEEPS9_S9_NSD_9__find_if7functorIS9_EEEE10hipError_tPvRmT1_T2_T3_mT4_P12ihipStream_tbEUlT_E0_NS1_11comp_targetILNS1_3genE10ELNS1_11target_archE1200ELNS1_3gpuE4ELNS1_3repE0EEENS1_30default_config_static_selectorELNS0_4arch9wavefront6targetE0EEEvS14_
                                        ; -- End function
	.set _ZN7rocprim17ROCPRIM_400000_NS6detail17trampoline_kernelINS0_14default_configENS1_22reduce_config_selectorIN6thrust23THRUST_200600_302600_NS5tupleIblNS6_9null_typeES8_S8_S8_S8_S8_S8_S8_EEEEZNS1_11reduce_implILb1ES3_NS6_12zip_iteratorINS7_INS6_11hip_rocprim26transform_input_iterator_tIbNSD_35transform_pair_of_input_iterators_tIbNS6_6detail15normal_iteratorINS6_10device_ptrIKsEEEESL_NS6_8equal_toIsEEEENSG_9not_fun_tINSD_8identityEEEEENSD_19counting_iterator_tIlEES8_S8_S8_S8_S8_S8_S8_S8_EEEEPS9_S9_NSD_9__find_if7functorIS9_EEEE10hipError_tPvRmT1_T2_T3_mT4_P12ihipStream_tbEUlT_E0_NS1_11comp_targetILNS1_3genE10ELNS1_11target_archE1200ELNS1_3gpuE4ELNS1_3repE0EEENS1_30default_config_static_selectorELNS0_4arch9wavefront6targetE0EEEvS14_.num_vgpr, 0
	.set _ZN7rocprim17ROCPRIM_400000_NS6detail17trampoline_kernelINS0_14default_configENS1_22reduce_config_selectorIN6thrust23THRUST_200600_302600_NS5tupleIblNS6_9null_typeES8_S8_S8_S8_S8_S8_S8_EEEEZNS1_11reduce_implILb1ES3_NS6_12zip_iteratorINS7_INS6_11hip_rocprim26transform_input_iterator_tIbNSD_35transform_pair_of_input_iterators_tIbNS6_6detail15normal_iteratorINS6_10device_ptrIKsEEEESL_NS6_8equal_toIsEEEENSG_9not_fun_tINSD_8identityEEEEENSD_19counting_iterator_tIlEES8_S8_S8_S8_S8_S8_S8_S8_EEEEPS9_S9_NSD_9__find_if7functorIS9_EEEE10hipError_tPvRmT1_T2_T3_mT4_P12ihipStream_tbEUlT_E0_NS1_11comp_targetILNS1_3genE10ELNS1_11target_archE1200ELNS1_3gpuE4ELNS1_3repE0EEENS1_30default_config_static_selectorELNS0_4arch9wavefront6targetE0EEEvS14_.num_agpr, 0
	.set _ZN7rocprim17ROCPRIM_400000_NS6detail17trampoline_kernelINS0_14default_configENS1_22reduce_config_selectorIN6thrust23THRUST_200600_302600_NS5tupleIblNS6_9null_typeES8_S8_S8_S8_S8_S8_S8_EEEEZNS1_11reduce_implILb1ES3_NS6_12zip_iteratorINS7_INS6_11hip_rocprim26transform_input_iterator_tIbNSD_35transform_pair_of_input_iterators_tIbNS6_6detail15normal_iteratorINS6_10device_ptrIKsEEEESL_NS6_8equal_toIsEEEENSG_9not_fun_tINSD_8identityEEEEENSD_19counting_iterator_tIlEES8_S8_S8_S8_S8_S8_S8_S8_EEEEPS9_S9_NSD_9__find_if7functorIS9_EEEE10hipError_tPvRmT1_T2_T3_mT4_P12ihipStream_tbEUlT_E0_NS1_11comp_targetILNS1_3genE10ELNS1_11target_archE1200ELNS1_3gpuE4ELNS1_3repE0EEENS1_30default_config_static_selectorELNS0_4arch9wavefront6targetE0EEEvS14_.numbered_sgpr, 0
	.set _ZN7rocprim17ROCPRIM_400000_NS6detail17trampoline_kernelINS0_14default_configENS1_22reduce_config_selectorIN6thrust23THRUST_200600_302600_NS5tupleIblNS6_9null_typeES8_S8_S8_S8_S8_S8_S8_EEEEZNS1_11reduce_implILb1ES3_NS6_12zip_iteratorINS7_INS6_11hip_rocprim26transform_input_iterator_tIbNSD_35transform_pair_of_input_iterators_tIbNS6_6detail15normal_iteratorINS6_10device_ptrIKsEEEESL_NS6_8equal_toIsEEEENSG_9not_fun_tINSD_8identityEEEEENSD_19counting_iterator_tIlEES8_S8_S8_S8_S8_S8_S8_S8_EEEEPS9_S9_NSD_9__find_if7functorIS9_EEEE10hipError_tPvRmT1_T2_T3_mT4_P12ihipStream_tbEUlT_E0_NS1_11comp_targetILNS1_3genE10ELNS1_11target_archE1200ELNS1_3gpuE4ELNS1_3repE0EEENS1_30default_config_static_selectorELNS0_4arch9wavefront6targetE0EEEvS14_.num_named_barrier, 0
	.set _ZN7rocprim17ROCPRIM_400000_NS6detail17trampoline_kernelINS0_14default_configENS1_22reduce_config_selectorIN6thrust23THRUST_200600_302600_NS5tupleIblNS6_9null_typeES8_S8_S8_S8_S8_S8_S8_EEEEZNS1_11reduce_implILb1ES3_NS6_12zip_iteratorINS7_INS6_11hip_rocprim26transform_input_iterator_tIbNSD_35transform_pair_of_input_iterators_tIbNS6_6detail15normal_iteratorINS6_10device_ptrIKsEEEESL_NS6_8equal_toIsEEEENSG_9not_fun_tINSD_8identityEEEEENSD_19counting_iterator_tIlEES8_S8_S8_S8_S8_S8_S8_S8_EEEEPS9_S9_NSD_9__find_if7functorIS9_EEEE10hipError_tPvRmT1_T2_T3_mT4_P12ihipStream_tbEUlT_E0_NS1_11comp_targetILNS1_3genE10ELNS1_11target_archE1200ELNS1_3gpuE4ELNS1_3repE0EEENS1_30default_config_static_selectorELNS0_4arch9wavefront6targetE0EEEvS14_.private_seg_size, 0
	.set _ZN7rocprim17ROCPRIM_400000_NS6detail17trampoline_kernelINS0_14default_configENS1_22reduce_config_selectorIN6thrust23THRUST_200600_302600_NS5tupleIblNS6_9null_typeES8_S8_S8_S8_S8_S8_S8_EEEEZNS1_11reduce_implILb1ES3_NS6_12zip_iteratorINS7_INS6_11hip_rocprim26transform_input_iterator_tIbNSD_35transform_pair_of_input_iterators_tIbNS6_6detail15normal_iteratorINS6_10device_ptrIKsEEEESL_NS6_8equal_toIsEEEENSG_9not_fun_tINSD_8identityEEEEENSD_19counting_iterator_tIlEES8_S8_S8_S8_S8_S8_S8_S8_EEEEPS9_S9_NSD_9__find_if7functorIS9_EEEE10hipError_tPvRmT1_T2_T3_mT4_P12ihipStream_tbEUlT_E0_NS1_11comp_targetILNS1_3genE10ELNS1_11target_archE1200ELNS1_3gpuE4ELNS1_3repE0EEENS1_30default_config_static_selectorELNS0_4arch9wavefront6targetE0EEEvS14_.uses_vcc, 0
	.set _ZN7rocprim17ROCPRIM_400000_NS6detail17trampoline_kernelINS0_14default_configENS1_22reduce_config_selectorIN6thrust23THRUST_200600_302600_NS5tupleIblNS6_9null_typeES8_S8_S8_S8_S8_S8_S8_EEEEZNS1_11reduce_implILb1ES3_NS6_12zip_iteratorINS7_INS6_11hip_rocprim26transform_input_iterator_tIbNSD_35transform_pair_of_input_iterators_tIbNS6_6detail15normal_iteratorINS6_10device_ptrIKsEEEESL_NS6_8equal_toIsEEEENSG_9not_fun_tINSD_8identityEEEEENSD_19counting_iterator_tIlEES8_S8_S8_S8_S8_S8_S8_S8_EEEEPS9_S9_NSD_9__find_if7functorIS9_EEEE10hipError_tPvRmT1_T2_T3_mT4_P12ihipStream_tbEUlT_E0_NS1_11comp_targetILNS1_3genE10ELNS1_11target_archE1200ELNS1_3gpuE4ELNS1_3repE0EEENS1_30default_config_static_selectorELNS0_4arch9wavefront6targetE0EEEvS14_.uses_flat_scratch, 0
	.set _ZN7rocprim17ROCPRIM_400000_NS6detail17trampoline_kernelINS0_14default_configENS1_22reduce_config_selectorIN6thrust23THRUST_200600_302600_NS5tupleIblNS6_9null_typeES8_S8_S8_S8_S8_S8_S8_EEEEZNS1_11reduce_implILb1ES3_NS6_12zip_iteratorINS7_INS6_11hip_rocprim26transform_input_iterator_tIbNSD_35transform_pair_of_input_iterators_tIbNS6_6detail15normal_iteratorINS6_10device_ptrIKsEEEESL_NS6_8equal_toIsEEEENSG_9not_fun_tINSD_8identityEEEEENSD_19counting_iterator_tIlEES8_S8_S8_S8_S8_S8_S8_S8_EEEEPS9_S9_NSD_9__find_if7functorIS9_EEEE10hipError_tPvRmT1_T2_T3_mT4_P12ihipStream_tbEUlT_E0_NS1_11comp_targetILNS1_3genE10ELNS1_11target_archE1200ELNS1_3gpuE4ELNS1_3repE0EEENS1_30default_config_static_selectorELNS0_4arch9wavefront6targetE0EEEvS14_.has_dyn_sized_stack, 0
	.set _ZN7rocprim17ROCPRIM_400000_NS6detail17trampoline_kernelINS0_14default_configENS1_22reduce_config_selectorIN6thrust23THRUST_200600_302600_NS5tupleIblNS6_9null_typeES8_S8_S8_S8_S8_S8_S8_EEEEZNS1_11reduce_implILb1ES3_NS6_12zip_iteratorINS7_INS6_11hip_rocprim26transform_input_iterator_tIbNSD_35transform_pair_of_input_iterators_tIbNS6_6detail15normal_iteratorINS6_10device_ptrIKsEEEESL_NS6_8equal_toIsEEEENSG_9not_fun_tINSD_8identityEEEEENSD_19counting_iterator_tIlEES8_S8_S8_S8_S8_S8_S8_S8_EEEEPS9_S9_NSD_9__find_if7functorIS9_EEEE10hipError_tPvRmT1_T2_T3_mT4_P12ihipStream_tbEUlT_E0_NS1_11comp_targetILNS1_3genE10ELNS1_11target_archE1200ELNS1_3gpuE4ELNS1_3repE0EEENS1_30default_config_static_selectorELNS0_4arch9wavefront6targetE0EEEvS14_.has_recursion, 0
	.set _ZN7rocprim17ROCPRIM_400000_NS6detail17trampoline_kernelINS0_14default_configENS1_22reduce_config_selectorIN6thrust23THRUST_200600_302600_NS5tupleIblNS6_9null_typeES8_S8_S8_S8_S8_S8_S8_EEEEZNS1_11reduce_implILb1ES3_NS6_12zip_iteratorINS7_INS6_11hip_rocprim26transform_input_iterator_tIbNSD_35transform_pair_of_input_iterators_tIbNS6_6detail15normal_iteratorINS6_10device_ptrIKsEEEESL_NS6_8equal_toIsEEEENSG_9not_fun_tINSD_8identityEEEEENSD_19counting_iterator_tIlEES8_S8_S8_S8_S8_S8_S8_S8_EEEEPS9_S9_NSD_9__find_if7functorIS9_EEEE10hipError_tPvRmT1_T2_T3_mT4_P12ihipStream_tbEUlT_E0_NS1_11comp_targetILNS1_3genE10ELNS1_11target_archE1200ELNS1_3gpuE4ELNS1_3repE0EEENS1_30default_config_static_selectorELNS0_4arch9wavefront6targetE0EEEvS14_.has_indirect_call, 0
	.section	.AMDGPU.csdata,"",@progbits
; Kernel info:
; codeLenInByte = 0
; TotalNumSgprs: 0
; NumVgprs: 0
; ScratchSize: 0
; MemoryBound: 0
; FloatMode: 240
; IeeeMode: 1
; LDSByteSize: 0 bytes/workgroup (compile time only)
; SGPRBlocks: 0
; VGPRBlocks: 0
; NumSGPRsForWavesPerEU: 1
; NumVGPRsForWavesPerEU: 1
; Occupancy: 16
; WaveLimiterHint : 0
; COMPUTE_PGM_RSRC2:SCRATCH_EN: 0
; COMPUTE_PGM_RSRC2:USER_SGPR: 6
; COMPUTE_PGM_RSRC2:TRAP_HANDLER: 0
; COMPUTE_PGM_RSRC2:TGID_X_EN: 1
; COMPUTE_PGM_RSRC2:TGID_Y_EN: 0
; COMPUTE_PGM_RSRC2:TGID_Z_EN: 0
; COMPUTE_PGM_RSRC2:TIDIG_COMP_CNT: 0
	.section	.text._ZN7rocprim17ROCPRIM_400000_NS6detail17trampoline_kernelINS0_14default_configENS1_22reduce_config_selectorIN6thrust23THRUST_200600_302600_NS5tupleIblNS6_9null_typeES8_S8_S8_S8_S8_S8_S8_EEEEZNS1_11reduce_implILb1ES3_NS6_12zip_iteratorINS7_INS6_11hip_rocprim26transform_input_iterator_tIbNSD_35transform_pair_of_input_iterators_tIbNS6_6detail15normal_iteratorINS6_10device_ptrIKsEEEESL_NS6_8equal_toIsEEEENSG_9not_fun_tINSD_8identityEEEEENSD_19counting_iterator_tIlEES8_S8_S8_S8_S8_S8_S8_S8_EEEEPS9_S9_NSD_9__find_if7functorIS9_EEEE10hipError_tPvRmT1_T2_T3_mT4_P12ihipStream_tbEUlT_E0_NS1_11comp_targetILNS1_3genE9ELNS1_11target_archE1100ELNS1_3gpuE3ELNS1_3repE0EEENS1_30default_config_static_selectorELNS0_4arch9wavefront6targetE0EEEvS14_,"axG",@progbits,_ZN7rocprim17ROCPRIM_400000_NS6detail17trampoline_kernelINS0_14default_configENS1_22reduce_config_selectorIN6thrust23THRUST_200600_302600_NS5tupleIblNS6_9null_typeES8_S8_S8_S8_S8_S8_S8_EEEEZNS1_11reduce_implILb1ES3_NS6_12zip_iteratorINS7_INS6_11hip_rocprim26transform_input_iterator_tIbNSD_35transform_pair_of_input_iterators_tIbNS6_6detail15normal_iteratorINS6_10device_ptrIKsEEEESL_NS6_8equal_toIsEEEENSG_9not_fun_tINSD_8identityEEEEENSD_19counting_iterator_tIlEES8_S8_S8_S8_S8_S8_S8_S8_EEEEPS9_S9_NSD_9__find_if7functorIS9_EEEE10hipError_tPvRmT1_T2_T3_mT4_P12ihipStream_tbEUlT_E0_NS1_11comp_targetILNS1_3genE9ELNS1_11target_archE1100ELNS1_3gpuE3ELNS1_3repE0EEENS1_30default_config_static_selectorELNS0_4arch9wavefront6targetE0EEEvS14_,comdat
	.protected	_ZN7rocprim17ROCPRIM_400000_NS6detail17trampoline_kernelINS0_14default_configENS1_22reduce_config_selectorIN6thrust23THRUST_200600_302600_NS5tupleIblNS6_9null_typeES8_S8_S8_S8_S8_S8_S8_EEEEZNS1_11reduce_implILb1ES3_NS6_12zip_iteratorINS7_INS6_11hip_rocprim26transform_input_iterator_tIbNSD_35transform_pair_of_input_iterators_tIbNS6_6detail15normal_iteratorINS6_10device_ptrIKsEEEESL_NS6_8equal_toIsEEEENSG_9not_fun_tINSD_8identityEEEEENSD_19counting_iterator_tIlEES8_S8_S8_S8_S8_S8_S8_S8_EEEEPS9_S9_NSD_9__find_if7functorIS9_EEEE10hipError_tPvRmT1_T2_T3_mT4_P12ihipStream_tbEUlT_E0_NS1_11comp_targetILNS1_3genE9ELNS1_11target_archE1100ELNS1_3gpuE3ELNS1_3repE0EEENS1_30default_config_static_selectorELNS0_4arch9wavefront6targetE0EEEvS14_ ; -- Begin function _ZN7rocprim17ROCPRIM_400000_NS6detail17trampoline_kernelINS0_14default_configENS1_22reduce_config_selectorIN6thrust23THRUST_200600_302600_NS5tupleIblNS6_9null_typeES8_S8_S8_S8_S8_S8_S8_EEEEZNS1_11reduce_implILb1ES3_NS6_12zip_iteratorINS7_INS6_11hip_rocprim26transform_input_iterator_tIbNSD_35transform_pair_of_input_iterators_tIbNS6_6detail15normal_iteratorINS6_10device_ptrIKsEEEESL_NS6_8equal_toIsEEEENSG_9not_fun_tINSD_8identityEEEEENSD_19counting_iterator_tIlEES8_S8_S8_S8_S8_S8_S8_S8_EEEEPS9_S9_NSD_9__find_if7functorIS9_EEEE10hipError_tPvRmT1_T2_T3_mT4_P12ihipStream_tbEUlT_E0_NS1_11comp_targetILNS1_3genE9ELNS1_11target_archE1100ELNS1_3gpuE3ELNS1_3repE0EEENS1_30default_config_static_selectorELNS0_4arch9wavefront6targetE0EEEvS14_
	.globl	_ZN7rocprim17ROCPRIM_400000_NS6detail17trampoline_kernelINS0_14default_configENS1_22reduce_config_selectorIN6thrust23THRUST_200600_302600_NS5tupleIblNS6_9null_typeES8_S8_S8_S8_S8_S8_S8_EEEEZNS1_11reduce_implILb1ES3_NS6_12zip_iteratorINS7_INS6_11hip_rocprim26transform_input_iterator_tIbNSD_35transform_pair_of_input_iterators_tIbNS6_6detail15normal_iteratorINS6_10device_ptrIKsEEEESL_NS6_8equal_toIsEEEENSG_9not_fun_tINSD_8identityEEEEENSD_19counting_iterator_tIlEES8_S8_S8_S8_S8_S8_S8_S8_EEEEPS9_S9_NSD_9__find_if7functorIS9_EEEE10hipError_tPvRmT1_T2_T3_mT4_P12ihipStream_tbEUlT_E0_NS1_11comp_targetILNS1_3genE9ELNS1_11target_archE1100ELNS1_3gpuE3ELNS1_3repE0EEENS1_30default_config_static_selectorELNS0_4arch9wavefront6targetE0EEEvS14_
	.p2align	8
	.type	_ZN7rocprim17ROCPRIM_400000_NS6detail17trampoline_kernelINS0_14default_configENS1_22reduce_config_selectorIN6thrust23THRUST_200600_302600_NS5tupleIblNS6_9null_typeES8_S8_S8_S8_S8_S8_S8_EEEEZNS1_11reduce_implILb1ES3_NS6_12zip_iteratorINS7_INS6_11hip_rocprim26transform_input_iterator_tIbNSD_35transform_pair_of_input_iterators_tIbNS6_6detail15normal_iteratorINS6_10device_ptrIKsEEEESL_NS6_8equal_toIsEEEENSG_9not_fun_tINSD_8identityEEEEENSD_19counting_iterator_tIlEES8_S8_S8_S8_S8_S8_S8_S8_EEEEPS9_S9_NSD_9__find_if7functorIS9_EEEE10hipError_tPvRmT1_T2_T3_mT4_P12ihipStream_tbEUlT_E0_NS1_11comp_targetILNS1_3genE9ELNS1_11target_archE1100ELNS1_3gpuE3ELNS1_3repE0EEENS1_30default_config_static_selectorELNS0_4arch9wavefront6targetE0EEEvS14_,@function
_ZN7rocprim17ROCPRIM_400000_NS6detail17trampoline_kernelINS0_14default_configENS1_22reduce_config_selectorIN6thrust23THRUST_200600_302600_NS5tupleIblNS6_9null_typeES8_S8_S8_S8_S8_S8_S8_EEEEZNS1_11reduce_implILb1ES3_NS6_12zip_iteratorINS7_INS6_11hip_rocprim26transform_input_iterator_tIbNSD_35transform_pair_of_input_iterators_tIbNS6_6detail15normal_iteratorINS6_10device_ptrIKsEEEESL_NS6_8equal_toIsEEEENSG_9not_fun_tINSD_8identityEEEEENSD_19counting_iterator_tIlEES8_S8_S8_S8_S8_S8_S8_S8_EEEEPS9_S9_NSD_9__find_if7functorIS9_EEEE10hipError_tPvRmT1_T2_T3_mT4_P12ihipStream_tbEUlT_E0_NS1_11comp_targetILNS1_3genE9ELNS1_11target_archE1100ELNS1_3gpuE3ELNS1_3repE0EEENS1_30default_config_static_selectorELNS0_4arch9wavefront6targetE0EEEvS14_: ; @_ZN7rocprim17ROCPRIM_400000_NS6detail17trampoline_kernelINS0_14default_configENS1_22reduce_config_selectorIN6thrust23THRUST_200600_302600_NS5tupleIblNS6_9null_typeES8_S8_S8_S8_S8_S8_S8_EEEEZNS1_11reduce_implILb1ES3_NS6_12zip_iteratorINS7_INS6_11hip_rocprim26transform_input_iterator_tIbNSD_35transform_pair_of_input_iterators_tIbNS6_6detail15normal_iteratorINS6_10device_ptrIKsEEEESL_NS6_8equal_toIsEEEENSG_9not_fun_tINSD_8identityEEEEENSD_19counting_iterator_tIlEES8_S8_S8_S8_S8_S8_S8_S8_EEEEPS9_S9_NSD_9__find_if7functorIS9_EEEE10hipError_tPvRmT1_T2_T3_mT4_P12ihipStream_tbEUlT_E0_NS1_11comp_targetILNS1_3genE9ELNS1_11target_archE1100ELNS1_3gpuE3ELNS1_3repE0EEENS1_30default_config_static_selectorELNS0_4arch9wavefront6targetE0EEEvS14_
; %bb.0:
	.section	.rodata,"a",@progbits
	.p2align	6, 0x0
	.amdhsa_kernel _ZN7rocprim17ROCPRIM_400000_NS6detail17trampoline_kernelINS0_14default_configENS1_22reduce_config_selectorIN6thrust23THRUST_200600_302600_NS5tupleIblNS6_9null_typeES8_S8_S8_S8_S8_S8_S8_EEEEZNS1_11reduce_implILb1ES3_NS6_12zip_iteratorINS7_INS6_11hip_rocprim26transform_input_iterator_tIbNSD_35transform_pair_of_input_iterators_tIbNS6_6detail15normal_iteratorINS6_10device_ptrIKsEEEESL_NS6_8equal_toIsEEEENSG_9not_fun_tINSD_8identityEEEEENSD_19counting_iterator_tIlEES8_S8_S8_S8_S8_S8_S8_S8_EEEEPS9_S9_NSD_9__find_if7functorIS9_EEEE10hipError_tPvRmT1_T2_T3_mT4_P12ihipStream_tbEUlT_E0_NS1_11comp_targetILNS1_3genE9ELNS1_11target_archE1100ELNS1_3gpuE3ELNS1_3repE0EEENS1_30default_config_static_selectorELNS0_4arch9wavefront6targetE0EEEvS14_
		.amdhsa_group_segment_fixed_size 0
		.amdhsa_private_segment_fixed_size 0
		.amdhsa_kernarg_size 104
		.amdhsa_user_sgpr_count 6
		.amdhsa_user_sgpr_private_segment_buffer 1
		.amdhsa_user_sgpr_dispatch_ptr 0
		.amdhsa_user_sgpr_queue_ptr 0
		.amdhsa_user_sgpr_kernarg_segment_ptr 1
		.amdhsa_user_sgpr_dispatch_id 0
		.amdhsa_user_sgpr_flat_scratch_init 0
		.amdhsa_user_sgpr_private_segment_size 0
		.amdhsa_wavefront_size32 1
		.amdhsa_uses_dynamic_stack 0
		.amdhsa_system_sgpr_private_segment_wavefront_offset 0
		.amdhsa_system_sgpr_workgroup_id_x 1
		.amdhsa_system_sgpr_workgroup_id_y 0
		.amdhsa_system_sgpr_workgroup_id_z 0
		.amdhsa_system_sgpr_workgroup_info 0
		.amdhsa_system_vgpr_workitem_id 0
		.amdhsa_next_free_vgpr 1
		.amdhsa_next_free_sgpr 1
		.amdhsa_reserve_vcc 0
		.amdhsa_reserve_flat_scratch 0
		.amdhsa_float_round_mode_32 0
		.amdhsa_float_round_mode_16_64 0
		.amdhsa_float_denorm_mode_32 3
		.amdhsa_float_denorm_mode_16_64 3
		.amdhsa_dx10_clamp 1
		.amdhsa_ieee_mode 1
		.amdhsa_fp16_overflow 0
		.amdhsa_workgroup_processor_mode 1
		.amdhsa_memory_ordered 1
		.amdhsa_forward_progress 1
		.amdhsa_shared_vgpr_count 0
		.amdhsa_exception_fp_ieee_invalid_op 0
		.amdhsa_exception_fp_denorm_src 0
		.amdhsa_exception_fp_ieee_div_zero 0
		.amdhsa_exception_fp_ieee_overflow 0
		.amdhsa_exception_fp_ieee_underflow 0
		.amdhsa_exception_fp_ieee_inexact 0
		.amdhsa_exception_int_div_zero 0
	.end_amdhsa_kernel
	.section	.text._ZN7rocprim17ROCPRIM_400000_NS6detail17trampoline_kernelINS0_14default_configENS1_22reduce_config_selectorIN6thrust23THRUST_200600_302600_NS5tupleIblNS6_9null_typeES8_S8_S8_S8_S8_S8_S8_EEEEZNS1_11reduce_implILb1ES3_NS6_12zip_iteratorINS7_INS6_11hip_rocprim26transform_input_iterator_tIbNSD_35transform_pair_of_input_iterators_tIbNS6_6detail15normal_iteratorINS6_10device_ptrIKsEEEESL_NS6_8equal_toIsEEEENSG_9not_fun_tINSD_8identityEEEEENSD_19counting_iterator_tIlEES8_S8_S8_S8_S8_S8_S8_S8_EEEEPS9_S9_NSD_9__find_if7functorIS9_EEEE10hipError_tPvRmT1_T2_T3_mT4_P12ihipStream_tbEUlT_E0_NS1_11comp_targetILNS1_3genE9ELNS1_11target_archE1100ELNS1_3gpuE3ELNS1_3repE0EEENS1_30default_config_static_selectorELNS0_4arch9wavefront6targetE0EEEvS14_,"axG",@progbits,_ZN7rocprim17ROCPRIM_400000_NS6detail17trampoline_kernelINS0_14default_configENS1_22reduce_config_selectorIN6thrust23THRUST_200600_302600_NS5tupleIblNS6_9null_typeES8_S8_S8_S8_S8_S8_S8_EEEEZNS1_11reduce_implILb1ES3_NS6_12zip_iteratorINS7_INS6_11hip_rocprim26transform_input_iterator_tIbNSD_35transform_pair_of_input_iterators_tIbNS6_6detail15normal_iteratorINS6_10device_ptrIKsEEEESL_NS6_8equal_toIsEEEENSG_9not_fun_tINSD_8identityEEEEENSD_19counting_iterator_tIlEES8_S8_S8_S8_S8_S8_S8_S8_EEEEPS9_S9_NSD_9__find_if7functorIS9_EEEE10hipError_tPvRmT1_T2_T3_mT4_P12ihipStream_tbEUlT_E0_NS1_11comp_targetILNS1_3genE9ELNS1_11target_archE1100ELNS1_3gpuE3ELNS1_3repE0EEENS1_30default_config_static_selectorELNS0_4arch9wavefront6targetE0EEEvS14_,comdat
.Lfunc_end305:
	.size	_ZN7rocprim17ROCPRIM_400000_NS6detail17trampoline_kernelINS0_14default_configENS1_22reduce_config_selectorIN6thrust23THRUST_200600_302600_NS5tupleIblNS6_9null_typeES8_S8_S8_S8_S8_S8_S8_EEEEZNS1_11reduce_implILb1ES3_NS6_12zip_iteratorINS7_INS6_11hip_rocprim26transform_input_iterator_tIbNSD_35transform_pair_of_input_iterators_tIbNS6_6detail15normal_iteratorINS6_10device_ptrIKsEEEESL_NS6_8equal_toIsEEEENSG_9not_fun_tINSD_8identityEEEEENSD_19counting_iterator_tIlEES8_S8_S8_S8_S8_S8_S8_S8_EEEEPS9_S9_NSD_9__find_if7functorIS9_EEEE10hipError_tPvRmT1_T2_T3_mT4_P12ihipStream_tbEUlT_E0_NS1_11comp_targetILNS1_3genE9ELNS1_11target_archE1100ELNS1_3gpuE3ELNS1_3repE0EEENS1_30default_config_static_selectorELNS0_4arch9wavefront6targetE0EEEvS14_, .Lfunc_end305-_ZN7rocprim17ROCPRIM_400000_NS6detail17trampoline_kernelINS0_14default_configENS1_22reduce_config_selectorIN6thrust23THRUST_200600_302600_NS5tupleIblNS6_9null_typeES8_S8_S8_S8_S8_S8_S8_EEEEZNS1_11reduce_implILb1ES3_NS6_12zip_iteratorINS7_INS6_11hip_rocprim26transform_input_iterator_tIbNSD_35transform_pair_of_input_iterators_tIbNS6_6detail15normal_iteratorINS6_10device_ptrIKsEEEESL_NS6_8equal_toIsEEEENSG_9not_fun_tINSD_8identityEEEEENSD_19counting_iterator_tIlEES8_S8_S8_S8_S8_S8_S8_S8_EEEEPS9_S9_NSD_9__find_if7functorIS9_EEEE10hipError_tPvRmT1_T2_T3_mT4_P12ihipStream_tbEUlT_E0_NS1_11comp_targetILNS1_3genE9ELNS1_11target_archE1100ELNS1_3gpuE3ELNS1_3repE0EEENS1_30default_config_static_selectorELNS0_4arch9wavefront6targetE0EEEvS14_
                                        ; -- End function
	.set _ZN7rocprim17ROCPRIM_400000_NS6detail17trampoline_kernelINS0_14default_configENS1_22reduce_config_selectorIN6thrust23THRUST_200600_302600_NS5tupleIblNS6_9null_typeES8_S8_S8_S8_S8_S8_S8_EEEEZNS1_11reduce_implILb1ES3_NS6_12zip_iteratorINS7_INS6_11hip_rocprim26transform_input_iterator_tIbNSD_35transform_pair_of_input_iterators_tIbNS6_6detail15normal_iteratorINS6_10device_ptrIKsEEEESL_NS6_8equal_toIsEEEENSG_9not_fun_tINSD_8identityEEEEENSD_19counting_iterator_tIlEES8_S8_S8_S8_S8_S8_S8_S8_EEEEPS9_S9_NSD_9__find_if7functorIS9_EEEE10hipError_tPvRmT1_T2_T3_mT4_P12ihipStream_tbEUlT_E0_NS1_11comp_targetILNS1_3genE9ELNS1_11target_archE1100ELNS1_3gpuE3ELNS1_3repE0EEENS1_30default_config_static_selectorELNS0_4arch9wavefront6targetE0EEEvS14_.num_vgpr, 0
	.set _ZN7rocprim17ROCPRIM_400000_NS6detail17trampoline_kernelINS0_14default_configENS1_22reduce_config_selectorIN6thrust23THRUST_200600_302600_NS5tupleIblNS6_9null_typeES8_S8_S8_S8_S8_S8_S8_EEEEZNS1_11reduce_implILb1ES3_NS6_12zip_iteratorINS7_INS6_11hip_rocprim26transform_input_iterator_tIbNSD_35transform_pair_of_input_iterators_tIbNS6_6detail15normal_iteratorINS6_10device_ptrIKsEEEESL_NS6_8equal_toIsEEEENSG_9not_fun_tINSD_8identityEEEEENSD_19counting_iterator_tIlEES8_S8_S8_S8_S8_S8_S8_S8_EEEEPS9_S9_NSD_9__find_if7functorIS9_EEEE10hipError_tPvRmT1_T2_T3_mT4_P12ihipStream_tbEUlT_E0_NS1_11comp_targetILNS1_3genE9ELNS1_11target_archE1100ELNS1_3gpuE3ELNS1_3repE0EEENS1_30default_config_static_selectorELNS0_4arch9wavefront6targetE0EEEvS14_.num_agpr, 0
	.set _ZN7rocprim17ROCPRIM_400000_NS6detail17trampoline_kernelINS0_14default_configENS1_22reduce_config_selectorIN6thrust23THRUST_200600_302600_NS5tupleIblNS6_9null_typeES8_S8_S8_S8_S8_S8_S8_EEEEZNS1_11reduce_implILb1ES3_NS6_12zip_iteratorINS7_INS6_11hip_rocprim26transform_input_iterator_tIbNSD_35transform_pair_of_input_iterators_tIbNS6_6detail15normal_iteratorINS6_10device_ptrIKsEEEESL_NS6_8equal_toIsEEEENSG_9not_fun_tINSD_8identityEEEEENSD_19counting_iterator_tIlEES8_S8_S8_S8_S8_S8_S8_S8_EEEEPS9_S9_NSD_9__find_if7functorIS9_EEEE10hipError_tPvRmT1_T2_T3_mT4_P12ihipStream_tbEUlT_E0_NS1_11comp_targetILNS1_3genE9ELNS1_11target_archE1100ELNS1_3gpuE3ELNS1_3repE0EEENS1_30default_config_static_selectorELNS0_4arch9wavefront6targetE0EEEvS14_.numbered_sgpr, 0
	.set _ZN7rocprim17ROCPRIM_400000_NS6detail17trampoline_kernelINS0_14default_configENS1_22reduce_config_selectorIN6thrust23THRUST_200600_302600_NS5tupleIblNS6_9null_typeES8_S8_S8_S8_S8_S8_S8_EEEEZNS1_11reduce_implILb1ES3_NS6_12zip_iteratorINS7_INS6_11hip_rocprim26transform_input_iterator_tIbNSD_35transform_pair_of_input_iterators_tIbNS6_6detail15normal_iteratorINS6_10device_ptrIKsEEEESL_NS6_8equal_toIsEEEENSG_9not_fun_tINSD_8identityEEEEENSD_19counting_iterator_tIlEES8_S8_S8_S8_S8_S8_S8_S8_EEEEPS9_S9_NSD_9__find_if7functorIS9_EEEE10hipError_tPvRmT1_T2_T3_mT4_P12ihipStream_tbEUlT_E0_NS1_11comp_targetILNS1_3genE9ELNS1_11target_archE1100ELNS1_3gpuE3ELNS1_3repE0EEENS1_30default_config_static_selectorELNS0_4arch9wavefront6targetE0EEEvS14_.num_named_barrier, 0
	.set _ZN7rocprim17ROCPRIM_400000_NS6detail17trampoline_kernelINS0_14default_configENS1_22reduce_config_selectorIN6thrust23THRUST_200600_302600_NS5tupleIblNS6_9null_typeES8_S8_S8_S8_S8_S8_S8_EEEEZNS1_11reduce_implILb1ES3_NS6_12zip_iteratorINS7_INS6_11hip_rocprim26transform_input_iterator_tIbNSD_35transform_pair_of_input_iterators_tIbNS6_6detail15normal_iteratorINS6_10device_ptrIKsEEEESL_NS6_8equal_toIsEEEENSG_9not_fun_tINSD_8identityEEEEENSD_19counting_iterator_tIlEES8_S8_S8_S8_S8_S8_S8_S8_EEEEPS9_S9_NSD_9__find_if7functorIS9_EEEE10hipError_tPvRmT1_T2_T3_mT4_P12ihipStream_tbEUlT_E0_NS1_11comp_targetILNS1_3genE9ELNS1_11target_archE1100ELNS1_3gpuE3ELNS1_3repE0EEENS1_30default_config_static_selectorELNS0_4arch9wavefront6targetE0EEEvS14_.private_seg_size, 0
	.set _ZN7rocprim17ROCPRIM_400000_NS6detail17trampoline_kernelINS0_14default_configENS1_22reduce_config_selectorIN6thrust23THRUST_200600_302600_NS5tupleIblNS6_9null_typeES8_S8_S8_S8_S8_S8_S8_EEEEZNS1_11reduce_implILb1ES3_NS6_12zip_iteratorINS7_INS6_11hip_rocprim26transform_input_iterator_tIbNSD_35transform_pair_of_input_iterators_tIbNS6_6detail15normal_iteratorINS6_10device_ptrIKsEEEESL_NS6_8equal_toIsEEEENSG_9not_fun_tINSD_8identityEEEEENSD_19counting_iterator_tIlEES8_S8_S8_S8_S8_S8_S8_S8_EEEEPS9_S9_NSD_9__find_if7functorIS9_EEEE10hipError_tPvRmT1_T2_T3_mT4_P12ihipStream_tbEUlT_E0_NS1_11comp_targetILNS1_3genE9ELNS1_11target_archE1100ELNS1_3gpuE3ELNS1_3repE0EEENS1_30default_config_static_selectorELNS0_4arch9wavefront6targetE0EEEvS14_.uses_vcc, 0
	.set _ZN7rocprim17ROCPRIM_400000_NS6detail17trampoline_kernelINS0_14default_configENS1_22reduce_config_selectorIN6thrust23THRUST_200600_302600_NS5tupleIblNS6_9null_typeES8_S8_S8_S8_S8_S8_S8_EEEEZNS1_11reduce_implILb1ES3_NS6_12zip_iteratorINS7_INS6_11hip_rocprim26transform_input_iterator_tIbNSD_35transform_pair_of_input_iterators_tIbNS6_6detail15normal_iteratorINS6_10device_ptrIKsEEEESL_NS6_8equal_toIsEEEENSG_9not_fun_tINSD_8identityEEEEENSD_19counting_iterator_tIlEES8_S8_S8_S8_S8_S8_S8_S8_EEEEPS9_S9_NSD_9__find_if7functorIS9_EEEE10hipError_tPvRmT1_T2_T3_mT4_P12ihipStream_tbEUlT_E0_NS1_11comp_targetILNS1_3genE9ELNS1_11target_archE1100ELNS1_3gpuE3ELNS1_3repE0EEENS1_30default_config_static_selectorELNS0_4arch9wavefront6targetE0EEEvS14_.uses_flat_scratch, 0
	.set _ZN7rocprim17ROCPRIM_400000_NS6detail17trampoline_kernelINS0_14default_configENS1_22reduce_config_selectorIN6thrust23THRUST_200600_302600_NS5tupleIblNS6_9null_typeES8_S8_S8_S8_S8_S8_S8_EEEEZNS1_11reduce_implILb1ES3_NS6_12zip_iteratorINS7_INS6_11hip_rocprim26transform_input_iterator_tIbNSD_35transform_pair_of_input_iterators_tIbNS6_6detail15normal_iteratorINS6_10device_ptrIKsEEEESL_NS6_8equal_toIsEEEENSG_9not_fun_tINSD_8identityEEEEENSD_19counting_iterator_tIlEES8_S8_S8_S8_S8_S8_S8_S8_EEEEPS9_S9_NSD_9__find_if7functorIS9_EEEE10hipError_tPvRmT1_T2_T3_mT4_P12ihipStream_tbEUlT_E0_NS1_11comp_targetILNS1_3genE9ELNS1_11target_archE1100ELNS1_3gpuE3ELNS1_3repE0EEENS1_30default_config_static_selectorELNS0_4arch9wavefront6targetE0EEEvS14_.has_dyn_sized_stack, 0
	.set _ZN7rocprim17ROCPRIM_400000_NS6detail17trampoline_kernelINS0_14default_configENS1_22reduce_config_selectorIN6thrust23THRUST_200600_302600_NS5tupleIblNS6_9null_typeES8_S8_S8_S8_S8_S8_S8_EEEEZNS1_11reduce_implILb1ES3_NS6_12zip_iteratorINS7_INS6_11hip_rocprim26transform_input_iterator_tIbNSD_35transform_pair_of_input_iterators_tIbNS6_6detail15normal_iteratorINS6_10device_ptrIKsEEEESL_NS6_8equal_toIsEEEENSG_9not_fun_tINSD_8identityEEEEENSD_19counting_iterator_tIlEES8_S8_S8_S8_S8_S8_S8_S8_EEEEPS9_S9_NSD_9__find_if7functorIS9_EEEE10hipError_tPvRmT1_T2_T3_mT4_P12ihipStream_tbEUlT_E0_NS1_11comp_targetILNS1_3genE9ELNS1_11target_archE1100ELNS1_3gpuE3ELNS1_3repE0EEENS1_30default_config_static_selectorELNS0_4arch9wavefront6targetE0EEEvS14_.has_recursion, 0
	.set _ZN7rocprim17ROCPRIM_400000_NS6detail17trampoline_kernelINS0_14default_configENS1_22reduce_config_selectorIN6thrust23THRUST_200600_302600_NS5tupleIblNS6_9null_typeES8_S8_S8_S8_S8_S8_S8_EEEEZNS1_11reduce_implILb1ES3_NS6_12zip_iteratorINS7_INS6_11hip_rocprim26transform_input_iterator_tIbNSD_35transform_pair_of_input_iterators_tIbNS6_6detail15normal_iteratorINS6_10device_ptrIKsEEEESL_NS6_8equal_toIsEEEENSG_9not_fun_tINSD_8identityEEEEENSD_19counting_iterator_tIlEES8_S8_S8_S8_S8_S8_S8_S8_EEEEPS9_S9_NSD_9__find_if7functorIS9_EEEE10hipError_tPvRmT1_T2_T3_mT4_P12ihipStream_tbEUlT_E0_NS1_11comp_targetILNS1_3genE9ELNS1_11target_archE1100ELNS1_3gpuE3ELNS1_3repE0EEENS1_30default_config_static_selectorELNS0_4arch9wavefront6targetE0EEEvS14_.has_indirect_call, 0
	.section	.AMDGPU.csdata,"",@progbits
; Kernel info:
; codeLenInByte = 0
; TotalNumSgprs: 0
; NumVgprs: 0
; ScratchSize: 0
; MemoryBound: 0
; FloatMode: 240
; IeeeMode: 1
; LDSByteSize: 0 bytes/workgroup (compile time only)
; SGPRBlocks: 0
; VGPRBlocks: 0
; NumSGPRsForWavesPerEU: 1
; NumVGPRsForWavesPerEU: 1
; Occupancy: 16
; WaveLimiterHint : 0
; COMPUTE_PGM_RSRC2:SCRATCH_EN: 0
; COMPUTE_PGM_RSRC2:USER_SGPR: 6
; COMPUTE_PGM_RSRC2:TRAP_HANDLER: 0
; COMPUTE_PGM_RSRC2:TGID_X_EN: 1
; COMPUTE_PGM_RSRC2:TGID_Y_EN: 0
; COMPUTE_PGM_RSRC2:TGID_Z_EN: 0
; COMPUTE_PGM_RSRC2:TIDIG_COMP_CNT: 0
	.section	.text._ZN7rocprim17ROCPRIM_400000_NS6detail17trampoline_kernelINS0_14default_configENS1_22reduce_config_selectorIN6thrust23THRUST_200600_302600_NS5tupleIblNS6_9null_typeES8_S8_S8_S8_S8_S8_S8_EEEEZNS1_11reduce_implILb1ES3_NS6_12zip_iteratorINS7_INS6_11hip_rocprim26transform_input_iterator_tIbNSD_35transform_pair_of_input_iterators_tIbNS6_6detail15normal_iteratorINS6_10device_ptrIKsEEEESL_NS6_8equal_toIsEEEENSG_9not_fun_tINSD_8identityEEEEENSD_19counting_iterator_tIlEES8_S8_S8_S8_S8_S8_S8_S8_EEEEPS9_S9_NSD_9__find_if7functorIS9_EEEE10hipError_tPvRmT1_T2_T3_mT4_P12ihipStream_tbEUlT_E0_NS1_11comp_targetILNS1_3genE8ELNS1_11target_archE1030ELNS1_3gpuE2ELNS1_3repE0EEENS1_30default_config_static_selectorELNS0_4arch9wavefront6targetE0EEEvS14_,"axG",@progbits,_ZN7rocprim17ROCPRIM_400000_NS6detail17trampoline_kernelINS0_14default_configENS1_22reduce_config_selectorIN6thrust23THRUST_200600_302600_NS5tupleIblNS6_9null_typeES8_S8_S8_S8_S8_S8_S8_EEEEZNS1_11reduce_implILb1ES3_NS6_12zip_iteratorINS7_INS6_11hip_rocprim26transform_input_iterator_tIbNSD_35transform_pair_of_input_iterators_tIbNS6_6detail15normal_iteratorINS6_10device_ptrIKsEEEESL_NS6_8equal_toIsEEEENSG_9not_fun_tINSD_8identityEEEEENSD_19counting_iterator_tIlEES8_S8_S8_S8_S8_S8_S8_S8_EEEEPS9_S9_NSD_9__find_if7functorIS9_EEEE10hipError_tPvRmT1_T2_T3_mT4_P12ihipStream_tbEUlT_E0_NS1_11comp_targetILNS1_3genE8ELNS1_11target_archE1030ELNS1_3gpuE2ELNS1_3repE0EEENS1_30default_config_static_selectorELNS0_4arch9wavefront6targetE0EEEvS14_,comdat
	.protected	_ZN7rocprim17ROCPRIM_400000_NS6detail17trampoline_kernelINS0_14default_configENS1_22reduce_config_selectorIN6thrust23THRUST_200600_302600_NS5tupleIblNS6_9null_typeES8_S8_S8_S8_S8_S8_S8_EEEEZNS1_11reduce_implILb1ES3_NS6_12zip_iteratorINS7_INS6_11hip_rocprim26transform_input_iterator_tIbNSD_35transform_pair_of_input_iterators_tIbNS6_6detail15normal_iteratorINS6_10device_ptrIKsEEEESL_NS6_8equal_toIsEEEENSG_9not_fun_tINSD_8identityEEEEENSD_19counting_iterator_tIlEES8_S8_S8_S8_S8_S8_S8_S8_EEEEPS9_S9_NSD_9__find_if7functorIS9_EEEE10hipError_tPvRmT1_T2_T3_mT4_P12ihipStream_tbEUlT_E0_NS1_11comp_targetILNS1_3genE8ELNS1_11target_archE1030ELNS1_3gpuE2ELNS1_3repE0EEENS1_30default_config_static_selectorELNS0_4arch9wavefront6targetE0EEEvS14_ ; -- Begin function _ZN7rocprim17ROCPRIM_400000_NS6detail17trampoline_kernelINS0_14default_configENS1_22reduce_config_selectorIN6thrust23THRUST_200600_302600_NS5tupleIblNS6_9null_typeES8_S8_S8_S8_S8_S8_S8_EEEEZNS1_11reduce_implILb1ES3_NS6_12zip_iteratorINS7_INS6_11hip_rocprim26transform_input_iterator_tIbNSD_35transform_pair_of_input_iterators_tIbNS6_6detail15normal_iteratorINS6_10device_ptrIKsEEEESL_NS6_8equal_toIsEEEENSG_9not_fun_tINSD_8identityEEEEENSD_19counting_iterator_tIlEES8_S8_S8_S8_S8_S8_S8_S8_EEEEPS9_S9_NSD_9__find_if7functorIS9_EEEE10hipError_tPvRmT1_T2_T3_mT4_P12ihipStream_tbEUlT_E0_NS1_11comp_targetILNS1_3genE8ELNS1_11target_archE1030ELNS1_3gpuE2ELNS1_3repE0EEENS1_30default_config_static_selectorELNS0_4arch9wavefront6targetE0EEEvS14_
	.globl	_ZN7rocprim17ROCPRIM_400000_NS6detail17trampoline_kernelINS0_14default_configENS1_22reduce_config_selectorIN6thrust23THRUST_200600_302600_NS5tupleIblNS6_9null_typeES8_S8_S8_S8_S8_S8_S8_EEEEZNS1_11reduce_implILb1ES3_NS6_12zip_iteratorINS7_INS6_11hip_rocprim26transform_input_iterator_tIbNSD_35transform_pair_of_input_iterators_tIbNS6_6detail15normal_iteratorINS6_10device_ptrIKsEEEESL_NS6_8equal_toIsEEEENSG_9not_fun_tINSD_8identityEEEEENSD_19counting_iterator_tIlEES8_S8_S8_S8_S8_S8_S8_S8_EEEEPS9_S9_NSD_9__find_if7functorIS9_EEEE10hipError_tPvRmT1_T2_T3_mT4_P12ihipStream_tbEUlT_E0_NS1_11comp_targetILNS1_3genE8ELNS1_11target_archE1030ELNS1_3gpuE2ELNS1_3repE0EEENS1_30default_config_static_selectorELNS0_4arch9wavefront6targetE0EEEvS14_
	.p2align	8
	.type	_ZN7rocprim17ROCPRIM_400000_NS6detail17trampoline_kernelINS0_14default_configENS1_22reduce_config_selectorIN6thrust23THRUST_200600_302600_NS5tupleIblNS6_9null_typeES8_S8_S8_S8_S8_S8_S8_EEEEZNS1_11reduce_implILb1ES3_NS6_12zip_iteratorINS7_INS6_11hip_rocprim26transform_input_iterator_tIbNSD_35transform_pair_of_input_iterators_tIbNS6_6detail15normal_iteratorINS6_10device_ptrIKsEEEESL_NS6_8equal_toIsEEEENSG_9not_fun_tINSD_8identityEEEEENSD_19counting_iterator_tIlEES8_S8_S8_S8_S8_S8_S8_S8_EEEEPS9_S9_NSD_9__find_if7functorIS9_EEEE10hipError_tPvRmT1_T2_T3_mT4_P12ihipStream_tbEUlT_E0_NS1_11comp_targetILNS1_3genE8ELNS1_11target_archE1030ELNS1_3gpuE2ELNS1_3repE0EEENS1_30default_config_static_selectorELNS0_4arch9wavefront6targetE0EEEvS14_,@function
_ZN7rocprim17ROCPRIM_400000_NS6detail17trampoline_kernelINS0_14default_configENS1_22reduce_config_selectorIN6thrust23THRUST_200600_302600_NS5tupleIblNS6_9null_typeES8_S8_S8_S8_S8_S8_S8_EEEEZNS1_11reduce_implILb1ES3_NS6_12zip_iteratorINS7_INS6_11hip_rocprim26transform_input_iterator_tIbNSD_35transform_pair_of_input_iterators_tIbNS6_6detail15normal_iteratorINS6_10device_ptrIKsEEEESL_NS6_8equal_toIsEEEENSG_9not_fun_tINSD_8identityEEEEENSD_19counting_iterator_tIlEES8_S8_S8_S8_S8_S8_S8_S8_EEEEPS9_S9_NSD_9__find_if7functorIS9_EEEE10hipError_tPvRmT1_T2_T3_mT4_P12ihipStream_tbEUlT_E0_NS1_11comp_targetILNS1_3genE8ELNS1_11target_archE1030ELNS1_3gpuE2ELNS1_3repE0EEENS1_30default_config_static_selectorELNS0_4arch9wavefront6targetE0EEEvS14_: ; @_ZN7rocprim17ROCPRIM_400000_NS6detail17trampoline_kernelINS0_14default_configENS1_22reduce_config_selectorIN6thrust23THRUST_200600_302600_NS5tupleIblNS6_9null_typeES8_S8_S8_S8_S8_S8_S8_EEEEZNS1_11reduce_implILb1ES3_NS6_12zip_iteratorINS7_INS6_11hip_rocprim26transform_input_iterator_tIbNSD_35transform_pair_of_input_iterators_tIbNS6_6detail15normal_iteratorINS6_10device_ptrIKsEEEESL_NS6_8equal_toIsEEEENSG_9not_fun_tINSD_8identityEEEEENSD_19counting_iterator_tIlEES8_S8_S8_S8_S8_S8_S8_S8_EEEEPS9_S9_NSD_9__find_if7functorIS9_EEEE10hipError_tPvRmT1_T2_T3_mT4_P12ihipStream_tbEUlT_E0_NS1_11comp_targetILNS1_3genE8ELNS1_11target_archE1030ELNS1_3gpuE2ELNS1_3repE0EEENS1_30default_config_static_selectorELNS0_4arch9wavefront6targetE0EEEvS14_
; %bb.0:
	s_clause 0x2
	s_load_dwordx8 s[8:15], s[4:5], 0x20
	s_load_dwordx4 s[0:3], s[4:5], 0x0
	s_load_dwordx4 s[16:19], s[4:5], 0x40
	s_mov_b32 s23, 0
	v_lshlrev_b32_e32 v9, 1, v0
	v_mbcnt_lo_u32_b32 v7, -1, 0
	s_mov_b32 s7, s23
	s_waitcnt lgkmcnt(0)
	s_lshl_b64 s[20:21], s[10:11], 1
	s_add_u32 s26, s0, s20
	s_addc_u32 s27, s1, s21
	s_add_u32 s20, s2, s20
	s_addc_u32 s21, s3, s21
	s_lshl_b32 s22, s6, 9
	s_lshr_b64 s[24:25], s[12:13], 9
	s_lshl_b64 s[0:1], s[22:23], 1
	s_add_u32 s2, s26, s0
	s_addc_u32 s3, s27, s1
	s_add_u32 s20, s20, s0
	s_addc_u32 s21, s21, s1
	;; [unrolled: 2-line block ×4, first 2 shown]
	s_cmp_lg_u64 s[24:25], s[6:7]
	s_cbranch_scc0 .LBB306_18
; %bb.1:
	s_clause 0x3
	global_load_ushort v1, v9, s[2:3]
	global_load_ushort v2, v9, s[20:21]
	global_load_ushort v3, v9, s[20:21] offset:512
	global_load_ushort v4, v9, s[2:3] offset:512
	v_add_co_u32 v5, s0, s10, v0
	v_add_co_ci_u32_e64 v6, null, s11, 0, s0
	v_add_co_u32 v8, vcc_lo, 0x100, v5
	v_add_co_ci_u32_e64 v10, null, 0, v6, vcc_lo
	s_waitcnt vmcnt(2)
	v_cmp_ne_u16_e32 vcc_lo, v1, v2
	s_waitcnt vmcnt(0)
	v_cmp_ne_u16_e64 s0, v4, v3
	v_cndmask_b32_e32 v2, v10, v6, vcc_lo
	v_cndmask_b32_e32 v1, v8, v5, vcc_lo
	s_or_b32 s0, vcc_lo, s0
	v_cndmask_b32_e64 v5, 0, 1, s0
	v_mov_b32_dpp v4, v2 quad_perm:[1,0,3,2] row_mask:0xf bank_mask:0xf
	v_mov_b32_dpp v3, v1 quad_perm:[1,0,3,2] row_mask:0xf bank_mask:0xf
	;; [unrolled: 1-line block ×3, first 2 shown]
	v_cmp_lt_i64_e32 vcc_lo, v[1:2], v[3:4]
	v_and_b32_e32 v6, 1, v6
	s_and_b32 vcc_lo, s0, vcc_lo
	v_cndmask_b32_e32 v3, v3, v1, vcc_lo
	v_cndmask_b32_e32 v4, v4, v2, vcc_lo
	v_cmp_eq_u32_e32 vcc_lo, 1, v6
	v_cndmask_b32_e32 v2, v2, v4, vcc_lo
	v_cndmask_b32_e32 v1, v1, v3, vcc_lo
	v_cndmask_b32_e64 v5, v5, 1, vcc_lo
	v_mov_b32_dpp v4, v2 quad_perm:[2,3,0,1] row_mask:0xf bank_mask:0xf
	v_mov_b32_dpp v3, v1 quad_perm:[2,3,0,1] row_mask:0xf bank_mask:0xf
	v_and_b32_e32 v8, 1, v5
	v_mov_b32_dpp v6, v5 quad_perm:[2,3,0,1] row_mask:0xf bank_mask:0xf
	v_cmp_lt_i64_e32 vcc_lo, v[1:2], v[3:4]
	v_cmp_eq_u32_e64 s0, 1, v8
	v_and_b32_e32 v6, 1, v6
	s_and_b32 vcc_lo, s0, vcc_lo
	v_cmp_eq_u32_e64 s1, 1, v6
	v_cndmask_b32_e32 v3, v3, v1, vcc_lo
	v_cndmask_b32_e32 v4, v4, v2, vcc_lo
	v_cndmask_b32_e64 v5, v5, 1, s1
	v_cndmask_b32_e64 v1, v1, v3, s1
	v_cndmask_b32_e64 v2, v2, v4, s1
	v_and_b32_e32 v8, 1, v5
	v_mov_b32_dpp v3, v1 row_ror:4 row_mask:0xf bank_mask:0xf
	v_mov_b32_dpp v4, v2 row_ror:4 row_mask:0xf bank_mask:0xf
	;; [unrolled: 1-line block ×3, first 2 shown]
	v_cmp_eq_u32_e64 s0, 1, v8
	v_cmp_lt_i64_e32 vcc_lo, v[1:2], v[3:4]
	v_and_b32_e32 v6, 1, v6
	s_and_b32 vcc_lo, s0, vcc_lo
	v_cmp_eq_u32_e64 s1, 1, v6
	v_cndmask_b32_e32 v3, v3, v1, vcc_lo
	v_cndmask_b32_e32 v4, v4, v2, vcc_lo
	v_cndmask_b32_e64 v5, v5, 1, s1
	v_cndmask_b32_e64 v1, v1, v3, s1
	;; [unrolled: 1-line block ×3, first 2 shown]
	v_and_b32_e32 v8, 1, v5
	v_mov_b32_dpp v3, v1 row_ror:8 row_mask:0xf bank_mask:0xf
	v_mov_b32_dpp v4, v2 row_ror:8 row_mask:0xf bank_mask:0xf
	;; [unrolled: 1-line block ×3, first 2 shown]
	v_cmp_eq_u32_e64 s0, 1, v8
	v_cmp_lt_i64_e32 vcc_lo, v[1:2], v[3:4]
	v_and_b32_e32 v6, 1, v6
	s_and_b32 vcc_lo, s0, vcc_lo
	v_cmp_eq_u32_e64 s1, 1, v6
	v_cndmask_b32_e32 v3, v3, v1, vcc_lo
	v_cndmask_b32_e32 v4, v4, v2, vcc_lo
	v_cndmask_b32_e64 v5, v5, 1, s1
	v_cndmask_b32_e64 v1, v1, v3, s1
	;; [unrolled: 1-line block ×3, first 2 shown]
	ds_swizzle_b32 v6, v5 offset:swizzle(BROADCAST,32,15)
	ds_swizzle_b32 v3, v1 offset:swizzle(BROADCAST,32,15)
	;; [unrolled: 1-line block ×3, first 2 shown]
	v_and_b32_e32 v8, 1, v5
	v_cmp_eq_u32_e64 s0, 1, v8
	s_waitcnt lgkmcnt(2)
	v_and_b32_e32 v6, 1, v6
	s_waitcnt lgkmcnt(0)
	v_cmp_lt_i64_e32 vcc_lo, v[1:2], v[3:4]
	v_cmp_eq_u32_e64 s1, 1, v6
	v_mov_b32_e32 v6, 0
	s_and_b32 vcc_lo, s0, vcc_lo
	s_mov_b32 s0, exec_lo
	v_cndmask_b32_e32 v3, v3, v1, vcc_lo
	v_cndmask_b32_e32 v4, v4, v2, vcc_lo
	v_cndmask_b32_e64 v5, v5, 1, s1
	v_cndmask_b32_e64 v1, v1, v3, s1
	;; [unrolled: 1-line block ×3, first 2 shown]
	ds_bpermute_b32 v8, v6, v5 offset:124
	ds_bpermute_b32 v1, v6, v1 offset:124
	;; [unrolled: 1-line block ×3, first 2 shown]
	v_cmpx_eq_u32_e32 0, v7
	s_cbranch_execz .LBB306_3
; %bb.2:
	v_lshrrev_b32_e32 v3, 1, v0
	v_and_b32_e32 v3, 0x70, v3
	s_waitcnt lgkmcnt(2)
	ds_write_b8 v3, v8
	s_waitcnt lgkmcnt(1)
	ds_write_b64 v3, v[1:2] offset:8
.LBB306_3:
	s_or_b32 exec_lo, exec_lo, s0
	s_mov_b32 s0, exec_lo
	s_waitcnt lgkmcnt(0)
	s_barrier
	buffer_gl0_inv
	v_cmpx_gt_u32_e32 32, v0
	s_cbranch_execz .LBB306_17
; %bb.4:
	v_and_b32_e32 v8, 7, v7
	v_lshlrev_b32_e32 v1, 4, v8
	v_cmp_ne_u32_e32 vcc_lo, 7, v8
	ds_read_u8 v11, v1
	ds_read_b64 v[3:4], v1 offset:8
	v_add_co_ci_u32_e64 v2, null, 0, v7, vcc_lo
	v_lshlrev_b32_e32 v2, 2, v2
	s_waitcnt lgkmcnt(1)
	v_and_b32_e32 v1, 0xff, v11
	s_waitcnt lgkmcnt(0)
	ds_bpermute_b32 v5, v2, v3
	ds_bpermute_b32 v6, v2, v4
	;; [unrolled: 1-line block ×3, first 2 shown]
	s_waitcnt lgkmcnt(0)
	v_and_b32_e32 v1, v11, v12
	v_and_b32_e32 v1, 1, v1
	v_cmp_eq_u32_e32 vcc_lo, 1, v1
                                        ; implicit-def: $vgpr1_vgpr2
	s_and_saveexec_b32 s1, vcc_lo
	s_xor_b32 s1, exec_lo, s1
; %bb.5:
	v_cmp_lt_i64_e32 vcc_lo, v[5:6], v[3:4]
                                        ; implicit-def: $vgpr11
                                        ; implicit-def: $vgpr12
	v_cndmask_b32_e32 v2, v4, v6, vcc_lo
	v_cndmask_b32_e32 v1, v3, v5, vcc_lo
                                        ; implicit-def: $vgpr5_vgpr6
                                        ; implicit-def: $vgpr3_vgpr4
; %bb.6:
	s_or_saveexec_b32 s1, s1
	v_mov_b32_e32 v10, 1
	s_xor_b32 exec_lo, exec_lo, s1
; %bb.7:
	v_and_b32_e32 v1, 1, v11
	v_and_b32_e32 v10, 0xff, v12
	v_cmp_eq_u32_e32 vcc_lo, 1, v1
	v_cndmask_b32_e32 v2, v6, v4, vcc_lo
	v_cndmask_b32_e32 v1, v5, v3, vcc_lo
	v_cndmask_b32_e64 v10, v10, 1, vcc_lo
; %bb.8:
	s_or_b32 exec_lo, exec_lo, s1
	v_cmp_gt_u32_e32 vcc_lo, 6, v8
	v_cndmask_b32_e64 v3, 0, 2, vcc_lo
	v_add_lshl_u32 v3, v3, v7, 2
	ds_bpermute_b32 v8, v3, v10
	ds_bpermute_b32 v5, v3, v1
	;; [unrolled: 1-line block ×3, first 2 shown]
	s_waitcnt lgkmcnt(2)
	v_and_b32_e32 v3, v10, v8
	v_and_b32_e32 v3, 1, v3
	v_cmp_eq_u32_e32 vcc_lo, 1, v3
                                        ; implicit-def: $vgpr3_vgpr4
	s_and_saveexec_b32 s1, vcc_lo
	s_xor_b32 s1, exec_lo, s1
	s_cbranch_execz .LBB306_10
; %bb.9:
	s_waitcnt lgkmcnt(0)
	v_cmp_lt_i64_e32 vcc_lo, v[5:6], v[1:2]
                                        ; implicit-def: $vgpr10
                                        ; implicit-def: $vgpr8
	v_cndmask_b32_e32 v4, v2, v6, vcc_lo
	v_cndmask_b32_e32 v3, v1, v5, vcc_lo
                                        ; implicit-def: $vgpr5_vgpr6
                                        ; implicit-def: $vgpr1_vgpr2
.LBB306_10:
	s_or_saveexec_b32 s1, s1
	v_lshlrev_b32_e32 v12, 2, v7
	v_mov_b32_e32 v11, 1
	s_xor_b32 exec_lo, exec_lo, s1
	s_cbranch_execz .LBB306_12
; %bb.11:
	v_and_b32_e32 v3, 1, v10
	v_and_b32_e32 v8, 0xff, v8
	v_cmp_eq_u32_e32 vcc_lo, 1, v3
	s_waitcnt lgkmcnt(0)
	v_cndmask_b32_e32 v4, v6, v2, vcc_lo
	v_cndmask_b32_e32 v3, v5, v1, vcc_lo
	v_cndmask_b32_e64 v11, v8, 1, vcc_lo
.LBB306_12:
	s_or_b32 exec_lo, exec_lo, s1
	v_or_b32_e32 v1, 16, v12
	ds_bpermute_b32 v10, v1, v11
	s_waitcnt lgkmcnt(2)
	ds_bpermute_b32 v5, v1, v3
	s_waitcnt lgkmcnt(2)
	;; [unrolled: 2-line block ×3, first 2 shown]
	v_and_b32_e32 v1, v11, v10
	v_and_b32_e32 v1, 1, v1
	v_cmp_eq_u32_e32 vcc_lo, 1, v1
                                        ; implicit-def: $vgpr1_vgpr2
	s_and_saveexec_b32 s1, vcc_lo
	s_xor_b32 s1, exec_lo, s1
	s_cbranch_execz .LBB306_14
; %bb.13:
	s_waitcnt lgkmcnt(0)
	v_cmp_lt_i64_e32 vcc_lo, v[5:6], v[3:4]
                                        ; implicit-def: $vgpr11
                                        ; implicit-def: $vgpr10
	v_cndmask_b32_e32 v2, v4, v6, vcc_lo
	v_cndmask_b32_e32 v1, v3, v5, vcc_lo
                                        ; implicit-def: $vgpr5_vgpr6
                                        ; implicit-def: $vgpr3_vgpr4
.LBB306_14:
	s_or_saveexec_b32 s1, s1
	v_mov_b32_e32 v8, 1
	s_xor_b32 exec_lo, exec_lo, s1
	s_cbranch_execz .LBB306_16
; %bb.15:
	v_and_b32_e32 v1, 1, v11
	v_cmp_eq_u32_e32 vcc_lo, 1, v1
	s_waitcnt lgkmcnt(0)
	v_cndmask_b32_e32 v2, v6, v4, vcc_lo
	v_cndmask_b32_e32 v1, v5, v3, vcc_lo
	v_cndmask_b32_e64 v8, v10, 1, vcc_lo
.LBB306_16:
	s_or_b32 exec_lo, exec_lo, s1
.LBB306_17:
	s_or_b32 exec_lo, exec_lo, s0
	s_load_dwordx2 s[8:9], s[4:5], 0x58
	s_branch .LBB306_76
.LBB306_18:
                                        ; implicit-def: $vgpr1_vgpr2
                                        ; implicit-def: $vgpr8
	s_load_dwordx2 s[8:9], s[4:5], 0x58
	s_cbranch_execz .LBB306_76
; %bb.19:
	v_mov_b32_e32 v3, 0
	v_mov_b32_e32 v1, 0
	s_waitcnt lgkmcnt(0)
	v_mov_b32_e32 v5, 0
	v_mov_b32_e32 v4, 0
	;; [unrolled: 1-line block ×4, first 2 shown]
	s_sub_i32 s22, s12, s22
	s_mov_b32 s0, exec_lo
	v_cmpx_gt_u32_e64 s22, v0
	s_cbranch_execz .LBB306_21
; %bb.20:
	s_clause 0x1
	global_load_ushort v6, v9, s[2:3]
	global_load_ushort v8, v9, s[20:21]
	v_add_co_u32 v1, s1, s10, v0
	v_add_co_ci_u32_e64 v2, null, s11, 0, s1
	s_waitcnt vmcnt(0)
	v_cmp_ne_u16_e32 vcc_lo, v6, v8
	v_cndmask_b32_e64 v6, 0, 1, vcc_lo
.LBB306_21:
	s_or_b32 exec_lo, exec_lo, s0
	v_or_b32_e32 v8, 0x100, v0
	v_cmp_gt_u32_e32 vcc_lo, s22, v8
	s_and_saveexec_b32 s1, vcc_lo
	s_cbranch_execz .LBB306_23
; %bb.22:
	s_clause 0x1
	global_load_ushort v5, v9, s[2:3] offset:512
	global_load_ushort v9, v9, s[20:21] offset:512
	v_add_co_u32 v3, s0, s10, v8
	v_add_co_ci_u32_e64 v4, null, s11, 0, s0
	s_waitcnt vmcnt(0)
	v_cmp_ne_u16_e64 s0, v5, v9
	v_cndmask_b32_e64 v5, 0, 1, s0
.LBB306_23:
	s_or_b32 exec_lo, exec_lo, s1
	v_and_b32_e32 v8, 1, v5
	v_cmp_lt_i64_e64 s0, v[3:4], v[1:2]
	v_and_b32_e32 v9, 1, v6
	v_and_b32_e32 v5, 0xffff, v5
	;; [unrolled: 1-line block ×3, first 2 shown]
	v_cmp_eq_u32_e64 s1, 1, v8
	v_cmp_eq_u32_e64 s2, 1, v9
	s_and_b32 s0, s1, s0
	s_mov_b32 s1, exec_lo
	v_cndmask_b32_e64 v8, v2, v4, s0
	v_cndmask_b32_e64 v9, v1, v3, s0
	v_cmp_ne_u32_e64 s0, 31, v7
	v_cndmask_b32_e64 v5, v5, 1, s2
	v_cndmask_b32_e64 v4, v4, v8, s2
	;; [unrolled: 1-line block ×3, first 2 shown]
	v_add_co_ci_u32_e64 v10, null, 0, v7, s0
	v_cndmask_b32_e32 v8, v6, v5, vcc_lo
	v_cndmask_b32_e32 v2, v2, v4, vcc_lo
	;; [unrolled: 1-line block ×3, first 2 shown]
	v_lshlrev_b32_e32 v9, 2, v10
	v_and_b32_e32 v5, 0xe0, v0
	s_min_u32 s0, s22, 0x100
	ds_bpermute_b32 v6, v9, v8
	ds_bpermute_b32 v3, v9, v1
	;; [unrolled: 1-line block ×3, first 2 shown]
	v_sub_nc_u32_e64 v5, s0, v5 clamp
	v_add_nc_u32_e32 v9, 1, v7
	v_cmpx_lt_u32_e64 v9, v5
	s_cbranch_execz .LBB306_29
; %bb.24:
	s_waitcnt lgkmcnt(2)
	v_and_b32_e32 v9, v8, v6
	s_mov_b32 s2, exec_lo
	v_cmpx_ne_u32_e32 0, v9
	s_xor_b32 s2, exec_lo, s2
	s_cbranch_execz .LBB306_26
; %bb.25:
	s_waitcnt lgkmcnt(0)
	v_cmp_lt_i64_e32 vcc_lo, v[3:4], v[1:2]
                                        ; implicit-def: $vgpr8
                                        ; implicit-def: $vgpr6
	v_cndmask_b32_e32 v2, v2, v4, vcc_lo
	v_cndmask_b32_e32 v1, v1, v3, vcc_lo
                                        ; implicit-def: $vgpr3_vgpr4
.LBB306_26:
	s_or_saveexec_b32 s2, s2
	v_mov_b32_e32 v9, 1
	s_xor_b32 exec_lo, exec_lo, s2
	s_cbranch_execz .LBB306_28
; %bb.27:
	v_and_b32_e32 v8, 1, v8
	v_and_b32_e32 v6, 0xff, v6
	v_cmp_eq_u32_e32 vcc_lo, 1, v8
	s_waitcnt lgkmcnt(0)
	v_cndmask_b32_e32 v2, v4, v2, vcc_lo
	v_cndmask_b32_e32 v1, v3, v1, vcc_lo
	v_cndmask_b32_e64 v9, v6, 1, vcc_lo
.LBB306_28:
	s_or_b32 exec_lo, exec_lo, s2
	v_mov_b32_e32 v8, v9
.LBB306_29:
	s_or_b32 exec_lo, exec_lo, s1
	v_cmp_gt_u32_e32 vcc_lo, 30, v7
	v_add_nc_u32_e32 v9, 2, v7
	s_mov_b32 s1, exec_lo
	s_waitcnt lgkmcnt(1)
	v_cndmask_b32_e64 v3, 0, 2, vcc_lo
	s_waitcnt lgkmcnt(0)
	v_add_lshl_u32 v4, v3, v7, 2
	ds_bpermute_b32 v6, v4, v8
	ds_bpermute_b32 v3, v4, v1
	ds_bpermute_b32 v4, v4, v2
	v_cmpx_lt_u32_e64 v9, v5
	s_cbranch_execz .LBB306_35
; %bb.30:
	s_waitcnt lgkmcnt(2)
	v_and_b32_e32 v9, v8, v6
	s_mov_b32 s2, exec_lo
	v_and_b32_e32 v9, 1, v9
	v_cmpx_eq_u32_e32 1, v9
	s_xor_b32 s2, exec_lo, s2
	s_cbranch_execz .LBB306_32
; %bb.31:
	s_waitcnt lgkmcnt(0)
	v_cmp_lt_i64_e32 vcc_lo, v[3:4], v[1:2]
                                        ; implicit-def: $vgpr8
                                        ; implicit-def: $vgpr6
	v_cndmask_b32_e32 v2, v2, v4, vcc_lo
	v_cndmask_b32_e32 v1, v1, v3, vcc_lo
                                        ; implicit-def: $vgpr3_vgpr4
.LBB306_32:
	s_or_saveexec_b32 s2, s2
	v_mov_b32_e32 v9, 1
	s_xor_b32 exec_lo, exec_lo, s2
	s_cbranch_execz .LBB306_34
; %bb.33:
	v_and_b32_e32 v8, 1, v8
	v_and_b32_e32 v6, 0xff, v6
	v_cmp_eq_u32_e32 vcc_lo, 1, v8
	s_waitcnt lgkmcnt(0)
	v_cndmask_b32_e32 v2, v4, v2, vcc_lo
	v_cndmask_b32_e32 v1, v3, v1, vcc_lo
	v_cndmask_b32_e64 v9, v6, 1, vcc_lo
.LBB306_34:
	s_or_b32 exec_lo, exec_lo, s2
	v_mov_b32_e32 v8, v9
.LBB306_35:
	s_or_b32 exec_lo, exec_lo, s1
	v_cmp_gt_u32_e32 vcc_lo, 28, v7
	v_add_nc_u32_e32 v9, 4, v7
	s_mov_b32 s1, exec_lo
	s_waitcnt lgkmcnt(1)
	v_cndmask_b32_e64 v3, 0, 4, vcc_lo
	s_waitcnt lgkmcnt(0)
	v_add_lshl_u32 v4, v3, v7, 2
	ds_bpermute_b32 v6, v4, v8
	ds_bpermute_b32 v3, v4, v1
	ds_bpermute_b32 v4, v4, v2
	v_cmpx_lt_u32_e64 v9, v5
	s_cbranch_execz .LBB306_41
; %bb.36:
	s_waitcnt lgkmcnt(2)
	v_and_b32_e32 v9, v8, v6
	s_mov_b32 s2, exec_lo
	v_and_b32_e32 v9, 1, v9
	v_cmpx_eq_u32_e32 1, v9
	s_xor_b32 s2, exec_lo, s2
	s_cbranch_execz .LBB306_38
; %bb.37:
	s_waitcnt lgkmcnt(0)
	v_cmp_lt_i64_e32 vcc_lo, v[3:4], v[1:2]
                                        ; implicit-def: $vgpr8
                                        ; implicit-def: $vgpr6
	v_cndmask_b32_e32 v2, v2, v4, vcc_lo
	v_cndmask_b32_e32 v1, v1, v3, vcc_lo
                                        ; implicit-def: $vgpr3_vgpr4
.LBB306_38:
	s_or_saveexec_b32 s2, s2
	v_mov_b32_e32 v9, 1
	s_xor_b32 exec_lo, exec_lo, s2
	s_cbranch_execz .LBB306_40
; %bb.39:
	v_and_b32_e32 v8, 1, v8
	v_and_b32_e32 v6, 0xff, v6
	v_cmp_eq_u32_e32 vcc_lo, 1, v8
	s_waitcnt lgkmcnt(0)
	v_cndmask_b32_e32 v2, v4, v2, vcc_lo
	v_cndmask_b32_e32 v1, v3, v1, vcc_lo
	v_cndmask_b32_e64 v9, v6, 1, vcc_lo
.LBB306_40:
	s_or_b32 exec_lo, exec_lo, s2
	v_mov_b32_e32 v8, v9
.LBB306_41:
	;; [unrolled: 46-line block ×3, first 2 shown]
	s_or_b32 exec_lo, exec_lo, s1
	s_waitcnt lgkmcnt(2)
	v_lshlrev_b32_e32 v6, 2, v7
	v_add_nc_u32_e32 v10, 16, v7
	s_waitcnt lgkmcnt(0)
	v_or_b32_e32 v4, 64, v6
	v_cmp_lt_u32_e32 vcc_lo, v10, v5
	v_mov_b32_e32 v5, v8
	ds_bpermute_b32 v9, v4, v8
	ds_bpermute_b32 v3, v4, v1
	;; [unrolled: 1-line block ×3, first 2 shown]
	s_and_saveexec_b32 s1, vcc_lo
	s_cbranch_execz .LBB306_53
; %bb.48:
	s_waitcnt lgkmcnt(2)
	v_and_b32_e32 v5, v8, v9
	s_mov_b32 s2, exec_lo
	v_and_b32_e32 v5, 1, v5
	v_cmpx_eq_u32_e32 1, v5
	s_xor_b32 s2, exec_lo, s2
	s_cbranch_execz .LBB306_50
; %bb.49:
	s_waitcnt lgkmcnt(0)
	v_cmp_lt_i64_e32 vcc_lo, v[3:4], v[1:2]
                                        ; implicit-def: $vgpr8
                                        ; implicit-def: $vgpr9
	v_cndmask_b32_e32 v2, v2, v4, vcc_lo
	v_cndmask_b32_e32 v1, v1, v3, vcc_lo
                                        ; implicit-def: $vgpr3_vgpr4
.LBB306_50:
	s_or_saveexec_b32 s2, s2
	v_mov_b32_e32 v5, 1
	s_xor_b32 exec_lo, exec_lo, s2
	s_cbranch_execz .LBB306_52
; %bb.51:
	v_and_b32_e32 v5, 1, v8
	v_cmp_eq_u32_e32 vcc_lo, 1, v5
	v_cndmask_b32_e64 v5, v9, 1, vcc_lo
	s_waitcnt lgkmcnt(0)
	v_cndmask_b32_e32 v2, v4, v2, vcc_lo
	v_cndmask_b32_e32 v1, v3, v1, vcc_lo
.LBB306_52:
	s_or_b32 exec_lo, exec_lo, s2
	v_and_b32_e32 v8, 0xff, v5
.LBB306_53:
	s_or_b32 exec_lo, exec_lo, s1
	s_mov_b32 s1, exec_lo
	v_cmpx_eq_u32_e32 0, v7
	s_cbranch_execz .LBB306_55
; %bb.54:
	s_waitcnt lgkmcnt(1)
	v_lshrrev_b32_e32 v3, 1, v0
	v_and_b32_e32 v3, 0x70, v3
	ds_write_b8 v3, v5 offset:128
	ds_write_b64 v3, v[1:2] offset:136
.LBB306_55:
	s_or_b32 exec_lo, exec_lo, s1
	s_mov_b32 s1, exec_lo
	s_waitcnt lgkmcnt(0)
	s_barrier
	buffer_gl0_inv
	v_cmpx_gt_u32_e32 8, v0
	s_cbranch_execz .LBB306_75
; %bb.56:
	v_lshlrev_b32_e32 v1, 4, v7
	v_and_b32_e32 v5, 7, v7
	s_add_i32 s0, s0, 31
	s_mov_b32 s2, exec_lo
	s_lshr_b32 s0, s0, 5
	ds_read_u8 v9, v1 offset:128
	ds_read_b64 v[1:2], v1 offset:136
	v_cmp_ne_u32_e32 vcc_lo, 7, v5
	v_add_nc_u32_e32 v11, 1, v5
	v_add_co_ci_u32_e64 v3, null, 0, v7, vcc_lo
	v_lshlrev_b32_e32 v4, 2, v3
	s_waitcnt lgkmcnt(1)
	v_and_b32_e32 v8, 0xff, v9
	s_waitcnt lgkmcnt(0)
	ds_bpermute_b32 v3, v4, v1
	ds_bpermute_b32 v10, v4, v8
	;; [unrolled: 1-line block ×3, first 2 shown]
	v_cmpx_gt_u32_e64 s0, v11
	s_cbranch_execz .LBB306_62
; %bb.57:
	s_waitcnt lgkmcnt(1)
	v_and_b32_e32 v8, v8, v10
	s_mov_b32 s3, exec_lo
	v_and_b32_e32 v8, 1, v8
	v_cmpx_eq_u32_e32 1, v8
	s_xor_b32 s3, exec_lo, s3
	s_cbranch_execz .LBB306_59
; %bb.58:
	s_waitcnt lgkmcnt(0)
	v_cmp_lt_i64_e32 vcc_lo, v[3:4], v[1:2]
                                        ; implicit-def: $vgpr9
                                        ; implicit-def: $vgpr10
	v_cndmask_b32_e32 v2, v2, v4, vcc_lo
	v_cndmask_b32_e32 v1, v1, v3, vcc_lo
                                        ; implicit-def: $vgpr3_vgpr4
.LBB306_59:
	s_or_saveexec_b32 s3, s3
	v_mov_b32_e32 v8, 1
	s_xor_b32 exec_lo, exec_lo, s3
	s_cbranch_execz .LBB306_61
; %bb.60:
	v_and_b32_e32 v8, 1, v9
	v_cmp_eq_u32_e32 vcc_lo, 1, v8
	v_and_b32_e32 v8, 0xff, v10
	s_waitcnt lgkmcnt(0)
	v_cndmask_b32_e32 v2, v4, v2, vcc_lo
	v_cndmask_b32_e32 v1, v3, v1, vcc_lo
	v_cndmask_b32_e64 v8, v8, 1, vcc_lo
.LBB306_61:
	s_or_b32 exec_lo, exec_lo, s3
.LBB306_62:
	s_or_b32 exec_lo, exec_lo, s2
	v_cmp_gt_u32_e32 vcc_lo, 6, v5
	v_add_nc_u32_e32 v9, 2, v5
	s_mov_b32 s2, exec_lo
	s_waitcnt lgkmcnt(2)
	v_cndmask_b32_e64 v3, 0, 2, vcc_lo
	s_waitcnt lgkmcnt(0)
	v_add_lshl_u32 v4, v3, v7, 2
	ds_bpermute_b32 v7, v4, v8
	ds_bpermute_b32 v3, v4, v1
	;; [unrolled: 1-line block ×3, first 2 shown]
	v_cmpx_gt_u32_e64 s0, v9
	s_cbranch_execz .LBB306_68
; %bb.63:
	s_waitcnt lgkmcnt(2)
	v_and_b32_e32 v9, v8, v7
	s_mov_b32 s3, exec_lo
	v_and_b32_e32 v9, 1, v9
	v_cmpx_eq_u32_e32 1, v9
	s_xor_b32 s3, exec_lo, s3
	s_cbranch_execz .LBB306_65
; %bb.64:
	s_waitcnt lgkmcnt(0)
	v_cmp_lt_i64_e32 vcc_lo, v[3:4], v[1:2]
                                        ; implicit-def: $vgpr8
                                        ; implicit-def: $vgpr7
	v_cndmask_b32_e32 v2, v2, v4, vcc_lo
	v_cndmask_b32_e32 v1, v1, v3, vcc_lo
                                        ; implicit-def: $vgpr3_vgpr4
.LBB306_65:
	s_or_saveexec_b32 s3, s3
	v_mov_b32_e32 v9, 1
	s_xor_b32 exec_lo, exec_lo, s3
	s_cbranch_execz .LBB306_67
; %bb.66:
	v_and_b32_e32 v8, 1, v8
	v_and_b32_e32 v7, 0xff, v7
	v_cmp_eq_u32_e32 vcc_lo, 1, v8
	s_waitcnt lgkmcnt(0)
	v_cndmask_b32_e32 v2, v4, v2, vcc_lo
	v_cndmask_b32_e32 v1, v3, v1, vcc_lo
	v_cndmask_b32_e64 v9, v7, 1, vcc_lo
.LBB306_67:
	s_or_b32 exec_lo, exec_lo, s3
	v_mov_b32_e32 v8, v9
.LBB306_68:
	s_or_b32 exec_lo, exec_lo, s2
	s_waitcnt lgkmcnt(0)
	v_or_b32_e32 v4, 16, v6
	v_add_nc_u32_e32 v5, 4, v5
	ds_bpermute_b32 v6, v4, v8
	ds_bpermute_b32 v3, v4, v1
	;; [unrolled: 1-line block ×3, first 2 shown]
	v_cmp_gt_u32_e32 vcc_lo, s0, v5
	s_and_saveexec_b32 s0, vcc_lo
	s_cbranch_execz .LBB306_74
; %bb.69:
	s_waitcnt lgkmcnt(2)
	v_and_b32_e32 v5, v8, v6
	s_mov_b32 s2, exec_lo
	v_and_b32_e32 v5, 1, v5
	v_cmpx_eq_u32_e32 1, v5
	s_xor_b32 s2, exec_lo, s2
	s_cbranch_execz .LBB306_71
; %bb.70:
	s_waitcnt lgkmcnt(0)
	v_cmp_lt_i64_e32 vcc_lo, v[3:4], v[1:2]
                                        ; implicit-def: $vgpr8
                                        ; implicit-def: $vgpr6
	v_cndmask_b32_e32 v2, v2, v4, vcc_lo
	v_cndmask_b32_e32 v1, v1, v3, vcc_lo
                                        ; implicit-def: $vgpr3_vgpr4
.LBB306_71:
	s_or_saveexec_b32 s2, s2
	v_mov_b32_e32 v5, 1
	s_xor_b32 exec_lo, exec_lo, s2
	s_cbranch_execz .LBB306_73
; %bb.72:
	v_and_b32_e32 v5, 1, v8
	v_cmp_eq_u32_e32 vcc_lo, 1, v5
	s_waitcnt lgkmcnt(0)
	v_cndmask_b32_e32 v2, v4, v2, vcc_lo
	v_cndmask_b32_e32 v1, v3, v1, vcc_lo
	v_cndmask_b32_e64 v5, v6, 1, vcc_lo
.LBB306_73:
	s_or_b32 exec_lo, exec_lo, s2
	v_mov_b32_e32 v8, v5
.LBB306_74:
	s_or_b32 exec_lo, exec_lo, s0
.LBB306_75:
	s_or_b32 exec_lo, exec_lo, s1
.LBB306_76:
	s_load_dword s0, s[4:5], 0x50
	s_mov_b32 s1, exec_lo
	v_cmpx_eq_u32_e32 0, v0
	s_cbranch_execz .LBB306_78
; %bb.77:
	s_mul_i32 s1, s18, s17
	s_mul_hi_u32 s2, s18, s16
	s_mul_i32 s3, s19, s16
	s_add_i32 s1, s2, s1
	s_mul_i32 s2, s18, s16
	s_add_i32 s3, s1, s3
	v_mov_b32_e32 v0, 0
	s_lshl_b64 s[2:3], s[2:3], 4
	s_add_u32 s1, s14, s2
	s_addc_u32 s4, s15, s3
	s_cmp_eq_u64 s[12:13], 0
	s_cselect_b32 s5, -1, 0
	s_lshl_b64 s[2:3], s[6:7], 4
	s_waitcnt lgkmcnt(0)
	v_cndmask_b32_e64 v3, v8, s0, s5
	v_cndmask_b32_e64 v2, v2, s9, s5
	;; [unrolled: 1-line block ×3, first 2 shown]
	s_add_u32 s0, s1, s2
	s_addc_u32 s1, s4, s3
	global_store_byte v0, v3, s[0:1]
	global_store_dwordx2 v0, v[1:2], s[0:1] offset:8
.LBB306_78:
	s_endpgm
	.section	.rodata,"a",@progbits
	.p2align	6, 0x0
	.amdhsa_kernel _ZN7rocprim17ROCPRIM_400000_NS6detail17trampoline_kernelINS0_14default_configENS1_22reduce_config_selectorIN6thrust23THRUST_200600_302600_NS5tupleIblNS6_9null_typeES8_S8_S8_S8_S8_S8_S8_EEEEZNS1_11reduce_implILb1ES3_NS6_12zip_iteratorINS7_INS6_11hip_rocprim26transform_input_iterator_tIbNSD_35transform_pair_of_input_iterators_tIbNS6_6detail15normal_iteratorINS6_10device_ptrIKsEEEESL_NS6_8equal_toIsEEEENSG_9not_fun_tINSD_8identityEEEEENSD_19counting_iterator_tIlEES8_S8_S8_S8_S8_S8_S8_S8_EEEEPS9_S9_NSD_9__find_if7functorIS9_EEEE10hipError_tPvRmT1_T2_T3_mT4_P12ihipStream_tbEUlT_E0_NS1_11comp_targetILNS1_3genE8ELNS1_11target_archE1030ELNS1_3gpuE2ELNS1_3repE0EEENS1_30default_config_static_selectorELNS0_4arch9wavefront6targetE0EEEvS14_
		.amdhsa_group_segment_fixed_size 256
		.amdhsa_private_segment_fixed_size 0
		.amdhsa_kernarg_size 104
		.amdhsa_user_sgpr_count 6
		.amdhsa_user_sgpr_private_segment_buffer 1
		.amdhsa_user_sgpr_dispatch_ptr 0
		.amdhsa_user_sgpr_queue_ptr 0
		.amdhsa_user_sgpr_kernarg_segment_ptr 1
		.amdhsa_user_sgpr_dispatch_id 0
		.amdhsa_user_sgpr_flat_scratch_init 0
		.amdhsa_user_sgpr_private_segment_size 0
		.amdhsa_wavefront_size32 1
		.amdhsa_uses_dynamic_stack 0
		.amdhsa_system_sgpr_private_segment_wavefront_offset 0
		.amdhsa_system_sgpr_workgroup_id_x 1
		.amdhsa_system_sgpr_workgroup_id_y 0
		.amdhsa_system_sgpr_workgroup_id_z 0
		.amdhsa_system_sgpr_workgroup_info 0
		.amdhsa_system_vgpr_workitem_id 0
		.amdhsa_next_free_vgpr 13
		.amdhsa_next_free_sgpr 28
		.amdhsa_reserve_vcc 1
		.amdhsa_reserve_flat_scratch 0
		.amdhsa_float_round_mode_32 0
		.amdhsa_float_round_mode_16_64 0
		.amdhsa_float_denorm_mode_32 3
		.amdhsa_float_denorm_mode_16_64 3
		.amdhsa_dx10_clamp 1
		.amdhsa_ieee_mode 1
		.amdhsa_fp16_overflow 0
		.amdhsa_workgroup_processor_mode 1
		.amdhsa_memory_ordered 1
		.amdhsa_forward_progress 1
		.amdhsa_shared_vgpr_count 0
		.amdhsa_exception_fp_ieee_invalid_op 0
		.amdhsa_exception_fp_denorm_src 0
		.amdhsa_exception_fp_ieee_div_zero 0
		.amdhsa_exception_fp_ieee_overflow 0
		.amdhsa_exception_fp_ieee_underflow 0
		.amdhsa_exception_fp_ieee_inexact 0
		.amdhsa_exception_int_div_zero 0
	.end_amdhsa_kernel
	.section	.text._ZN7rocprim17ROCPRIM_400000_NS6detail17trampoline_kernelINS0_14default_configENS1_22reduce_config_selectorIN6thrust23THRUST_200600_302600_NS5tupleIblNS6_9null_typeES8_S8_S8_S8_S8_S8_S8_EEEEZNS1_11reduce_implILb1ES3_NS6_12zip_iteratorINS7_INS6_11hip_rocprim26transform_input_iterator_tIbNSD_35transform_pair_of_input_iterators_tIbNS6_6detail15normal_iteratorINS6_10device_ptrIKsEEEESL_NS6_8equal_toIsEEEENSG_9not_fun_tINSD_8identityEEEEENSD_19counting_iterator_tIlEES8_S8_S8_S8_S8_S8_S8_S8_EEEEPS9_S9_NSD_9__find_if7functorIS9_EEEE10hipError_tPvRmT1_T2_T3_mT4_P12ihipStream_tbEUlT_E0_NS1_11comp_targetILNS1_3genE8ELNS1_11target_archE1030ELNS1_3gpuE2ELNS1_3repE0EEENS1_30default_config_static_selectorELNS0_4arch9wavefront6targetE0EEEvS14_,"axG",@progbits,_ZN7rocprim17ROCPRIM_400000_NS6detail17trampoline_kernelINS0_14default_configENS1_22reduce_config_selectorIN6thrust23THRUST_200600_302600_NS5tupleIblNS6_9null_typeES8_S8_S8_S8_S8_S8_S8_EEEEZNS1_11reduce_implILb1ES3_NS6_12zip_iteratorINS7_INS6_11hip_rocprim26transform_input_iterator_tIbNSD_35transform_pair_of_input_iterators_tIbNS6_6detail15normal_iteratorINS6_10device_ptrIKsEEEESL_NS6_8equal_toIsEEEENSG_9not_fun_tINSD_8identityEEEEENSD_19counting_iterator_tIlEES8_S8_S8_S8_S8_S8_S8_S8_EEEEPS9_S9_NSD_9__find_if7functorIS9_EEEE10hipError_tPvRmT1_T2_T3_mT4_P12ihipStream_tbEUlT_E0_NS1_11comp_targetILNS1_3genE8ELNS1_11target_archE1030ELNS1_3gpuE2ELNS1_3repE0EEENS1_30default_config_static_selectorELNS0_4arch9wavefront6targetE0EEEvS14_,comdat
.Lfunc_end306:
	.size	_ZN7rocprim17ROCPRIM_400000_NS6detail17trampoline_kernelINS0_14default_configENS1_22reduce_config_selectorIN6thrust23THRUST_200600_302600_NS5tupleIblNS6_9null_typeES8_S8_S8_S8_S8_S8_S8_EEEEZNS1_11reduce_implILb1ES3_NS6_12zip_iteratorINS7_INS6_11hip_rocprim26transform_input_iterator_tIbNSD_35transform_pair_of_input_iterators_tIbNS6_6detail15normal_iteratorINS6_10device_ptrIKsEEEESL_NS6_8equal_toIsEEEENSG_9not_fun_tINSD_8identityEEEEENSD_19counting_iterator_tIlEES8_S8_S8_S8_S8_S8_S8_S8_EEEEPS9_S9_NSD_9__find_if7functorIS9_EEEE10hipError_tPvRmT1_T2_T3_mT4_P12ihipStream_tbEUlT_E0_NS1_11comp_targetILNS1_3genE8ELNS1_11target_archE1030ELNS1_3gpuE2ELNS1_3repE0EEENS1_30default_config_static_selectorELNS0_4arch9wavefront6targetE0EEEvS14_, .Lfunc_end306-_ZN7rocprim17ROCPRIM_400000_NS6detail17trampoline_kernelINS0_14default_configENS1_22reduce_config_selectorIN6thrust23THRUST_200600_302600_NS5tupleIblNS6_9null_typeES8_S8_S8_S8_S8_S8_S8_EEEEZNS1_11reduce_implILb1ES3_NS6_12zip_iteratorINS7_INS6_11hip_rocprim26transform_input_iterator_tIbNSD_35transform_pair_of_input_iterators_tIbNS6_6detail15normal_iteratorINS6_10device_ptrIKsEEEESL_NS6_8equal_toIsEEEENSG_9not_fun_tINSD_8identityEEEEENSD_19counting_iterator_tIlEES8_S8_S8_S8_S8_S8_S8_S8_EEEEPS9_S9_NSD_9__find_if7functorIS9_EEEE10hipError_tPvRmT1_T2_T3_mT4_P12ihipStream_tbEUlT_E0_NS1_11comp_targetILNS1_3genE8ELNS1_11target_archE1030ELNS1_3gpuE2ELNS1_3repE0EEENS1_30default_config_static_selectorELNS0_4arch9wavefront6targetE0EEEvS14_
                                        ; -- End function
	.set _ZN7rocprim17ROCPRIM_400000_NS6detail17trampoline_kernelINS0_14default_configENS1_22reduce_config_selectorIN6thrust23THRUST_200600_302600_NS5tupleIblNS6_9null_typeES8_S8_S8_S8_S8_S8_S8_EEEEZNS1_11reduce_implILb1ES3_NS6_12zip_iteratorINS7_INS6_11hip_rocprim26transform_input_iterator_tIbNSD_35transform_pair_of_input_iterators_tIbNS6_6detail15normal_iteratorINS6_10device_ptrIKsEEEESL_NS6_8equal_toIsEEEENSG_9not_fun_tINSD_8identityEEEEENSD_19counting_iterator_tIlEES8_S8_S8_S8_S8_S8_S8_S8_EEEEPS9_S9_NSD_9__find_if7functorIS9_EEEE10hipError_tPvRmT1_T2_T3_mT4_P12ihipStream_tbEUlT_E0_NS1_11comp_targetILNS1_3genE8ELNS1_11target_archE1030ELNS1_3gpuE2ELNS1_3repE0EEENS1_30default_config_static_selectorELNS0_4arch9wavefront6targetE0EEEvS14_.num_vgpr, 13
	.set _ZN7rocprim17ROCPRIM_400000_NS6detail17trampoline_kernelINS0_14default_configENS1_22reduce_config_selectorIN6thrust23THRUST_200600_302600_NS5tupleIblNS6_9null_typeES8_S8_S8_S8_S8_S8_S8_EEEEZNS1_11reduce_implILb1ES3_NS6_12zip_iteratorINS7_INS6_11hip_rocprim26transform_input_iterator_tIbNSD_35transform_pair_of_input_iterators_tIbNS6_6detail15normal_iteratorINS6_10device_ptrIKsEEEESL_NS6_8equal_toIsEEEENSG_9not_fun_tINSD_8identityEEEEENSD_19counting_iterator_tIlEES8_S8_S8_S8_S8_S8_S8_S8_EEEEPS9_S9_NSD_9__find_if7functorIS9_EEEE10hipError_tPvRmT1_T2_T3_mT4_P12ihipStream_tbEUlT_E0_NS1_11comp_targetILNS1_3genE8ELNS1_11target_archE1030ELNS1_3gpuE2ELNS1_3repE0EEENS1_30default_config_static_selectorELNS0_4arch9wavefront6targetE0EEEvS14_.num_agpr, 0
	.set _ZN7rocprim17ROCPRIM_400000_NS6detail17trampoline_kernelINS0_14default_configENS1_22reduce_config_selectorIN6thrust23THRUST_200600_302600_NS5tupleIblNS6_9null_typeES8_S8_S8_S8_S8_S8_S8_EEEEZNS1_11reduce_implILb1ES3_NS6_12zip_iteratorINS7_INS6_11hip_rocprim26transform_input_iterator_tIbNSD_35transform_pair_of_input_iterators_tIbNS6_6detail15normal_iteratorINS6_10device_ptrIKsEEEESL_NS6_8equal_toIsEEEENSG_9not_fun_tINSD_8identityEEEEENSD_19counting_iterator_tIlEES8_S8_S8_S8_S8_S8_S8_S8_EEEEPS9_S9_NSD_9__find_if7functorIS9_EEEE10hipError_tPvRmT1_T2_T3_mT4_P12ihipStream_tbEUlT_E0_NS1_11comp_targetILNS1_3genE8ELNS1_11target_archE1030ELNS1_3gpuE2ELNS1_3repE0EEENS1_30default_config_static_selectorELNS0_4arch9wavefront6targetE0EEEvS14_.numbered_sgpr, 28
	.set _ZN7rocprim17ROCPRIM_400000_NS6detail17trampoline_kernelINS0_14default_configENS1_22reduce_config_selectorIN6thrust23THRUST_200600_302600_NS5tupleIblNS6_9null_typeES8_S8_S8_S8_S8_S8_S8_EEEEZNS1_11reduce_implILb1ES3_NS6_12zip_iteratorINS7_INS6_11hip_rocprim26transform_input_iterator_tIbNSD_35transform_pair_of_input_iterators_tIbNS6_6detail15normal_iteratorINS6_10device_ptrIKsEEEESL_NS6_8equal_toIsEEEENSG_9not_fun_tINSD_8identityEEEEENSD_19counting_iterator_tIlEES8_S8_S8_S8_S8_S8_S8_S8_EEEEPS9_S9_NSD_9__find_if7functorIS9_EEEE10hipError_tPvRmT1_T2_T3_mT4_P12ihipStream_tbEUlT_E0_NS1_11comp_targetILNS1_3genE8ELNS1_11target_archE1030ELNS1_3gpuE2ELNS1_3repE0EEENS1_30default_config_static_selectorELNS0_4arch9wavefront6targetE0EEEvS14_.num_named_barrier, 0
	.set _ZN7rocprim17ROCPRIM_400000_NS6detail17trampoline_kernelINS0_14default_configENS1_22reduce_config_selectorIN6thrust23THRUST_200600_302600_NS5tupleIblNS6_9null_typeES8_S8_S8_S8_S8_S8_S8_EEEEZNS1_11reduce_implILb1ES3_NS6_12zip_iteratorINS7_INS6_11hip_rocprim26transform_input_iterator_tIbNSD_35transform_pair_of_input_iterators_tIbNS6_6detail15normal_iteratorINS6_10device_ptrIKsEEEESL_NS6_8equal_toIsEEEENSG_9not_fun_tINSD_8identityEEEEENSD_19counting_iterator_tIlEES8_S8_S8_S8_S8_S8_S8_S8_EEEEPS9_S9_NSD_9__find_if7functorIS9_EEEE10hipError_tPvRmT1_T2_T3_mT4_P12ihipStream_tbEUlT_E0_NS1_11comp_targetILNS1_3genE8ELNS1_11target_archE1030ELNS1_3gpuE2ELNS1_3repE0EEENS1_30default_config_static_selectorELNS0_4arch9wavefront6targetE0EEEvS14_.private_seg_size, 0
	.set _ZN7rocprim17ROCPRIM_400000_NS6detail17trampoline_kernelINS0_14default_configENS1_22reduce_config_selectorIN6thrust23THRUST_200600_302600_NS5tupleIblNS6_9null_typeES8_S8_S8_S8_S8_S8_S8_EEEEZNS1_11reduce_implILb1ES3_NS6_12zip_iteratorINS7_INS6_11hip_rocprim26transform_input_iterator_tIbNSD_35transform_pair_of_input_iterators_tIbNS6_6detail15normal_iteratorINS6_10device_ptrIKsEEEESL_NS6_8equal_toIsEEEENSG_9not_fun_tINSD_8identityEEEEENSD_19counting_iterator_tIlEES8_S8_S8_S8_S8_S8_S8_S8_EEEEPS9_S9_NSD_9__find_if7functorIS9_EEEE10hipError_tPvRmT1_T2_T3_mT4_P12ihipStream_tbEUlT_E0_NS1_11comp_targetILNS1_3genE8ELNS1_11target_archE1030ELNS1_3gpuE2ELNS1_3repE0EEENS1_30default_config_static_selectorELNS0_4arch9wavefront6targetE0EEEvS14_.uses_vcc, 1
	.set _ZN7rocprim17ROCPRIM_400000_NS6detail17trampoline_kernelINS0_14default_configENS1_22reduce_config_selectorIN6thrust23THRUST_200600_302600_NS5tupleIblNS6_9null_typeES8_S8_S8_S8_S8_S8_S8_EEEEZNS1_11reduce_implILb1ES3_NS6_12zip_iteratorINS7_INS6_11hip_rocprim26transform_input_iterator_tIbNSD_35transform_pair_of_input_iterators_tIbNS6_6detail15normal_iteratorINS6_10device_ptrIKsEEEESL_NS6_8equal_toIsEEEENSG_9not_fun_tINSD_8identityEEEEENSD_19counting_iterator_tIlEES8_S8_S8_S8_S8_S8_S8_S8_EEEEPS9_S9_NSD_9__find_if7functorIS9_EEEE10hipError_tPvRmT1_T2_T3_mT4_P12ihipStream_tbEUlT_E0_NS1_11comp_targetILNS1_3genE8ELNS1_11target_archE1030ELNS1_3gpuE2ELNS1_3repE0EEENS1_30default_config_static_selectorELNS0_4arch9wavefront6targetE0EEEvS14_.uses_flat_scratch, 0
	.set _ZN7rocprim17ROCPRIM_400000_NS6detail17trampoline_kernelINS0_14default_configENS1_22reduce_config_selectorIN6thrust23THRUST_200600_302600_NS5tupleIblNS6_9null_typeES8_S8_S8_S8_S8_S8_S8_EEEEZNS1_11reduce_implILb1ES3_NS6_12zip_iteratorINS7_INS6_11hip_rocprim26transform_input_iterator_tIbNSD_35transform_pair_of_input_iterators_tIbNS6_6detail15normal_iteratorINS6_10device_ptrIKsEEEESL_NS6_8equal_toIsEEEENSG_9not_fun_tINSD_8identityEEEEENSD_19counting_iterator_tIlEES8_S8_S8_S8_S8_S8_S8_S8_EEEEPS9_S9_NSD_9__find_if7functorIS9_EEEE10hipError_tPvRmT1_T2_T3_mT4_P12ihipStream_tbEUlT_E0_NS1_11comp_targetILNS1_3genE8ELNS1_11target_archE1030ELNS1_3gpuE2ELNS1_3repE0EEENS1_30default_config_static_selectorELNS0_4arch9wavefront6targetE0EEEvS14_.has_dyn_sized_stack, 0
	.set _ZN7rocprim17ROCPRIM_400000_NS6detail17trampoline_kernelINS0_14default_configENS1_22reduce_config_selectorIN6thrust23THRUST_200600_302600_NS5tupleIblNS6_9null_typeES8_S8_S8_S8_S8_S8_S8_EEEEZNS1_11reduce_implILb1ES3_NS6_12zip_iteratorINS7_INS6_11hip_rocprim26transform_input_iterator_tIbNSD_35transform_pair_of_input_iterators_tIbNS6_6detail15normal_iteratorINS6_10device_ptrIKsEEEESL_NS6_8equal_toIsEEEENSG_9not_fun_tINSD_8identityEEEEENSD_19counting_iterator_tIlEES8_S8_S8_S8_S8_S8_S8_S8_EEEEPS9_S9_NSD_9__find_if7functorIS9_EEEE10hipError_tPvRmT1_T2_T3_mT4_P12ihipStream_tbEUlT_E0_NS1_11comp_targetILNS1_3genE8ELNS1_11target_archE1030ELNS1_3gpuE2ELNS1_3repE0EEENS1_30default_config_static_selectorELNS0_4arch9wavefront6targetE0EEEvS14_.has_recursion, 0
	.set _ZN7rocprim17ROCPRIM_400000_NS6detail17trampoline_kernelINS0_14default_configENS1_22reduce_config_selectorIN6thrust23THRUST_200600_302600_NS5tupleIblNS6_9null_typeES8_S8_S8_S8_S8_S8_S8_EEEEZNS1_11reduce_implILb1ES3_NS6_12zip_iteratorINS7_INS6_11hip_rocprim26transform_input_iterator_tIbNSD_35transform_pair_of_input_iterators_tIbNS6_6detail15normal_iteratorINS6_10device_ptrIKsEEEESL_NS6_8equal_toIsEEEENSG_9not_fun_tINSD_8identityEEEEENSD_19counting_iterator_tIlEES8_S8_S8_S8_S8_S8_S8_S8_EEEEPS9_S9_NSD_9__find_if7functorIS9_EEEE10hipError_tPvRmT1_T2_T3_mT4_P12ihipStream_tbEUlT_E0_NS1_11comp_targetILNS1_3genE8ELNS1_11target_archE1030ELNS1_3gpuE2ELNS1_3repE0EEENS1_30default_config_static_selectorELNS0_4arch9wavefront6targetE0EEEvS14_.has_indirect_call, 0
	.section	.AMDGPU.csdata,"",@progbits
; Kernel info:
; codeLenInByte = 3168
; TotalNumSgprs: 30
; NumVgprs: 13
; ScratchSize: 0
; MemoryBound: 0
; FloatMode: 240
; IeeeMode: 1
; LDSByteSize: 256 bytes/workgroup (compile time only)
; SGPRBlocks: 0
; VGPRBlocks: 1
; NumSGPRsForWavesPerEU: 30
; NumVGPRsForWavesPerEU: 13
; Occupancy: 16
; WaveLimiterHint : 0
; COMPUTE_PGM_RSRC2:SCRATCH_EN: 0
; COMPUTE_PGM_RSRC2:USER_SGPR: 6
; COMPUTE_PGM_RSRC2:TRAP_HANDLER: 0
; COMPUTE_PGM_RSRC2:TGID_X_EN: 1
; COMPUTE_PGM_RSRC2:TGID_Y_EN: 0
; COMPUTE_PGM_RSRC2:TGID_Z_EN: 0
; COMPUTE_PGM_RSRC2:TIDIG_COMP_CNT: 0
	.section	.text._ZN7rocprim17ROCPRIM_400000_NS6detail17trampoline_kernelINS0_14default_configENS1_22reduce_config_selectorIN6thrust23THRUST_200600_302600_NS5tupleIblNS6_9null_typeES8_S8_S8_S8_S8_S8_S8_EEEEZNS1_11reduce_implILb1ES3_NS6_12zip_iteratorINS7_INS6_11hip_rocprim26transform_input_iterator_tIbNSD_35transform_pair_of_input_iterators_tIbNS6_6detail15normal_iteratorINS6_10device_ptrIKsEEEESL_NS6_8equal_toIsEEEENSG_9not_fun_tINSD_8identityEEEEENSD_19counting_iterator_tIlEES8_S8_S8_S8_S8_S8_S8_S8_EEEEPS9_S9_NSD_9__find_if7functorIS9_EEEE10hipError_tPvRmT1_T2_T3_mT4_P12ihipStream_tbEUlT_E1_NS1_11comp_targetILNS1_3genE0ELNS1_11target_archE4294967295ELNS1_3gpuE0ELNS1_3repE0EEENS1_30default_config_static_selectorELNS0_4arch9wavefront6targetE0EEEvS14_,"axG",@progbits,_ZN7rocprim17ROCPRIM_400000_NS6detail17trampoline_kernelINS0_14default_configENS1_22reduce_config_selectorIN6thrust23THRUST_200600_302600_NS5tupleIblNS6_9null_typeES8_S8_S8_S8_S8_S8_S8_EEEEZNS1_11reduce_implILb1ES3_NS6_12zip_iteratorINS7_INS6_11hip_rocprim26transform_input_iterator_tIbNSD_35transform_pair_of_input_iterators_tIbNS6_6detail15normal_iteratorINS6_10device_ptrIKsEEEESL_NS6_8equal_toIsEEEENSG_9not_fun_tINSD_8identityEEEEENSD_19counting_iterator_tIlEES8_S8_S8_S8_S8_S8_S8_S8_EEEEPS9_S9_NSD_9__find_if7functorIS9_EEEE10hipError_tPvRmT1_T2_T3_mT4_P12ihipStream_tbEUlT_E1_NS1_11comp_targetILNS1_3genE0ELNS1_11target_archE4294967295ELNS1_3gpuE0ELNS1_3repE0EEENS1_30default_config_static_selectorELNS0_4arch9wavefront6targetE0EEEvS14_,comdat
	.protected	_ZN7rocprim17ROCPRIM_400000_NS6detail17trampoline_kernelINS0_14default_configENS1_22reduce_config_selectorIN6thrust23THRUST_200600_302600_NS5tupleIblNS6_9null_typeES8_S8_S8_S8_S8_S8_S8_EEEEZNS1_11reduce_implILb1ES3_NS6_12zip_iteratorINS7_INS6_11hip_rocprim26transform_input_iterator_tIbNSD_35transform_pair_of_input_iterators_tIbNS6_6detail15normal_iteratorINS6_10device_ptrIKsEEEESL_NS6_8equal_toIsEEEENSG_9not_fun_tINSD_8identityEEEEENSD_19counting_iterator_tIlEES8_S8_S8_S8_S8_S8_S8_S8_EEEEPS9_S9_NSD_9__find_if7functorIS9_EEEE10hipError_tPvRmT1_T2_T3_mT4_P12ihipStream_tbEUlT_E1_NS1_11comp_targetILNS1_3genE0ELNS1_11target_archE4294967295ELNS1_3gpuE0ELNS1_3repE0EEENS1_30default_config_static_selectorELNS0_4arch9wavefront6targetE0EEEvS14_ ; -- Begin function _ZN7rocprim17ROCPRIM_400000_NS6detail17trampoline_kernelINS0_14default_configENS1_22reduce_config_selectorIN6thrust23THRUST_200600_302600_NS5tupleIblNS6_9null_typeES8_S8_S8_S8_S8_S8_S8_EEEEZNS1_11reduce_implILb1ES3_NS6_12zip_iteratorINS7_INS6_11hip_rocprim26transform_input_iterator_tIbNSD_35transform_pair_of_input_iterators_tIbNS6_6detail15normal_iteratorINS6_10device_ptrIKsEEEESL_NS6_8equal_toIsEEEENSG_9not_fun_tINSD_8identityEEEEENSD_19counting_iterator_tIlEES8_S8_S8_S8_S8_S8_S8_S8_EEEEPS9_S9_NSD_9__find_if7functorIS9_EEEE10hipError_tPvRmT1_T2_T3_mT4_P12ihipStream_tbEUlT_E1_NS1_11comp_targetILNS1_3genE0ELNS1_11target_archE4294967295ELNS1_3gpuE0ELNS1_3repE0EEENS1_30default_config_static_selectorELNS0_4arch9wavefront6targetE0EEEvS14_
	.globl	_ZN7rocprim17ROCPRIM_400000_NS6detail17trampoline_kernelINS0_14default_configENS1_22reduce_config_selectorIN6thrust23THRUST_200600_302600_NS5tupleIblNS6_9null_typeES8_S8_S8_S8_S8_S8_S8_EEEEZNS1_11reduce_implILb1ES3_NS6_12zip_iteratorINS7_INS6_11hip_rocprim26transform_input_iterator_tIbNSD_35transform_pair_of_input_iterators_tIbNS6_6detail15normal_iteratorINS6_10device_ptrIKsEEEESL_NS6_8equal_toIsEEEENSG_9not_fun_tINSD_8identityEEEEENSD_19counting_iterator_tIlEES8_S8_S8_S8_S8_S8_S8_S8_EEEEPS9_S9_NSD_9__find_if7functorIS9_EEEE10hipError_tPvRmT1_T2_T3_mT4_P12ihipStream_tbEUlT_E1_NS1_11comp_targetILNS1_3genE0ELNS1_11target_archE4294967295ELNS1_3gpuE0ELNS1_3repE0EEENS1_30default_config_static_selectorELNS0_4arch9wavefront6targetE0EEEvS14_
	.p2align	8
	.type	_ZN7rocprim17ROCPRIM_400000_NS6detail17trampoline_kernelINS0_14default_configENS1_22reduce_config_selectorIN6thrust23THRUST_200600_302600_NS5tupleIblNS6_9null_typeES8_S8_S8_S8_S8_S8_S8_EEEEZNS1_11reduce_implILb1ES3_NS6_12zip_iteratorINS7_INS6_11hip_rocprim26transform_input_iterator_tIbNSD_35transform_pair_of_input_iterators_tIbNS6_6detail15normal_iteratorINS6_10device_ptrIKsEEEESL_NS6_8equal_toIsEEEENSG_9not_fun_tINSD_8identityEEEEENSD_19counting_iterator_tIlEES8_S8_S8_S8_S8_S8_S8_S8_EEEEPS9_S9_NSD_9__find_if7functorIS9_EEEE10hipError_tPvRmT1_T2_T3_mT4_P12ihipStream_tbEUlT_E1_NS1_11comp_targetILNS1_3genE0ELNS1_11target_archE4294967295ELNS1_3gpuE0ELNS1_3repE0EEENS1_30default_config_static_selectorELNS0_4arch9wavefront6targetE0EEEvS14_,@function
_ZN7rocprim17ROCPRIM_400000_NS6detail17trampoline_kernelINS0_14default_configENS1_22reduce_config_selectorIN6thrust23THRUST_200600_302600_NS5tupleIblNS6_9null_typeES8_S8_S8_S8_S8_S8_S8_EEEEZNS1_11reduce_implILb1ES3_NS6_12zip_iteratorINS7_INS6_11hip_rocprim26transform_input_iterator_tIbNSD_35transform_pair_of_input_iterators_tIbNS6_6detail15normal_iteratorINS6_10device_ptrIKsEEEESL_NS6_8equal_toIsEEEENSG_9not_fun_tINSD_8identityEEEEENSD_19counting_iterator_tIlEES8_S8_S8_S8_S8_S8_S8_S8_EEEEPS9_S9_NSD_9__find_if7functorIS9_EEEE10hipError_tPvRmT1_T2_T3_mT4_P12ihipStream_tbEUlT_E1_NS1_11comp_targetILNS1_3genE0ELNS1_11target_archE4294967295ELNS1_3gpuE0ELNS1_3repE0EEENS1_30default_config_static_selectorELNS0_4arch9wavefront6targetE0EEEvS14_: ; @_ZN7rocprim17ROCPRIM_400000_NS6detail17trampoline_kernelINS0_14default_configENS1_22reduce_config_selectorIN6thrust23THRUST_200600_302600_NS5tupleIblNS6_9null_typeES8_S8_S8_S8_S8_S8_S8_EEEEZNS1_11reduce_implILb1ES3_NS6_12zip_iteratorINS7_INS6_11hip_rocprim26transform_input_iterator_tIbNSD_35transform_pair_of_input_iterators_tIbNS6_6detail15normal_iteratorINS6_10device_ptrIKsEEEESL_NS6_8equal_toIsEEEENSG_9not_fun_tINSD_8identityEEEEENSD_19counting_iterator_tIlEES8_S8_S8_S8_S8_S8_S8_S8_EEEEPS9_S9_NSD_9__find_if7functorIS9_EEEE10hipError_tPvRmT1_T2_T3_mT4_P12ihipStream_tbEUlT_E1_NS1_11comp_targetILNS1_3genE0ELNS1_11target_archE4294967295ELNS1_3gpuE0ELNS1_3repE0EEENS1_30default_config_static_selectorELNS0_4arch9wavefront6targetE0EEEvS14_
; %bb.0:
	.section	.rodata,"a",@progbits
	.p2align	6, 0x0
	.amdhsa_kernel _ZN7rocprim17ROCPRIM_400000_NS6detail17trampoline_kernelINS0_14default_configENS1_22reduce_config_selectorIN6thrust23THRUST_200600_302600_NS5tupleIblNS6_9null_typeES8_S8_S8_S8_S8_S8_S8_EEEEZNS1_11reduce_implILb1ES3_NS6_12zip_iteratorINS7_INS6_11hip_rocprim26transform_input_iterator_tIbNSD_35transform_pair_of_input_iterators_tIbNS6_6detail15normal_iteratorINS6_10device_ptrIKsEEEESL_NS6_8equal_toIsEEEENSG_9not_fun_tINSD_8identityEEEEENSD_19counting_iterator_tIlEES8_S8_S8_S8_S8_S8_S8_S8_EEEEPS9_S9_NSD_9__find_if7functorIS9_EEEE10hipError_tPvRmT1_T2_T3_mT4_P12ihipStream_tbEUlT_E1_NS1_11comp_targetILNS1_3genE0ELNS1_11target_archE4294967295ELNS1_3gpuE0ELNS1_3repE0EEENS1_30default_config_static_selectorELNS0_4arch9wavefront6targetE0EEEvS14_
		.amdhsa_group_segment_fixed_size 0
		.amdhsa_private_segment_fixed_size 0
		.amdhsa_kernarg_size 88
		.amdhsa_user_sgpr_count 6
		.amdhsa_user_sgpr_private_segment_buffer 1
		.amdhsa_user_sgpr_dispatch_ptr 0
		.amdhsa_user_sgpr_queue_ptr 0
		.amdhsa_user_sgpr_kernarg_segment_ptr 1
		.amdhsa_user_sgpr_dispatch_id 0
		.amdhsa_user_sgpr_flat_scratch_init 0
		.amdhsa_user_sgpr_private_segment_size 0
		.amdhsa_wavefront_size32 1
		.amdhsa_uses_dynamic_stack 0
		.amdhsa_system_sgpr_private_segment_wavefront_offset 0
		.amdhsa_system_sgpr_workgroup_id_x 1
		.amdhsa_system_sgpr_workgroup_id_y 0
		.amdhsa_system_sgpr_workgroup_id_z 0
		.amdhsa_system_sgpr_workgroup_info 0
		.amdhsa_system_vgpr_workitem_id 0
		.amdhsa_next_free_vgpr 1
		.amdhsa_next_free_sgpr 1
		.amdhsa_reserve_vcc 0
		.amdhsa_reserve_flat_scratch 0
		.amdhsa_float_round_mode_32 0
		.amdhsa_float_round_mode_16_64 0
		.amdhsa_float_denorm_mode_32 3
		.amdhsa_float_denorm_mode_16_64 3
		.amdhsa_dx10_clamp 1
		.amdhsa_ieee_mode 1
		.amdhsa_fp16_overflow 0
		.amdhsa_workgroup_processor_mode 1
		.amdhsa_memory_ordered 1
		.amdhsa_forward_progress 1
		.amdhsa_shared_vgpr_count 0
		.amdhsa_exception_fp_ieee_invalid_op 0
		.amdhsa_exception_fp_denorm_src 0
		.amdhsa_exception_fp_ieee_div_zero 0
		.amdhsa_exception_fp_ieee_overflow 0
		.amdhsa_exception_fp_ieee_underflow 0
		.amdhsa_exception_fp_ieee_inexact 0
		.amdhsa_exception_int_div_zero 0
	.end_amdhsa_kernel
	.section	.text._ZN7rocprim17ROCPRIM_400000_NS6detail17trampoline_kernelINS0_14default_configENS1_22reduce_config_selectorIN6thrust23THRUST_200600_302600_NS5tupleIblNS6_9null_typeES8_S8_S8_S8_S8_S8_S8_EEEEZNS1_11reduce_implILb1ES3_NS6_12zip_iteratorINS7_INS6_11hip_rocprim26transform_input_iterator_tIbNSD_35transform_pair_of_input_iterators_tIbNS6_6detail15normal_iteratorINS6_10device_ptrIKsEEEESL_NS6_8equal_toIsEEEENSG_9not_fun_tINSD_8identityEEEEENSD_19counting_iterator_tIlEES8_S8_S8_S8_S8_S8_S8_S8_EEEEPS9_S9_NSD_9__find_if7functorIS9_EEEE10hipError_tPvRmT1_T2_T3_mT4_P12ihipStream_tbEUlT_E1_NS1_11comp_targetILNS1_3genE0ELNS1_11target_archE4294967295ELNS1_3gpuE0ELNS1_3repE0EEENS1_30default_config_static_selectorELNS0_4arch9wavefront6targetE0EEEvS14_,"axG",@progbits,_ZN7rocprim17ROCPRIM_400000_NS6detail17trampoline_kernelINS0_14default_configENS1_22reduce_config_selectorIN6thrust23THRUST_200600_302600_NS5tupleIblNS6_9null_typeES8_S8_S8_S8_S8_S8_S8_EEEEZNS1_11reduce_implILb1ES3_NS6_12zip_iteratorINS7_INS6_11hip_rocprim26transform_input_iterator_tIbNSD_35transform_pair_of_input_iterators_tIbNS6_6detail15normal_iteratorINS6_10device_ptrIKsEEEESL_NS6_8equal_toIsEEEENSG_9not_fun_tINSD_8identityEEEEENSD_19counting_iterator_tIlEES8_S8_S8_S8_S8_S8_S8_S8_EEEEPS9_S9_NSD_9__find_if7functorIS9_EEEE10hipError_tPvRmT1_T2_T3_mT4_P12ihipStream_tbEUlT_E1_NS1_11comp_targetILNS1_3genE0ELNS1_11target_archE4294967295ELNS1_3gpuE0ELNS1_3repE0EEENS1_30default_config_static_selectorELNS0_4arch9wavefront6targetE0EEEvS14_,comdat
.Lfunc_end307:
	.size	_ZN7rocprim17ROCPRIM_400000_NS6detail17trampoline_kernelINS0_14default_configENS1_22reduce_config_selectorIN6thrust23THRUST_200600_302600_NS5tupleIblNS6_9null_typeES8_S8_S8_S8_S8_S8_S8_EEEEZNS1_11reduce_implILb1ES3_NS6_12zip_iteratorINS7_INS6_11hip_rocprim26transform_input_iterator_tIbNSD_35transform_pair_of_input_iterators_tIbNS6_6detail15normal_iteratorINS6_10device_ptrIKsEEEESL_NS6_8equal_toIsEEEENSG_9not_fun_tINSD_8identityEEEEENSD_19counting_iterator_tIlEES8_S8_S8_S8_S8_S8_S8_S8_EEEEPS9_S9_NSD_9__find_if7functorIS9_EEEE10hipError_tPvRmT1_T2_T3_mT4_P12ihipStream_tbEUlT_E1_NS1_11comp_targetILNS1_3genE0ELNS1_11target_archE4294967295ELNS1_3gpuE0ELNS1_3repE0EEENS1_30default_config_static_selectorELNS0_4arch9wavefront6targetE0EEEvS14_, .Lfunc_end307-_ZN7rocprim17ROCPRIM_400000_NS6detail17trampoline_kernelINS0_14default_configENS1_22reduce_config_selectorIN6thrust23THRUST_200600_302600_NS5tupleIblNS6_9null_typeES8_S8_S8_S8_S8_S8_S8_EEEEZNS1_11reduce_implILb1ES3_NS6_12zip_iteratorINS7_INS6_11hip_rocprim26transform_input_iterator_tIbNSD_35transform_pair_of_input_iterators_tIbNS6_6detail15normal_iteratorINS6_10device_ptrIKsEEEESL_NS6_8equal_toIsEEEENSG_9not_fun_tINSD_8identityEEEEENSD_19counting_iterator_tIlEES8_S8_S8_S8_S8_S8_S8_S8_EEEEPS9_S9_NSD_9__find_if7functorIS9_EEEE10hipError_tPvRmT1_T2_T3_mT4_P12ihipStream_tbEUlT_E1_NS1_11comp_targetILNS1_3genE0ELNS1_11target_archE4294967295ELNS1_3gpuE0ELNS1_3repE0EEENS1_30default_config_static_selectorELNS0_4arch9wavefront6targetE0EEEvS14_
                                        ; -- End function
	.set _ZN7rocprim17ROCPRIM_400000_NS6detail17trampoline_kernelINS0_14default_configENS1_22reduce_config_selectorIN6thrust23THRUST_200600_302600_NS5tupleIblNS6_9null_typeES8_S8_S8_S8_S8_S8_S8_EEEEZNS1_11reduce_implILb1ES3_NS6_12zip_iteratorINS7_INS6_11hip_rocprim26transform_input_iterator_tIbNSD_35transform_pair_of_input_iterators_tIbNS6_6detail15normal_iteratorINS6_10device_ptrIKsEEEESL_NS6_8equal_toIsEEEENSG_9not_fun_tINSD_8identityEEEEENSD_19counting_iterator_tIlEES8_S8_S8_S8_S8_S8_S8_S8_EEEEPS9_S9_NSD_9__find_if7functorIS9_EEEE10hipError_tPvRmT1_T2_T3_mT4_P12ihipStream_tbEUlT_E1_NS1_11comp_targetILNS1_3genE0ELNS1_11target_archE4294967295ELNS1_3gpuE0ELNS1_3repE0EEENS1_30default_config_static_selectorELNS0_4arch9wavefront6targetE0EEEvS14_.num_vgpr, 0
	.set _ZN7rocprim17ROCPRIM_400000_NS6detail17trampoline_kernelINS0_14default_configENS1_22reduce_config_selectorIN6thrust23THRUST_200600_302600_NS5tupleIblNS6_9null_typeES8_S8_S8_S8_S8_S8_S8_EEEEZNS1_11reduce_implILb1ES3_NS6_12zip_iteratorINS7_INS6_11hip_rocprim26transform_input_iterator_tIbNSD_35transform_pair_of_input_iterators_tIbNS6_6detail15normal_iteratorINS6_10device_ptrIKsEEEESL_NS6_8equal_toIsEEEENSG_9not_fun_tINSD_8identityEEEEENSD_19counting_iterator_tIlEES8_S8_S8_S8_S8_S8_S8_S8_EEEEPS9_S9_NSD_9__find_if7functorIS9_EEEE10hipError_tPvRmT1_T2_T3_mT4_P12ihipStream_tbEUlT_E1_NS1_11comp_targetILNS1_3genE0ELNS1_11target_archE4294967295ELNS1_3gpuE0ELNS1_3repE0EEENS1_30default_config_static_selectorELNS0_4arch9wavefront6targetE0EEEvS14_.num_agpr, 0
	.set _ZN7rocprim17ROCPRIM_400000_NS6detail17trampoline_kernelINS0_14default_configENS1_22reduce_config_selectorIN6thrust23THRUST_200600_302600_NS5tupleIblNS6_9null_typeES8_S8_S8_S8_S8_S8_S8_EEEEZNS1_11reduce_implILb1ES3_NS6_12zip_iteratorINS7_INS6_11hip_rocprim26transform_input_iterator_tIbNSD_35transform_pair_of_input_iterators_tIbNS6_6detail15normal_iteratorINS6_10device_ptrIKsEEEESL_NS6_8equal_toIsEEEENSG_9not_fun_tINSD_8identityEEEEENSD_19counting_iterator_tIlEES8_S8_S8_S8_S8_S8_S8_S8_EEEEPS9_S9_NSD_9__find_if7functorIS9_EEEE10hipError_tPvRmT1_T2_T3_mT4_P12ihipStream_tbEUlT_E1_NS1_11comp_targetILNS1_3genE0ELNS1_11target_archE4294967295ELNS1_3gpuE0ELNS1_3repE0EEENS1_30default_config_static_selectorELNS0_4arch9wavefront6targetE0EEEvS14_.numbered_sgpr, 0
	.set _ZN7rocprim17ROCPRIM_400000_NS6detail17trampoline_kernelINS0_14default_configENS1_22reduce_config_selectorIN6thrust23THRUST_200600_302600_NS5tupleIblNS6_9null_typeES8_S8_S8_S8_S8_S8_S8_EEEEZNS1_11reduce_implILb1ES3_NS6_12zip_iteratorINS7_INS6_11hip_rocprim26transform_input_iterator_tIbNSD_35transform_pair_of_input_iterators_tIbNS6_6detail15normal_iteratorINS6_10device_ptrIKsEEEESL_NS6_8equal_toIsEEEENSG_9not_fun_tINSD_8identityEEEEENSD_19counting_iterator_tIlEES8_S8_S8_S8_S8_S8_S8_S8_EEEEPS9_S9_NSD_9__find_if7functorIS9_EEEE10hipError_tPvRmT1_T2_T3_mT4_P12ihipStream_tbEUlT_E1_NS1_11comp_targetILNS1_3genE0ELNS1_11target_archE4294967295ELNS1_3gpuE0ELNS1_3repE0EEENS1_30default_config_static_selectorELNS0_4arch9wavefront6targetE0EEEvS14_.num_named_barrier, 0
	.set _ZN7rocprim17ROCPRIM_400000_NS6detail17trampoline_kernelINS0_14default_configENS1_22reduce_config_selectorIN6thrust23THRUST_200600_302600_NS5tupleIblNS6_9null_typeES8_S8_S8_S8_S8_S8_S8_EEEEZNS1_11reduce_implILb1ES3_NS6_12zip_iteratorINS7_INS6_11hip_rocprim26transform_input_iterator_tIbNSD_35transform_pair_of_input_iterators_tIbNS6_6detail15normal_iteratorINS6_10device_ptrIKsEEEESL_NS6_8equal_toIsEEEENSG_9not_fun_tINSD_8identityEEEEENSD_19counting_iterator_tIlEES8_S8_S8_S8_S8_S8_S8_S8_EEEEPS9_S9_NSD_9__find_if7functorIS9_EEEE10hipError_tPvRmT1_T2_T3_mT4_P12ihipStream_tbEUlT_E1_NS1_11comp_targetILNS1_3genE0ELNS1_11target_archE4294967295ELNS1_3gpuE0ELNS1_3repE0EEENS1_30default_config_static_selectorELNS0_4arch9wavefront6targetE0EEEvS14_.private_seg_size, 0
	.set _ZN7rocprim17ROCPRIM_400000_NS6detail17trampoline_kernelINS0_14default_configENS1_22reduce_config_selectorIN6thrust23THRUST_200600_302600_NS5tupleIblNS6_9null_typeES8_S8_S8_S8_S8_S8_S8_EEEEZNS1_11reduce_implILb1ES3_NS6_12zip_iteratorINS7_INS6_11hip_rocprim26transform_input_iterator_tIbNSD_35transform_pair_of_input_iterators_tIbNS6_6detail15normal_iteratorINS6_10device_ptrIKsEEEESL_NS6_8equal_toIsEEEENSG_9not_fun_tINSD_8identityEEEEENSD_19counting_iterator_tIlEES8_S8_S8_S8_S8_S8_S8_S8_EEEEPS9_S9_NSD_9__find_if7functorIS9_EEEE10hipError_tPvRmT1_T2_T3_mT4_P12ihipStream_tbEUlT_E1_NS1_11comp_targetILNS1_3genE0ELNS1_11target_archE4294967295ELNS1_3gpuE0ELNS1_3repE0EEENS1_30default_config_static_selectorELNS0_4arch9wavefront6targetE0EEEvS14_.uses_vcc, 0
	.set _ZN7rocprim17ROCPRIM_400000_NS6detail17trampoline_kernelINS0_14default_configENS1_22reduce_config_selectorIN6thrust23THRUST_200600_302600_NS5tupleIblNS6_9null_typeES8_S8_S8_S8_S8_S8_S8_EEEEZNS1_11reduce_implILb1ES3_NS6_12zip_iteratorINS7_INS6_11hip_rocprim26transform_input_iterator_tIbNSD_35transform_pair_of_input_iterators_tIbNS6_6detail15normal_iteratorINS6_10device_ptrIKsEEEESL_NS6_8equal_toIsEEEENSG_9not_fun_tINSD_8identityEEEEENSD_19counting_iterator_tIlEES8_S8_S8_S8_S8_S8_S8_S8_EEEEPS9_S9_NSD_9__find_if7functorIS9_EEEE10hipError_tPvRmT1_T2_T3_mT4_P12ihipStream_tbEUlT_E1_NS1_11comp_targetILNS1_3genE0ELNS1_11target_archE4294967295ELNS1_3gpuE0ELNS1_3repE0EEENS1_30default_config_static_selectorELNS0_4arch9wavefront6targetE0EEEvS14_.uses_flat_scratch, 0
	.set _ZN7rocprim17ROCPRIM_400000_NS6detail17trampoline_kernelINS0_14default_configENS1_22reduce_config_selectorIN6thrust23THRUST_200600_302600_NS5tupleIblNS6_9null_typeES8_S8_S8_S8_S8_S8_S8_EEEEZNS1_11reduce_implILb1ES3_NS6_12zip_iteratorINS7_INS6_11hip_rocprim26transform_input_iterator_tIbNSD_35transform_pair_of_input_iterators_tIbNS6_6detail15normal_iteratorINS6_10device_ptrIKsEEEESL_NS6_8equal_toIsEEEENSG_9not_fun_tINSD_8identityEEEEENSD_19counting_iterator_tIlEES8_S8_S8_S8_S8_S8_S8_S8_EEEEPS9_S9_NSD_9__find_if7functorIS9_EEEE10hipError_tPvRmT1_T2_T3_mT4_P12ihipStream_tbEUlT_E1_NS1_11comp_targetILNS1_3genE0ELNS1_11target_archE4294967295ELNS1_3gpuE0ELNS1_3repE0EEENS1_30default_config_static_selectorELNS0_4arch9wavefront6targetE0EEEvS14_.has_dyn_sized_stack, 0
	.set _ZN7rocprim17ROCPRIM_400000_NS6detail17trampoline_kernelINS0_14default_configENS1_22reduce_config_selectorIN6thrust23THRUST_200600_302600_NS5tupleIblNS6_9null_typeES8_S8_S8_S8_S8_S8_S8_EEEEZNS1_11reduce_implILb1ES3_NS6_12zip_iteratorINS7_INS6_11hip_rocprim26transform_input_iterator_tIbNSD_35transform_pair_of_input_iterators_tIbNS6_6detail15normal_iteratorINS6_10device_ptrIKsEEEESL_NS6_8equal_toIsEEEENSG_9not_fun_tINSD_8identityEEEEENSD_19counting_iterator_tIlEES8_S8_S8_S8_S8_S8_S8_S8_EEEEPS9_S9_NSD_9__find_if7functorIS9_EEEE10hipError_tPvRmT1_T2_T3_mT4_P12ihipStream_tbEUlT_E1_NS1_11comp_targetILNS1_3genE0ELNS1_11target_archE4294967295ELNS1_3gpuE0ELNS1_3repE0EEENS1_30default_config_static_selectorELNS0_4arch9wavefront6targetE0EEEvS14_.has_recursion, 0
	.set _ZN7rocprim17ROCPRIM_400000_NS6detail17trampoline_kernelINS0_14default_configENS1_22reduce_config_selectorIN6thrust23THRUST_200600_302600_NS5tupleIblNS6_9null_typeES8_S8_S8_S8_S8_S8_S8_EEEEZNS1_11reduce_implILb1ES3_NS6_12zip_iteratorINS7_INS6_11hip_rocprim26transform_input_iterator_tIbNSD_35transform_pair_of_input_iterators_tIbNS6_6detail15normal_iteratorINS6_10device_ptrIKsEEEESL_NS6_8equal_toIsEEEENSG_9not_fun_tINSD_8identityEEEEENSD_19counting_iterator_tIlEES8_S8_S8_S8_S8_S8_S8_S8_EEEEPS9_S9_NSD_9__find_if7functorIS9_EEEE10hipError_tPvRmT1_T2_T3_mT4_P12ihipStream_tbEUlT_E1_NS1_11comp_targetILNS1_3genE0ELNS1_11target_archE4294967295ELNS1_3gpuE0ELNS1_3repE0EEENS1_30default_config_static_selectorELNS0_4arch9wavefront6targetE0EEEvS14_.has_indirect_call, 0
	.section	.AMDGPU.csdata,"",@progbits
; Kernel info:
; codeLenInByte = 0
; TotalNumSgprs: 0
; NumVgprs: 0
; ScratchSize: 0
; MemoryBound: 0
; FloatMode: 240
; IeeeMode: 1
; LDSByteSize: 0 bytes/workgroup (compile time only)
; SGPRBlocks: 0
; VGPRBlocks: 0
; NumSGPRsForWavesPerEU: 1
; NumVGPRsForWavesPerEU: 1
; Occupancy: 16
; WaveLimiterHint : 0
; COMPUTE_PGM_RSRC2:SCRATCH_EN: 0
; COMPUTE_PGM_RSRC2:USER_SGPR: 6
; COMPUTE_PGM_RSRC2:TRAP_HANDLER: 0
; COMPUTE_PGM_RSRC2:TGID_X_EN: 1
; COMPUTE_PGM_RSRC2:TGID_Y_EN: 0
; COMPUTE_PGM_RSRC2:TGID_Z_EN: 0
; COMPUTE_PGM_RSRC2:TIDIG_COMP_CNT: 0
	.section	.text._ZN7rocprim17ROCPRIM_400000_NS6detail17trampoline_kernelINS0_14default_configENS1_22reduce_config_selectorIN6thrust23THRUST_200600_302600_NS5tupleIblNS6_9null_typeES8_S8_S8_S8_S8_S8_S8_EEEEZNS1_11reduce_implILb1ES3_NS6_12zip_iteratorINS7_INS6_11hip_rocprim26transform_input_iterator_tIbNSD_35transform_pair_of_input_iterators_tIbNS6_6detail15normal_iteratorINS6_10device_ptrIKsEEEESL_NS6_8equal_toIsEEEENSG_9not_fun_tINSD_8identityEEEEENSD_19counting_iterator_tIlEES8_S8_S8_S8_S8_S8_S8_S8_EEEEPS9_S9_NSD_9__find_if7functorIS9_EEEE10hipError_tPvRmT1_T2_T3_mT4_P12ihipStream_tbEUlT_E1_NS1_11comp_targetILNS1_3genE5ELNS1_11target_archE942ELNS1_3gpuE9ELNS1_3repE0EEENS1_30default_config_static_selectorELNS0_4arch9wavefront6targetE0EEEvS14_,"axG",@progbits,_ZN7rocprim17ROCPRIM_400000_NS6detail17trampoline_kernelINS0_14default_configENS1_22reduce_config_selectorIN6thrust23THRUST_200600_302600_NS5tupleIblNS6_9null_typeES8_S8_S8_S8_S8_S8_S8_EEEEZNS1_11reduce_implILb1ES3_NS6_12zip_iteratorINS7_INS6_11hip_rocprim26transform_input_iterator_tIbNSD_35transform_pair_of_input_iterators_tIbNS6_6detail15normal_iteratorINS6_10device_ptrIKsEEEESL_NS6_8equal_toIsEEEENSG_9not_fun_tINSD_8identityEEEEENSD_19counting_iterator_tIlEES8_S8_S8_S8_S8_S8_S8_S8_EEEEPS9_S9_NSD_9__find_if7functorIS9_EEEE10hipError_tPvRmT1_T2_T3_mT4_P12ihipStream_tbEUlT_E1_NS1_11comp_targetILNS1_3genE5ELNS1_11target_archE942ELNS1_3gpuE9ELNS1_3repE0EEENS1_30default_config_static_selectorELNS0_4arch9wavefront6targetE0EEEvS14_,comdat
	.protected	_ZN7rocprim17ROCPRIM_400000_NS6detail17trampoline_kernelINS0_14default_configENS1_22reduce_config_selectorIN6thrust23THRUST_200600_302600_NS5tupleIblNS6_9null_typeES8_S8_S8_S8_S8_S8_S8_EEEEZNS1_11reduce_implILb1ES3_NS6_12zip_iteratorINS7_INS6_11hip_rocprim26transform_input_iterator_tIbNSD_35transform_pair_of_input_iterators_tIbNS6_6detail15normal_iteratorINS6_10device_ptrIKsEEEESL_NS6_8equal_toIsEEEENSG_9not_fun_tINSD_8identityEEEEENSD_19counting_iterator_tIlEES8_S8_S8_S8_S8_S8_S8_S8_EEEEPS9_S9_NSD_9__find_if7functorIS9_EEEE10hipError_tPvRmT1_T2_T3_mT4_P12ihipStream_tbEUlT_E1_NS1_11comp_targetILNS1_3genE5ELNS1_11target_archE942ELNS1_3gpuE9ELNS1_3repE0EEENS1_30default_config_static_selectorELNS0_4arch9wavefront6targetE0EEEvS14_ ; -- Begin function _ZN7rocprim17ROCPRIM_400000_NS6detail17trampoline_kernelINS0_14default_configENS1_22reduce_config_selectorIN6thrust23THRUST_200600_302600_NS5tupleIblNS6_9null_typeES8_S8_S8_S8_S8_S8_S8_EEEEZNS1_11reduce_implILb1ES3_NS6_12zip_iteratorINS7_INS6_11hip_rocprim26transform_input_iterator_tIbNSD_35transform_pair_of_input_iterators_tIbNS6_6detail15normal_iteratorINS6_10device_ptrIKsEEEESL_NS6_8equal_toIsEEEENSG_9not_fun_tINSD_8identityEEEEENSD_19counting_iterator_tIlEES8_S8_S8_S8_S8_S8_S8_S8_EEEEPS9_S9_NSD_9__find_if7functorIS9_EEEE10hipError_tPvRmT1_T2_T3_mT4_P12ihipStream_tbEUlT_E1_NS1_11comp_targetILNS1_3genE5ELNS1_11target_archE942ELNS1_3gpuE9ELNS1_3repE0EEENS1_30default_config_static_selectorELNS0_4arch9wavefront6targetE0EEEvS14_
	.globl	_ZN7rocprim17ROCPRIM_400000_NS6detail17trampoline_kernelINS0_14default_configENS1_22reduce_config_selectorIN6thrust23THRUST_200600_302600_NS5tupleIblNS6_9null_typeES8_S8_S8_S8_S8_S8_S8_EEEEZNS1_11reduce_implILb1ES3_NS6_12zip_iteratorINS7_INS6_11hip_rocprim26transform_input_iterator_tIbNSD_35transform_pair_of_input_iterators_tIbNS6_6detail15normal_iteratorINS6_10device_ptrIKsEEEESL_NS6_8equal_toIsEEEENSG_9not_fun_tINSD_8identityEEEEENSD_19counting_iterator_tIlEES8_S8_S8_S8_S8_S8_S8_S8_EEEEPS9_S9_NSD_9__find_if7functorIS9_EEEE10hipError_tPvRmT1_T2_T3_mT4_P12ihipStream_tbEUlT_E1_NS1_11comp_targetILNS1_3genE5ELNS1_11target_archE942ELNS1_3gpuE9ELNS1_3repE0EEENS1_30default_config_static_selectorELNS0_4arch9wavefront6targetE0EEEvS14_
	.p2align	8
	.type	_ZN7rocprim17ROCPRIM_400000_NS6detail17trampoline_kernelINS0_14default_configENS1_22reduce_config_selectorIN6thrust23THRUST_200600_302600_NS5tupleIblNS6_9null_typeES8_S8_S8_S8_S8_S8_S8_EEEEZNS1_11reduce_implILb1ES3_NS6_12zip_iteratorINS7_INS6_11hip_rocprim26transform_input_iterator_tIbNSD_35transform_pair_of_input_iterators_tIbNS6_6detail15normal_iteratorINS6_10device_ptrIKsEEEESL_NS6_8equal_toIsEEEENSG_9not_fun_tINSD_8identityEEEEENSD_19counting_iterator_tIlEES8_S8_S8_S8_S8_S8_S8_S8_EEEEPS9_S9_NSD_9__find_if7functorIS9_EEEE10hipError_tPvRmT1_T2_T3_mT4_P12ihipStream_tbEUlT_E1_NS1_11comp_targetILNS1_3genE5ELNS1_11target_archE942ELNS1_3gpuE9ELNS1_3repE0EEENS1_30default_config_static_selectorELNS0_4arch9wavefront6targetE0EEEvS14_,@function
_ZN7rocprim17ROCPRIM_400000_NS6detail17trampoline_kernelINS0_14default_configENS1_22reduce_config_selectorIN6thrust23THRUST_200600_302600_NS5tupleIblNS6_9null_typeES8_S8_S8_S8_S8_S8_S8_EEEEZNS1_11reduce_implILb1ES3_NS6_12zip_iteratorINS7_INS6_11hip_rocprim26transform_input_iterator_tIbNSD_35transform_pair_of_input_iterators_tIbNS6_6detail15normal_iteratorINS6_10device_ptrIKsEEEESL_NS6_8equal_toIsEEEENSG_9not_fun_tINSD_8identityEEEEENSD_19counting_iterator_tIlEES8_S8_S8_S8_S8_S8_S8_S8_EEEEPS9_S9_NSD_9__find_if7functorIS9_EEEE10hipError_tPvRmT1_T2_T3_mT4_P12ihipStream_tbEUlT_E1_NS1_11comp_targetILNS1_3genE5ELNS1_11target_archE942ELNS1_3gpuE9ELNS1_3repE0EEENS1_30default_config_static_selectorELNS0_4arch9wavefront6targetE0EEEvS14_: ; @_ZN7rocprim17ROCPRIM_400000_NS6detail17trampoline_kernelINS0_14default_configENS1_22reduce_config_selectorIN6thrust23THRUST_200600_302600_NS5tupleIblNS6_9null_typeES8_S8_S8_S8_S8_S8_S8_EEEEZNS1_11reduce_implILb1ES3_NS6_12zip_iteratorINS7_INS6_11hip_rocprim26transform_input_iterator_tIbNSD_35transform_pair_of_input_iterators_tIbNS6_6detail15normal_iteratorINS6_10device_ptrIKsEEEESL_NS6_8equal_toIsEEEENSG_9not_fun_tINSD_8identityEEEEENSD_19counting_iterator_tIlEES8_S8_S8_S8_S8_S8_S8_S8_EEEEPS9_S9_NSD_9__find_if7functorIS9_EEEE10hipError_tPvRmT1_T2_T3_mT4_P12ihipStream_tbEUlT_E1_NS1_11comp_targetILNS1_3genE5ELNS1_11target_archE942ELNS1_3gpuE9ELNS1_3repE0EEENS1_30default_config_static_selectorELNS0_4arch9wavefront6targetE0EEEvS14_
; %bb.0:
	.section	.rodata,"a",@progbits
	.p2align	6, 0x0
	.amdhsa_kernel _ZN7rocprim17ROCPRIM_400000_NS6detail17trampoline_kernelINS0_14default_configENS1_22reduce_config_selectorIN6thrust23THRUST_200600_302600_NS5tupleIblNS6_9null_typeES8_S8_S8_S8_S8_S8_S8_EEEEZNS1_11reduce_implILb1ES3_NS6_12zip_iteratorINS7_INS6_11hip_rocprim26transform_input_iterator_tIbNSD_35transform_pair_of_input_iterators_tIbNS6_6detail15normal_iteratorINS6_10device_ptrIKsEEEESL_NS6_8equal_toIsEEEENSG_9not_fun_tINSD_8identityEEEEENSD_19counting_iterator_tIlEES8_S8_S8_S8_S8_S8_S8_S8_EEEEPS9_S9_NSD_9__find_if7functorIS9_EEEE10hipError_tPvRmT1_T2_T3_mT4_P12ihipStream_tbEUlT_E1_NS1_11comp_targetILNS1_3genE5ELNS1_11target_archE942ELNS1_3gpuE9ELNS1_3repE0EEENS1_30default_config_static_selectorELNS0_4arch9wavefront6targetE0EEEvS14_
		.amdhsa_group_segment_fixed_size 0
		.amdhsa_private_segment_fixed_size 0
		.amdhsa_kernarg_size 88
		.amdhsa_user_sgpr_count 6
		.amdhsa_user_sgpr_private_segment_buffer 1
		.amdhsa_user_sgpr_dispatch_ptr 0
		.amdhsa_user_sgpr_queue_ptr 0
		.amdhsa_user_sgpr_kernarg_segment_ptr 1
		.amdhsa_user_sgpr_dispatch_id 0
		.amdhsa_user_sgpr_flat_scratch_init 0
		.amdhsa_user_sgpr_private_segment_size 0
		.amdhsa_wavefront_size32 1
		.amdhsa_uses_dynamic_stack 0
		.amdhsa_system_sgpr_private_segment_wavefront_offset 0
		.amdhsa_system_sgpr_workgroup_id_x 1
		.amdhsa_system_sgpr_workgroup_id_y 0
		.amdhsa_system_sgpr_workgroup_id_z 0
		.amdhsa_system_sgpr_workgroup_info 0
		.amdhsa_system_vgpr_workitem_id 0
		.amdhsa_next_free_vgpr 1
		.amdhsa_next_free_sgpr 1
		.amdhsa_reserve_vcc 0
		.amdhsa_reserve_flat_scratch 0
		.amdhsa_float_round_mode_32 0
		.amdhsa_float_round_mode_16_64 0
		.amdhsa_float_denorm_mode_32 3
		.amdhsa_float_denorm_mode_16_64 3
		.amdhsa_dx10_clamp 1
		.amdhsa_ieee_mode 1
		.amdhsa_fp16_overflow 0
		.amdhsa_workgroup_processor_mode 1
		.amdhsa_memory_ordered 1
		.amdhsa_forward_progress 1
		.amdhsa_shared_vgpr_count 0
		.amdhsa_exception_fp_ieee_invalid_op 0
		.amdhsa_exception_fp_denorm_src 0
		.amdhsa_exception_fp_ieee_div_zero 0
		.amdhsa_exception_fp_ieee_overflow 0
		.amdhsa_exception_fp_ieee_underflow 0
		.amdhsa_exception_fp_ieee_inexact 0
		.amdhsa_exception_int_div_zero 0
	.end_amdhsa_kernel
	.section	.text._ZN7rocprim17ROCPRIM_400000_NS6detail17trampoline_kernelINS0_14default_configENS1_22reduce_config_selectorIN6thrust23THRUST_200600_302600_NS5tupleIblNS6_9null_typeES8_S8_S8_S8_S8_S8_S8_EEEEZNS1_11reduce_implILb1ES3_NS6_12zip_iteratorINS7_INS6_11hip_rocprim26transform_input_iterator_tIbNSD_35transform_pair_of_input_iterators_tIbNS6_6detail15normal_iteratorINS6_10device_ptrIKsEEEESL_NS6_8equal_toIsEEEENSG_9not_fun_tINSD_8identityEEEEENSD_19counting_iterator_tIlEES8_S8_S8_S8_S8_S8_S8_S8_EEEEPS9_S9_NSD_9__find_if7functorIS9_EEEE10hipError_tPvRmT1_T2_T3_mT4_P12ihipStream_tbEUlT_E1_NS1_11comp_targetILNS1_3genE5ELNS1_11target_archE942ELNS1_3gpuE9ELNS1_3repE0EEENS1_30default_config_static_selectorELNS0_4arch9wavefront6targetE0EEEvS14_,"axG",@progbits,_ZN7rocprim17ROCPRIM_400000_NS6detail17trampoline_kernelINS0_14default_configENS1_22reduce_config_selectorIN6thrust23THRUST_200600_302600_NS5tupleIblNS6_9null_typeES8_S8_S8_S8_S8_S8_S8_EEEEZNS1_11reduce_implILb1ES3_NS6_12zip_iteratorINS7_INS6_11hip_rocprim26transform_input_iterator_tIbNSD_35transform_pair_of_input_iterators_tIbNS6_6detail15normal_iteratorINS6_10device_ptrIKsEEEESL_NS6_8equal_toIsEEEENSG_9not_fun_tINSD_8identityEEEEENSD_19counting_iterator_tIlEES8_S8_S8_S8_S8_S8_S8_S8_EEEEPS9_S9_NSD_9__find_if7functorIS9_EEEE10hipError_tPvRmT1_T2_T3_mT4_P12ihipStream_tbEUlT_E1_NS1_11comp_targetILNS1_3genE5ELNS1_11target_archE942ELNS1_3gpuE9ELNS1_3repE0EEENS1_30default_config_static_selectorELNS0_4arch9wavefront6targetE0EEEvS14_,comdat
.Lfunc_end308:
	.size	_ZN7rocprim17ROCPRIM_400000_NS6detail17trampoline_kernelINS0_14default_configENS1_22reduce_config_selectorIN6thrust23THRUST_200600_302600_NS5tupleIblNS6_9null_typeES8_S8_S8_S8_S8_S8_S8_EEEEZNS1_11reduce_implILb1ES3_NS6_12zip_iteratorINS7_INS6_11hip_rocprim26transform_input_iterator_tIbNSD_35transform_pair_of_input_iterators_tIbNS6_6detail15normal_iteratorINS6_10device_ptrIKsEEEESL_NS6_8equal_toIsEEEENSG_9not_fun_tINSD_8identityEEEEENSD_19counting_iterator_tIlEES8_S8_S8_S8_S8_S8_S8_S8_EEEEPS9_S9_NSD_9__find_if7functorIS9_EEEE10hipError_tPvRmT1_T2_T3_mT4_P12ihipStream_tbEUlT_E1_NS1_11comp_targetILNS1_3genE5ELNS1_11target_archE942ELNS1_3gpuE9ELNS1_3repE0EEENS1_30default_config_static_selectorELNS0_4arch9wavefront6targetE0EEEvS14_, .Lfunc_end308-_ZN7rocprim17ROCPRIM_400000_NS6detail17trampoline_kernelINS0_14default_configENS1_22reduce_config_selectorIN6thrust23THRUST_200600_302600_NS5tupleIblNS6_9null_typeES8_S8_S8_S8_S8_S8_S8_EEEEZNS1_11reduce_implILb1ES3_NS6_12zip_iteratorINS7_INS6_11hip_rocprim26transform_input_iterator_tIbNSD_35transform_pair_of_input_iterators_tIbNS6_6detail15normal_iteratorINS6_10device_ptrIKsEEEESL_NS6_8equal_toIsEEEENSG_9not_fun_tINSD_8identityEEEEENSD_19counting_iterator_tIlEES8_S8_S8_S8_S8_S8_S8_S8_EEEEPS9_S9_NSD_9__find_if7functorIS9_EEEE10hipError_tPvRmT1_T2_T3_mT4_P12ihipStream_tbEUlT_E1_NS1_11comp_targetILNS1_3genE5ELNS1_11target_archE942ELNS1_3gpuE9ELNS1_3repE0EEENS1_30default_config_static_selectorELNS0_4arch9wavefront6targetE0EEEvS14_
                                        ; -- End function
	.set _ZN7rocprim17ROCPRIM_400000_NS6detail17trampoline_kernelINS0_14default_configENS1_22reduce_config_selectorIN6thrust23THRUST_200600_302600_NS5tupleIblNS6_9null_typeES8_S8_S8_S8_S8_S8_S8_EEEEZNS1_11reduce_implILb1ES3_NS6_12zip_iteratorINS7_INS6_11hip_rocprim26transform_input_iterator_tIbNSD_35transform_pair_of_input_iterators_tIbNS6_6detail15normal_iteratorINS6_10device_ptrIKsEEEESL_NS6_8equal_toIsEEEENSG_9not_fun_tINSD_8identityEEEEENSD_19counting_iterator_tIlEES8_S8_S8_S8_S8_S8_S8_S8_EEEEPS9_S9_NSD_9__find_if7functorIS9_EEEE10hipError_tPvRmT1_T2_T3_mT4_P12ihipStream_tbEUlT_E1_NS1_11comp_targetILNS1_3genE5ELNS1_11target_archE942ELNS1_3gpuE9ELNS1_3repE0EEENS1_30default_config_static_selectorELNS0_4arch9wavefront6targetE0EEEvS14_.num_vgpr, 0
	.set _ZN7rocprim17ROCPRIM_400000_NS6detail17trampoline_kernelINS0_14default_configENS1_22reduce_config_selectorIN6thrust23THRUST_200600_302600_NS5tupleIblNS6_9null_typeES8_S8_S8_S8_S8_S8_S8_EEEEZNS1_11reduce_implILb1ES3_NS6_12zip_iteratorINS7_INS6_11hip_rocprim26transform_input_iterator_tIbNSD_35transform_pair_of_input_iterators_tIbNS6_6detail15normal_iteratorINS6_10device_ptrIKsEEEESL_NS6_8equal_toIsEEEENSG_9not_fun_tINSD_8identityEEEEENSD_19counting_iterator_tIlEES8_S8_S8_S8_S8_S8_S8_S8_EEEEPS9_S9_NSD_9__find_if7functorIS9_EEEE10hipError_tPvRmT1_T2_T3_mT4_P12ihipStream_tbEUlT_E1_NS1_11comp_targetILNS1_3genE5ELNS1_11target_archE942ELNS1_3gpuE9ELNS1_3repE0EEENS1_30default_config_static_selectorELNS0_4arch9wavefront6targetE0EEEvS14_.num_agpr, 0
	.set _ZN7rocprim17ROCPRIM_400000_NS6detail17trampoline_kernelINS0_14default_configENS1_22reduce_config_selectorIN6thrust23THRUST_200600_302600_NS5tupleIblNS6_9null_typeES8_S8_S8_S8_S8_S8_S8_EEEEZNS1_11reduce_implILb1ES3_NS6_12zip_iteratorINS7_INS6_11hip_rocprim26transform_input_iterator_tIbNSD_35transform_pair_of_input_iterators_tIbNS6_6detail15normal_iteratorINS6_10device_ptrIKsEEEESL_NS6_8equal_toIsEEEENSG_9not_fun_tINSD_8identityEEEEENSD_19counting_iterator_tIlEES8_S8_S8_S8_S8_S8_S8_S8_EEEEPS9_S9_NSD_9__find_if7functorIS9_EEEE10hipError_tPvRmT1_T2_T3_mT4_P12ihipStream_tbEUlT_E1_NS1_11comp_targetILNS1_3genE5ELNS1_11target_archE942ELNS1_3gpuE9ELNS1_3repE0EEENS1_30default_config_static_selectorELNS0_4arch9wavefront6targetE0EEEvS14_.numbered_sgpr, 0
	.set _ZN7rocprim17ROCPRIM_400000_NS6detail17trampoline_kernelINS0_14default_configENS1_22reduce_config_selectorIN6thrust23THRUST_200600_302600_NS5tupleIblNS6_9null_typeES8_S8_S8_S8_S8_S8_S8_EEEEZNS1_11reduce_implILb1ES3_NS6_12zip_iteratorINS7_INS6_11hip_rocprim26transform_input_iterator_tIbNSD_35transform_pair_of_input_iterators_tIbNS6_6detail15normal_iteratorINS6_10device_ptrIKsEEEESL_NS6_8equal_toIsEEEENSG_9not_fun_tINSD_8identityEEEEENSD_19counting_iterator_tIlEES8_S8_S8_S8_S8_S8_S8_S8_EEEEPS9_S9_NSD_9__find_if7functorIS9_EEEE10hipError_tPvRmT1_T2_T3_mT4_P12ihipStream_tbEUlT_E1_NS1_11comp_targetILNS1_3genE5ELNS1_11target_archE942ELNS1_3gpuE9ELNS1_3repE0EEENS1_30default_config_static_selectorELNS0_4arch9wavefront6targetE0EEEvS14_.num_named_barrier, 0
	.set _ZN7rocprim17ROCPRIM_400000_NS6detail17trampoline_kernelINS0_14default_configENS1_22reduce_config_selectorIN6thrust23THRUST_200600_302600_NS5tupleIblNS6_9null_typeES8_S8_S8_S8_S8_S8_S8_EEEEZNS1_11reduce_implILb1ES3_NS6_12zip_iteratorINS7_INS6_11hip_rocprim26transform_input_iterator_tIbNSD_35transform_pair_of_input_iterators_tIbNS6_6detail15normal_iteratorINS6_10device_ptrIKsEEEESL_NS6_8equal_toIsEEEENSG_9not_fun_tINSD_8identityEEEEENSD_19counting_iterator_tIlEES8_S8_S8_S8_S8_S8_S8_S8_EEEEPS9_S9_NSD_9__find_if7functorIS9_EEEE10hipError_tPvRmT1_T2_T3_mT4_P12ihipStream_tbEUlT_E1_NS1_11comp_targetILNS1_3genE5ELNS1_11target_archE942ELNS1_3gpuE9ELNS1_3repE0EEENS1_30default_config_static_selectorELNS0_4arch9wavefront6targetE0EEEvS14_.private_seg_size, 0
	.set _ZN7rocprim17ROCPRIM_400000_NS6detail17trampoline_kernelINS0_14default_configENS1_22reduce_config_selectorIN6thrust23THRUST_200600_302600_NS5tupleIblNS6_9null_typeES8_S8_S8_S8_S8_S8_S8_EEEEZNS1_11reduce_implILb1ES3_NS6_12zip_iteratorINS7_INS6_11hip_rocprim26transform_input_iterator_tIbNSD_35transform_pair_of_input_iterators_tIbNS6_6detail15normal_iteratorINS6_10device_ptrIKsEEEESL_NS6_8equal_toIsEEEENSG_9not_fun_tINSD_8identityEEEEENSD_19counting_iterator_tIlEES8_S8_S8_S8_S8_S8_S8_S8_EEEEPS9_S9_NSD_9__find_if7functorIS9_EEEE10hipError_tPvRmT1_T2_T3_mT4_P12ihipStream_tbEUlT_E1_NS1_11comp_targetILNS1_3genE5ELNS1_11target_archE942ELNS1_3gpuE9ELNS1_3repE0EEENS1_30default_config_static_selectorELNS0_4arch9wavefront6targetE0EEEvS14_.uses_vcc, 0
	.set _ZN7rocprim17ROCPRIM_400000_NS6detail17trampoline_kernelINS0_14default_configENS1_22reduce_config_selectorIN6thrust23THRUST_200600_302600_NS5tupleIblNS6_9null_typeES8_S8_S8_S8_S8_S8_S8_EEEEZNS1_11reduce_implILb1ES3_NS6_12zip_iteratorINS7_INS6_11hip_rocprim26transform_input_iterator_tIbNSD_35transform_pair_of_input_iterators_tIbNS6_6detail15normal_iteratorINS6_10device_ptrIKsEEEESL_NS6_8equal_toIsEEEENSG_9not_fun_tINSD_8identityEEEEENSD_19counting_iterator_tIlEES8_S8_S8_S8_S8_S8_S8_S8_EEEEPS9_S9_NSD_9__find_if7functorIS9_EEEE10hipError_tPvRmT1_T2_T3_mT4_P12ihipStream_tbEUlT_E1_NS1_11comp_targetILNS1_3genE5ELNS1_11target_archE942ELNS1_3gpuE9ELNS1_3repE0EEENS1_30default_config_static_selectorELNS0_4arch9wavefront6targetE0EEEvS14_.uses_flat_scratch, 0
	.set _ZN7rocprim17ROCPRIM_400000_NS6detail17trampoline_kernelINS0_14default_configENS1_22reduce_config_selectorIN6thrust23THRUST_200600_302600_NS5tupleIblNS6_9null_typeES8_S8_S8_S8_S8_S8_S8_EEEEZNS1_11reduce_implILb1ES3_NS6_12zip_iteratorINS7_INS6_11hip_rocprim26transform_input_iterator_tIbNSD_35transform_pair_of_input_iterators_tIbNS6_6detail15normal_iteratorINS6_10device_ptrIKsEEEESL_NS6_8equal_toIsEEEENSG_9not_fun_tINSD_8identityEEEEENSD_19counting_iterator_tIlEES8_S8_S8_S8_S8_S8_S8_S8_EEEEPS9_S9_NSD_9__find_if7functorIS9_EEEE10hipError_tPvRmT1_T2_T3_mT4_P12ihipStream_tbEUlT_E1_NS1_11comp_targetILNS1_3genE5ELNS1_11target_archE942ELNS1_3gpuE9ELNS1_3repE0EEENS1_30default_config_static_selectorELNS0_4arch9wavefront6targetE0EEEvS14_.has_dyn_sized_stack, 0
	.set _ZN7rocprim17ROCPRIM_400000_NS6detail17trampoline_kernelINS0_14default_configENS1_22reduce_config_selectorIN6thrust23THRUST_200600_302600_NS5tupleIblNS6_9null_typeES8_S8_S8_S8_S8_S8_S8_EEEEZNS1_11reduce_implILb1ES3_NS6_12zip_iteratorINS7_INS6_11hip_rocprim26transform_input_iterator_tIbNSD_35transform_pair_of_input_iterators_tIbNS6_6detail15normal_iteratorINS6_10device_ptrIKsEEEESL_NS6_8equal_toIsEEEENSG_9not_fun_tINSD_8identityEEEEENSD_19counting_iterator_tIlEES8_S8_S8_S8_S8_S8_S8_S8_EEEEPS9_S9_NSD_9__find_if7functorIS9_EEEE10hipError_tPvRmT1_T2_T3_mT4_P12ihipStream_tbEUlT_E1_NS1_11comp_targetILNS1_3genE5ELNS1_11target_archE942ELNS1_3gpuE9ELNS1_3repE0EEENS1_30default_config_static_selectorELNS0_4arch9wavefront6targetE0EEEvS14_.has_recursion, 0
	.set _ZN7rocprim17ROCPRIM_400000_NS6detail17trampoline_kernelINS0_14default_configENS1_22reduce_config_selectorIN6thrust23THRUST_200600_302600_NS5tupleIblNS6_9null_typeES8_S8_S8_S8_S8_S8_S8_EEEEZNS1_11reduce_implILb1ES3_NS6_12zip_iteratorINS7_INS6_11hip_rocprim26transform_input_iterator_tIbNSD_35transform_pair_of_input_iterators_tIbNS6_6detail15normal_iteratorINS6_10device_ptrIKsEEEESL_NS6_8equal_toIsEEEENSG_9not_fun_tINSD_8identityEEEEENSD_19counting_iterator_tIlEES8_S8_S8_S8_S8_S8_S8_S8_EEEEPS9_S9_NSD_9__find_if7functorIS9_EEEE10hipError_tPvRmT1_T2_T3_mT4_P12ihipStream_tbEUlT_E1_NS1_11comp_targetILNS1_3genE5ELNS1_11target_archE942ELNS1_3gpuE9ELNS1_3repE0EEENS1_30default_config_static_selectorELNS0_4arch9wavefront6targetE0EEEvS14_.has_indirect_call, 0
	.section	.AMDGPU.csdata,"",@progbits
; Kernel info:
; codeLenInByte = 0
; TotalNumSgprs: 0
; NumVgprs: 0
; ScratchSize: 0
; MemoryBound: 0
; FloatMode: 240
; IeeeMode: 1
; LDSByteSize: 0 bytes/workgroup (compile time only)
; SGPRBlocks: 0
; VGPRBlocks: 0
; NumSGPRsForWavesPerEU: 1
; NumVGPRsForWavesPerEU: 1
; Occupancy: 16
; WaveLimiterHint : 0
; COMPUTE_PGM_RSRC2:SCRATCH_EN: 0
; COMPUTE_PGM_RSRC2:USER_SGPR: 6
; COMPUTE_PGM_RSRC2:TRAP_HANDLER: 0
; COMPUTE_PGM_RSRC2:TGID_X_EN: 1
; COMPUTE_PGM_RSRC2:TGID_Y_EN: 0
; COMPUTE_PGM_RSRC2:TGID_Z_EN: 0
; COMPUTE_PGM_RSRC2:TIDIG_COMP_CNT: 0
	.section	.text._ZN7rocprim17ROCPRIM_400000_NS6detail17trampoline_kernelINS0_14default_configENS1_22reduce_config_selectorIN6thrust23THRUST_200600_302600_NS5tupleIblNS6_9null_typeES8_S8_S8_S8_S8_S8_S8_EEEEZNS1_11reduce_implILb1ES3_NS6_12zip_iteratorINS7_INS6_11hip_rocprim26transform_input_iterator_tIbNSD_35transform_pair_of_input_iterators_tIbNS6_6detail15normal_iteratorINS6_10device_ptrIKsEEEESL_NS6_8equal_toIsEEEENSG_9not_fun_tINSD_8identityEEEEENSD_19counting_iterator_tIlEES8_S8_S8_S8_S8_S8_S8_S8_EEEEPS9_S9_NSD_9__find_if7functorIS9_EEEE10hipError_tPvRmT1_T2_T3_mT4_P12ihipStream_tbEUlT_E1_NS1_11comp_targetILNS1_3genE4ELNS1_11target_archE910ELNS1_3gpuE8ELNS1_3repE0EEENS1_30default_config_static_selectorELNS0_4arch9wavefront6targetE0EEEvS14_,"axG",@progbits,_ZN7rocprim17ROCPRIM_400000_NS6detail17trampoline_kernelINS0_14default_configENS1_22reduce_config_selectorIN6thrust23THRUST_200600_302600_NS5tupleIblNS6_9null_typeES8_S8_S8_S8_S8_S8_S8_EEEEZNS1_11reduce_implILb1ES3_NS6_12zip_iteratorINS7_INS6_11hip_rocprim26transform_input_iterator_tIbNSD_35transform_pair_of_input_iterators_tIbNS6_6detail15normal_iteratorINS6_10device_ptrIKsEEEESL_NS6_8equal_toIsEEEENSG_9not_fun_tINSD_8identityEEEEENSD_19counting_iterator_tIlEES8_S8_S8_S8_S8_S8_S8_S8_EEEEPS9_S9_NSD_9__find_if7functorIS9_EEEE10hipError_tPvRmT1_T2_T3_mT4_P12ihipStream_tbEUlT_E1_NS1_11comp_targetILNS1_3genE4ELNS1_11target_archE910ELNS1_3gpuE8ELNS1_3repE0EEENS1_30default_config_static_selectorELNS0_4arch9wavefront6targetE0EEEvS14_,comdat
	.protected	_ZN7rocprim17ROCPRIM_400000_NS6detail17trampoline_kernelINS0_14default_configENS1_22reduce_config_selectorIN6thrust23THRUST_200600_302600_NS5tupleIblNS6_9null_typeES8_S8_S8_S8_S8_S8_S8_EEEEZNS1_11reduce_implILb1ES3_NS6_12zip_iteratorINS7_INS6_11hip_rocprim26transform_input_iterator_tIbNSD_35transform_pair_of_input_iterators_tIbNS6_6detail15normal_iteratorINS6_10device_ptrIKsEEEESL_NS6_8equal_toIsEEEENSG_9not_fun_tINSD_8identityEEEEENSD_19counting_iterator_tIlEES8_S8_S8_S8_S8_S8_S8_S8_EEEEPS9_S9_NSD_9__find_if7functorIS9_EEEE10hipError_tPvRmT1_T2_T3_mT4_P12ihipStream_tbEUlT_E1_NS1_11comp_targetILNS1_3genE4ELNS1_11target_archE910ELNS1_3gpuE8ELNS1_3repE0EEENS1_30default_config_static_selectorELNS0_4arch9wavefront6targetE0EEEvS14_ ; -- Begin function _ZN7rocprim17ROCPRIM_400000_NS6detail17trampoline_kernelINS0_14default_configENS1_22reduce_config_selectorIN6thrust23THRUST_200600_302600_NS5tupleIblNS6_9null_typeES8_S8_S8_S8_S8_S8_S8_EEEEZNS1_11reduce_implILb1ES3_NS6_12zip_iteratorINS7_INS6_11hip_rocprim26transform_input_iterator_tIbNSD_35transform_pair_of_input_iterators_tIbNS6_6detail15normal_iteratorINS6_10device_ptrIKsEEEESL_NS6_8equal_toIsEEEENSG_9not_fun_tINSD_8identityEEEEENSD_19counting_iterator_tIlEES8_S8_S8_S8_S8_S8_S8_S8_EEEEPS9_S9_NSD_9__find_if7functorIS9_EEEE10hipError_tPvRmT1_T2_T3_mT4_P12ihipStream_tbEUlT_E1_NS1_11comp_targetILNS1_3genE4ELNS1_11target_archE910ELNS1_3gpuE8ELNS1_3repE0EEENS1_30default_config_static_selectorELNS0_4arch9wavefront6targetE0EEEvS14_
	.globl	_ZN7rocprim17ROCPRIM_400000_NS6detail17trampoline_kernelINS0_14default_configENS1_22reduce_config_selectorIN6thrust23THRUST_200600_302600_NS5tupleIblNS6_9null_typeES8_S8_S8_S8_S8_S8_S8_EEEEZNS1_11reduce_implILb1ES3_NS6_12zip_iteratorINS7_INS6_11hip_rocprim26transform_input_iterator_tIbNSD_35transform_pair_of_input_iterators_tIbNS6_6detail15normal_iteratorINS6_10device_ptrIKsEEEESL_NS6_8equal_toIsEEEENSG_9not_fun_tINSD_8identityEEEEENSD_19counting_iterator_tIlEES8_S8_S8_S8_S8_S8_S8_S8_EEEEPS9_S9_NSD_9__find_if7functorIS9_EEEE10hipError_tPvRmT1_T2_T3_mT4_P12ihipStream_tbEUlT_E1_NS1_11comp_targetILNS1_3genE4ELNS1_11target_archE910ELNS1_3gpuE8ELNS1_3repE0EEENS1_30default_config_static_selectorELNS0_4arch9wavefront6targetE0EEEvS14_
	.p2align	8
	.type	_ZN7rocprim17ROCPRIM_400000_NS6detail17trampoline_kernelINS0_14default_configENS1_22reduce_config_selectorIN6thrust23THRUST_200600_302600_NS5tupleIblNS6_9null_typeES8_S8_S8_S8_S8_S8_S8_EEEEZNS1_11reduce_implILb1ES3_NS6_12zip_iteratorINS7_INS6_11hip_rocprim26transform_input_iterator_tIbNSD_35transform_pair_of_input_iterators_tIbNS6_6detail15normal_iteratorINS6_10device_ptrIKsEEEESL_NS6_8equal_toIsEEEENSG_9not_fun_tINSD_8identityEEEEENSD_19counting_iterator_tIlEES8_S8_S8_S8_S8_S8_S8_S8_EEEEPS9_S9_NSD_9__find_if7functorIS9_EEEE10hipError_tPvRmT1_T2_T3_mT4_P12ihipStream_tbEUlT_E1_NS1_11comp_targetILNS1_3genE4ELNS1_11target_archE910ELNS1_3gpuE8ELNS1_3repE0EEENS1_30default_config_static_selectorELNS0_4arch9wavefront6targetE0EEEvS14_,@function
_ZN7rocprim17ROCPRIM_400000_NS6detail17trampoline_kernelINS0_14default_configENS1_22reduce_config_selectorIN6thrust23THRUST_200600_302600_NS5tupleIblNS6_9null_typeES8_S8_S8_S8_S8_S8_S8_EEEEZNS1_11reduce_implILb1ES3_NS6_12zip_iteratorINS7_INS6_11hip_rocprim26transform_input_iterator_tIbNSD_35transform_pair_of_input_iterators_tIbNS6_6detail15normal_iteratorINS6_10device_ptrIKsEEEESL_NS6_8equal_toIsEEEENSG_9not_fun_tINSD_8identityEEEEENSD_19counting_iterator_tIlEES8_S8_S8_S8_S8_S8_S8_S8_EEEEPS9_S9_NSD_9__find_if7functorIS9_EEEE10hipError_tPvRmT1_T2_T3_mT4_P12ihipStream_tbEUlT_E1_NS1_11comp_targetILNS1_3genE4ELNS1_11target_archE910ELNS1_3gpuE8ELNS1_3repE0EEENS1_30default_config_static_selectorELNS0_4arch9wavefront6targetE0EEEvS14_: ; @_ZN7rocprim17ROCPRIM_400000_NS6detail17trampoline_kernelINS0_14default_configENS1_22reduce_config_selectorIN6thrust23THRUST_200600_302600_NS5tupleIblNS6_9null_typeES8_S8_S8_S8_S8_S8_S8_EEEEZNS1_11reduce_implILb1ES3_NS6_12zip_iteratorINS7_INS6_11hip_rocprim26transform_input_iterator_tIbNSD_35transform_pair_of_input_iterators_tIbNS6_6detail15normal_iteratorINS6_10device_ptrIKsEEEESL_NS6_8equal_toIsEEEENSG_9not_fun_tINSD_8identityEEEEENSD_19counting_iterator_tIlEES8_S8_S8_S8_S8_S8_S8_S8_EEEEPS9_S9_NSD_9__find_if7functorIS9_EEEE10hipError_tPvRmT1_T2_T3_mT4_P12ihipStream_tbEUlT_E1_NS1_11comp_targetILNS1_3genE4ELNS1_11target_archE910ELNS1_3gpuE8ELNS1_3repE0EEENS1_30default_config_static_selectorELNS0_4arch9wavefront6targetE0EEEvS14_
; %bb.0:
	.section	.rodata,"a",@progbits
	.p2align	6, 0x0
	.amdhsa_kernel _ZN7rocprim17ROCPRIM_400000_NS6detail17trampoline_kernelINS0_14default_configENS1_22reduce_config_selectorIN6thrust23THRUST_200600_302600_NS5tupleIblNS6_9null_typeES8_S8_S8_S8_S8_S8_S8_EEEEZNS1_11reduce_implILb1ES3_NS6_12zip_iteratorINS7_INS6_11hip_rocprim26transform_input_iterator_tIbNSD_35transform_pair_of_input_iterators_tIbNS6_6detail15normal_iteratorINS6_10device_ptrIKsEEEESL_NS6_8equal_toIsEEEENSG_9not_fun_tINSD_8identityEEEEENSD_19counting_iterator_tIlEES8_S8_S8_S8_S8_S8_S8_S8_EEEEPS9_S9_NSD_9__find_if7functorIS9_EEEE10hipError_tPvRmT1_T2_T3_mT4_P12ihipStream_tbEUlT_E1_NS1_11comp_targetILNS1_3genE4ELNS1_11target_archE910ELNS1_3gpuE8ELNS1_3repE0EEENS1_30default_config_static_selectorELNS0_4arch9wavefront6targetE0EEEvS14_
		.amdhsa_group_segment_fixed_size 0
		.amdhsa_private_segment_fixed_size 0
		.amdhsa_kernarg_size 88
		.amdhsa_user_sgpr_count 6
		.amdhsa_user_sgpr_private_segment_buffer 1
		.amdhsa_user_sgpr_dispatch_ptr 0
		.amdhsa_user_sgpr_queue_ptr 0
		.amdhsa_user_sgpr_kernarg_segment_ptr 1
		.amdhsa_user_sgpr_dispatch_id 0
		.amdhsa_user_sgpr_flat_scratch_init 0
		.amdhsa_user_sgpr_private_segment_size 0
		.amdhsa_wavefront_size32 1
		.amdhsa_uses_dynamic_stack 0
		.amdhsa_system_sgpr_private_segment_wavefront_offset 0
		.amdhsa_system_sgpr_workgroup_id_x 1
		.amdhsa_system_sgpr_workgroup_id_y 0
		.amdhsa_system_sgpr_workgroup_id_z 0
		.amdhsa_system_sgpr_workgroup_info 0
		.amdhsa_system_vgpr_workitem_id 0
		.amdhsa_next_free_vgpr 1
		.amdhsa_next_free_sgpr 1
		.amdhsa_reserve_vcc 0
		.amdhsa_reserve_flat_scratch 0
		.amdhsa_float_round_mode_32 0
		.amdhsa_float_round_mode_16_64 0
		.amdhsa_float_denorm_mode_32 3
		.amdhsa_float_denorm_mode_16_64 3
		.amdhsa_dx10_clamp 1
		.amdhsa_ieee_mode 1
		.amdhsa_fp16_overflow 0
		.amdhsa_workgroup_processor_mode 1
		.amdhsa_memory_ordered 1
		.amdhsa_forward_progress 1
		.amdhsa_shared_vgpr_count 0
		.amdhsa_exception_fp_ieee_invalid_op 0
		.amdhsa_exception_fp_denorm_src 0
		.amdhsa_exception_fp_ieee_div_zero 0
		.amdhsa_exception_fp_ieee_overflow 0
		.amdhsa_exception_fp_ieee_underflow 0
		.amdhsa_exception_fp_ieee_inexact 0
		.amdhsa_exception_int_div_zero 0
	.end_amdhsa_kernel
	.section	.text._ZN7rocprim17ROCPRIM_400000_NS6detail17trampoline_kernelINS0_14default_configENS1_22reduce_config_selectorIN6thrust23THRUST_200600_302600_NS5tupleIblNS6_9null_typeES8_S8_S8_S8_S8_S8_S8_EEEEZNS1_11reduce_implILb1ES3_NS6_12zip_iteratorINS7_INS6_11hip_rocprim26transform_input_iterator_tIbNSD_35transform_pair_of_input_iterators_tIbNS6_6detail15normal_iteratorINS6_10device_ptrIKsEEEESL_NS6_8equal_toIsEEEENSG_9not_fun_tINSD_8identityEEEEENSD_19counting_iterator_tIlEES8_S8_S8_S8_S8_S8_S8_S8_EEEEPS9_S9_NSD_9__find_if7functorIS9_EEEE10hipError_tPvRmT1_T2_T3_mT4_P12ihipStream_tbEUlT_E1_NS1_11comp_targetILNS1_3genE4ELNS1_11target_archE910ELNS1_3gpuE8ELNS1_3repE0EEENS1_30default_config_static_selectorELNS0_4arch9wavefront6targetE0EEEvS14_,"axG",@progbits,_ZN7rocprim17ROCPRIM_400000_NS6detail17trampoline_kernelINS0_14default_configENS1_22reduce_config_selectorIN6thrust23THRUST_200600_302600_NS5tupleIblNS6_9null_typeES8_S8_S8_S8_S8_S8_S8_EEEEZNS1_11reduce_implILb1ES3_NS6_12zip_iteratorINS7_INS6_11hip_rocprim26transform_input_iterator_tIbNSD_35transform_pair_of_input_iterators_tIbNS6_6detail15normal_iteratorINS6_10device_ptrIKsEEEESL_NS6_8equal_toIsEEEENSG_9not_fun_tINSD_8identityEEEEENSD_19counting_iterator_tIlEES8_S8_S8_S8_S8_S8_S8_S8_EEEEPS9_S9_NSD_9__find_if7functorIS9_EEEE10hipError_tPvRmT1_T2_T3_mT4_P12ihipStream_tbEUlT_E1_NS1_11comp_targetILNS1_3genE4ELNS1_11target_archE910ELNS1_3gpuE8ELNS1_3repE0EEENS1_30default_config_static_selectorELNS0_4arch9wavefront6targetE0EEEvS14_,comdat
.Lfunc_end309:
	.size	_ZN7rocprim17ROCPRIM_400000_NS6detail17trampoline_kernelINS0_14default_configENS1_22reduce_config_selectorIN6thrust23THRUST_200600_302600_NS5tupleIblNS6_9null_typeES8_S8_S8_S8_S8_S8_S8_EEEEZNS1_11reduce_implILb1ES3_NS6_12zip_iteratorINS7_INS6_11hip_rocprim26transform_input_iterator_tIbNSD_35transform_pair_of_input_iterators_tIbNS6_6detail15normal_iteratorINS6_10device_ptrIKsEEEESL_NS6_8equal_toIsEEEENSG_9not_fun_tINSD_8identityEEEEENSD_19counting_iterator_tIlEES8_S8_S8_S8_S8_S8_S8_S8_EEEEPS9_S9_NSD_9__find_if7functorIS9_EEEE10hipError_tPvRmT1_T2_T3_mT4_P12ihipStream_tbEUlT_E1_NS1_11comp_targetILNS1_3genE4ELNS1_11target_archE910ELNS1_3gpuE8ELNS1_3repE0EEENS1_30default_config_static_selectorELNS0_4arch9wavefront6targetE0EEEvS14_, .Lfunc_end309-_ZN7rocprim17ROCPRIM_400000_NS6detail17trampoline_kernelINS0_14default_configENS1_22reduce_config_selectorIN6thrust23THRUST_200600_302600_NS5tupleIblNS6_9null_typeES8_S8_S8_S8_S8_S8_S8_EEEEZNS1_11reduce_implILb1ES3_NS6_12zip_iteratorINS7_INS6_11hip_rocprim26transform_input_iterator_tIbNSD_35transform_pair_of_input_iterators_tIbNS6_6detail15normal_iteratorINS6_10device_ptrIKsEEEESL_NS6_8equal_toIsEEEENSG_9not_fun_tINSD_8identityEEEEENSD_19counting_iterator_tIlEES8_S8_S8_S8_S8_S8_S8_S8_EEEEPS9_S9_NSD_9__find_if7functorIS9_EEEE10hipError_tPvRmT1_T2_T3_mT4_P12ihipStream_tbEUlT_E1_NS1_11comp_targetILNS1_3genE4ELNS1_11target_archE910ELNS1_3gpuE8ELNS1_3repE0EEENS1_30default_config_static_selectorELNS0_4arch9wavefront6targetE0EEEvS14_
                                        ; -- End function
	.set _ZN7rocprim17ROCPRIM_400000_NS6detail17trampoline_kernelINS0_14default_configENS1_22reduce_config_selectorIN6thrust23THRUST_200600_302600_NS5tupleIblNS6_9null_typeES8_S8_S8_S8_S8_S8_S8_EEEEZNS1_11reduce_implILb1ES3_NS6_12zip_iteratorINS7_INS6_11hip_rocprim26transform_input_iterator_tIbNSD_35transform_pair_of_input_iterators_tIbNS6_6detail15normal_iteratorINS6_10device_ptrIKsEEEESL_NS6_8equal_toIsEEEENSG_9not_fun_tINSD_8identityEEEEENSD_19counting_iterator_tIlEES8_S8_S8_S8_S8_S8_S8_S8_EEEEPS9_S9_NSD_9__find_if7functorIS9_EEEE10hipError_tPvRmT1_T2_T3_mT4_P12ihipStream_tbEUlT_E1_NS1_11comp_targetILNS1_3genE4ELNS1_11target_archE910ELNS1_3gpuE8ELNS1_3repE0EEENS1_30default_config_static_selectorELNS0_4arch9wavefront6targetE0EEEvS14_.num_vgpr, 0
	.set _ZN7rocprim17ROCPRIM_400000_NS6detail17trampoline_kernelINS0_14default_configENS1_22reduce_config_selectorIN6thrust23THRUST_200600_302600_NS5tupleIblNS6_9null_typeES8_S8_S8_S8_S8_S8_S8_EEEEZNS1_11reduce_implILb1ES3_NS6_12zip_iteratorINS7_INS6_11hip_rocprim26transform_input_iterator_tIbNSD_35transform_pair_of_input_iterators_tIbNS6_6detail15normal_iteratorINS6_10device_ptrIKsEEEESL_NS6_8equal_toIsEEEENSG_9not_fun_tINSD_8identityEEEEENSD_19counting_iterator_tIlEES8_S8_S8_S8_S8_S8_S8_S8_EEEEPS9_S9_NSD_9__find_if7functorIS9_EEEE10hipError_tPvRmT1_T2_T3_mT4_P12ihipStream_tbEUlT_E1_NS1_11comp_targetILNS1_3genE4ELNS1_11target_archE910ELNS1_3gpuE8ELNS1_3repE0EEENS1_30default_config_static_selectorELNS0_4arch9wavefront6targetE0EEEvS14_.num_agpr, 0
	.set _ZN7rocprim17ROCPRIM_400000_NS6detail17trampoline_kernelINS0_14default_configENS1_22reduce_config_selectorIN6thrust23THRUST_200600_302600_NS5tupleIblNS6_9null_typeES8_S8_S8_S8_S8_S8_S8_EEEEZNS1_11reduce_implILb1ES3_NS6_12zip_iteratorINS7_INS6_11hip_rocprim26transform_input_iterator_tIbNSD_35transform_pair_of_input_iterators_tIbNS6_6detail15normal_iteratorINS6_10device_ptrIKsEEEESL_NS6_8equal_toIsEEEENSG_9not_fun_tINSD_8identityEEEEENSD_19counting_iterator_tIlEES8_S8_S8_S8_S8_S8_S8_S8_EEEEPS9_S9_NSD_9__find_if7functorIS9_EEEE10hipError_tPvRmT1_T2_T3_mT4_P12ihipStream_tbEUlT_E1_NS1_11comp_targetILNS1_3genE4ELNS1_11target_archE910ELNS1_3gpuE8ELNS1_3repE0EEENS1_30default_config_static_selectorELNS0_4arch9wavefront6targetE0EEEvS14_.numbered_sgpr, 0
	.set _ZN7rocprim17ROCPRIM_400000_NS6detail17trampoline_kernelINS0_14default_configENS1_22reduce_config_selectorIN6thrust23THRUST_200600_302600_NS5tupleIblNS6_9null_typeES8_S8_S8_S8_S8_S8_S8_EEEEZNS1_11reduce_implILb1ES3_NS6_12zip_iteratorINS7_INS6_11hip_rocprim26transform_input_iterator_tIbNSD_35transform_pair_of_input_iterators_tIbNS6_6detail15normal_iteratorINS6_10device_ptrIKsEEEESL_NS6_8equal_toIsEEEENSG_9not_fun_tINSD_8identityEEEEENSD_19counting_iterator_tIlEES8_S8_S8_S8_S8_S8_S8_S8_EEEEPS9_S9_NSD_9__find_if7functorIS9_EEEE10hipError_tPvRmT1_T2_T3_mT4_P12ihipStream_tbEUlT_E1_NS1_11comp_targetILNS1_3genE4ELNS1_11target_archE910ELNS1_3gpuE8ELNS1_3repE0EEENS1_30default_config_static_selectorELNS0_4arch9wavefront6targetE0EEEvS14_.num_named_barrier, 0
	.set _ZN7rocprim17ROCPRIM_400000_NS6detail17trampoline_kernelINS0_14default_configENS1_22reduce_config_selectorIN6thrust23THRUST_200600_302600_NS5tupleIblNS6_9null_typeES8_S8_S8_S8_S8_S8_S8_EEEEZNS1_11reduce_implILb1ES3_NS6_12zip_iteratorINS7_INS6_11hip_rocprim26transform_input_iterator_tIbNSD_35transform_pair_of_input_iterators_tIbNS6_6detail15normal_iteratorINS6_10device_ptrIKsEEEESL_NS6_8equal_toIsEEEENSG_9not_fun_tINSD_8identityEEEEENSD_19counting_iterator_tIlEES8_S8_S8_S8_S8_S8_S8_S8_EEEEPS9_S9_NSD_9__find_if7functorIS9_EEEE10hipError_tPvRmT1_T2_T3_mT4_P12ihipStream_tbEUlT_E1_NS1_11comp_targetILNS1_3genE4ELNS1_11target_archE910ELNS1_3gpuE8ELNS1_3repE0EEENS1_30default_config_static_selectorELNS0_4arch9wavefront6targetE0EEEvS14_.private_seg_size, 0
	.set _ZN7rocprim17ROCPRIM_400000_NS6detail17trampoline_kernelINS0_14default_configENS1_22reduce_config_selectorIN6thrust23THRUST_200600_302600_NS5tupleIblNS6_9null_typeES8_S8_S8_S8_S8_S8_S8_EEEEZNS1_11reduce_implILb1ES3_NS6_12zip_iteratorINS7_INS6_11hip_rocprim26transform_input_iterator_tIbNSD_35transform_pair_of_input_iterators_tIbNS6_6detail15normal_iteratorINS6_10device_ptrIKsEEEESL_NS6_8equal_toIsEEEENSG_9not_fun_tINSD_8identityEEEEENSD_19counting_iterator_tIlEES8_S8_S8_S8_S8_S8_S8_S8_EEEEPS9_S9_NSD_9__find_if7functorIS9_EEEE10hipError_tPvRmT1_T2_T3_mT4_P12ihipStream_tbEUlT_E1_NS1_11comp_targetILNS1_3genE4ELNS1_11target_archE910ELNS1_3gpuE8ELNS1_3repE0EEENS1_30default_config_static_selectorELNS0_4arch9wavefront6targetE0EEEvS14_.uses_vcc, 0
	.set _ZN7rocprim17ROCPRIM_400000_NS6detail17trampoline_kernelINS0_14default_configENS1_22reduce_config_selectorIN6thrust23THRUST_200600_302600_NS5tupleIblNS6_9null_typeES8_S8_S8_S8_S8_S8_S8_EEEEZNS1_11reduce_implILb1ES3_NS6_12zip_iteratorINS7_INS6_11hip_rocprim26transform_input_iterator_tIbNSD_35transform_pair_of_input_iterators_tIbNS6_6detail15normal_iteratorINS6_10device_ptrIKsEEEESL_NS6_8equal_toIsEEEENSG_9not_fun_tINSD_8identityEEEEENSD_19counting_iterator_tIlEES8_S8_S8_S8_S8_S8_S8_S8_EEEEPS9_S9_NSD_9__find_if7functorIS9_EEEE10hipError_tPvRmT1_T2_T3_mT4_P12ihipStream_tbEUlT_E1_NS1_11comp_targetILNS1_3genE4ELNS1_11target_archE910ELNS1_3gpuE8ELNS1_3repE0EEENS1_30default_config_static_selectorELNS0_4arch9wavefront6targetE0EEEvS14_.uses_flat_scratch, 0
	.set _ZN7rocprim17ROCPRIM_400000_NS6detail17trampoline_kernelINS0_14default_configENS1_22reduce_config_selectorIN6thrust23THRUST_200600_302600_NS5tupleIblNS6_9null_typeES8_S8_S8_S8_S8_S8_S8_EEEEZNS1_11reduce_implILb1ES3_NS6_12zip_iteratorINS7_INS6_11hip_rocprim26transform_input_iterator_tIbNSD_35transform_pair_of_input_iterators_tIbNS6_6detail15normal_iteratorINS6_10device_ptrIKsEEEESL_NS6_8equal_toIsEEEENSG_9not_fun_tINSD_8identityEEEEENSD_19counting_iterator_tIlEES8_S8_S8_S8_S8_S8_S8_S8_EEEEPS9_S9_NSD_9__find_if7functorIS9_EEEE10hipError_tPvRmT1_T2_T3_mT4_P12ihipStream_tbEUlT_E1_NS1_11comp_targetILNS1_3genE4ELNS1_11target_archE910ELNS1_3gpuE8ELNS1_3repE0EEENS1_30default_config_static_selectorELNS0_4arch9wavefront6targetE0EEEvS14_.has_dyn_sized_stack, 0
	.set _ZN7rocprim17ROCPRIM_400000_NS6detail17trampoline_kernelINS0_14default_configENS1_22reduce_config_selectorIN6thrust23THRUST_200600_302600_NS5tupleIblNS6_9null_typeES8_S8_S8_S8_S8_S8_S8_EEEEZNS1_11reduce_implILb1ES3_NS6_12zip_iteratorINS7_INS6_11hip_rocprim26transform_input_iterator_tIbNSD_35transform_pair_of_input_iterators_tIbNS6_6detail15normal_iteratorINS6_10device_ptrIKsEEEESL_NS6_8equal_toIsEEEENSG_9not_fun_tINSD_8identityEEEEENSD_19counting_iterator_tIlEES8_S8_S8_S8_S8_S8_S8_S8_EEEEPS9_S9_NSD_9__find_if7functorIS9_EEEE10hipError_tPvRmT1_T2_T3_mT4_P12ihipStream_tbEUlT_E1_NS1_11comp_targetILNS1_3genE4ELNS1_11target_archE910ELNS1_3gpuE8ELNS1_3repE0EEENS1_30default_config_static_selectorELNS0_4arch9wavefront6targetE0EEEvS14_.has_recursion, 0
	.set _ZN7rocprim17ROCPRIM_400000_NS6detail17trampoline_kernelINS0_14default_configENS1_22reduce_config_selectorIN6thrust23THRUST_200600_302600_NS5tupleIblNS6_9null_typeES8_S8_S8_S8_S8_S8_S8_EEEEZNS1_11reduce_implILb1ES3_NS6_12zip_iteratorINS7_INS6_11hip_rocprim26transform_input_iterator_tIbNSD_35transform_pair_of_input_iterators_tIbNS6_6detail15normal_iteratorINS6_10device_ptrIKsEEEESL_NS6_8equal_toIsEEEENSG_9not_fun_tINSD_8identityEEEEENSD_19counting_iterator_tIlEES8_S8_S8_S8_S8_S8_S8_S8_EEEEPS9_S9_NSD_9__find_if7functorIS9_EEEE10hipError_tPvRmT1_T2_T3_mT4_P12ihipStream_tbEUlT_E1_NS1_11comp_targetILNS1_3genE4ELNS1_11target_archE910ELNS1_3gpuE8ELNS1_3repE0EEENS1_30default_config_static_selectorELNS0_4arch9wavefront6targetE0EEEvS14_.has_indirect_call, 0
	.section	.AMDGPU.csdata,"",@progbits
; Kernel info:
; codeLenInByte = 0
; TotalNumSgprs: 0
; NumVgprs: 0
; ScratchSize: 0
; MemoryBound: 0
; FloatMode: 240
; IeeeMode: 1
; LDSByteSize: 0 bytes/workgroup (compile time only)
; SGPRBlocks: 0
; VGPRBlocks: 0
; NumSGPRsForWavesPerEU: 1
; NumVGPRsForWavesPerEU: 1
; Occupancy: 16
; WaveLimiterHint : 0
; COMPUTE_PGM_RSRC2:SCRATCH_EN: 0
; COMPUTE_PGM_RSRC2:USER_SGPR: 6
; COMPUTE_PGM_RSRC2:TRAP_HANDLER: 0
; COMPUTE_PGM_RSRC2:TGID_X_EN: 1
; COMPUTE_PGM_RSRC2:TGID_Y_EN: 0
; COMPUTE_PGM_RSRC2:TGID_Z_EN: 0
; COMPUTE_PGM_RSRC2:TIDIG_COMP_CNT: 0
	.section	.text._ZN7rocprim17ROCPRIM_400000_NS6detail17trampoline_kernelINS0_14default_configENS1_22reduce_config_selectorIN6thrust23THRUST_200600_302600_NS5tupleIblNS6_9null_typeES8_S8_S8_S8_S8_S8_S8_EEEEZNS1_11reduce_implILb1ES3_NS6_12zip_iteratorINS7_INS6_11hip_rocprim26transform_input_iterator_tIbNSD_35transform_pair_of_input_iterators_tIbNS6_6detail15normal_iteratorINS6_10device_ptrIKsEEEESL_NS6_8equal_toIsEEEENSG_9not_fun_tINSD_8identityEEEEENSD_19counting_iterator_tIlEES8_S8_S8_S8_S8_S8_S8_S8_EEEEPS9_S9_NSD_9__find_if7functorIS9_EEEE10hipError_tPvRmT1_T2_T3_mT4_P12ihipStream_tbEUlT_E1_NS1_11comp_targetILNS1_3genE3ELNS1_11target_archE908ELNS1_3gpuE7ELNS1_3repE0EEENS1_30default_config_static_selectorELNS0_4arch9wavefront6targetE0EEEvS14_,"axG",@progbits,_ZN7rocprim17ROCPRIM_400000_NS6detail17trampoline_kernelINS0_14default_configENS1_22reduce_config_selectorIN6thrust23THRUST_200600_302600_NS5tupleIblNS6_9null_typeES8_S8_S8_S8_S8_S8_S8_EEEEZNS1_11reduce_implILb1ES3_NS6_12zip_iteratorINS7_INS6_11hip_rocprim26transform_input_iterator_tIbNSD_35transform_pair_of_input_iterators_tIbNS6_6detail15normal_iteratorINS6_10device_ptrIKsEEEESL_NS6_8equal_toIsEEEENSG_9not_fun_tINSD_8identityEEEEENSD_19counting_iterator_tIlEES8_S8_S8_S8_S8_S8_S8_S8_EEEEPS9_S9_NSD_9__find_if7functorIS9_EEEE10hipError_tPvRmT1_T2_T3_mT4_P12ihipStream_tbEUlT_E1_NS1_11comp_targetILNS1_3genE3ELNS1_11target_archE908ELNS1_3gpuE7ELNS1_3repE0EEENS1_30default_config_static_selectorELNS0_4arch9wavefront6targetE0EEEvS14_,comdat
	.protected	_ZN7rocprim17ROCPRIM_400000_NS6detail17trampoline_kernelINS0_14default_configENS1_22reduce_config_selectorIN6thrust23THRUST_200600_302600_NS5tupleIblNS6_9null_typeES8_S8_S8_S8_S8_S8_S8_EEEEZNS1_11reduce_implILb1ES3_NS6_12zip_iteratorINS7_INS6_11hip_rocprim26transform_input_iterator_tIbNSD_35transform_pair_of_input_iterators_tIbNS6_6detail15normal_iteratorINS6_10device_ptrIKsEEEESL_NS6_8equal_toIsEEEENSG_9not_fun_tINSD_8identityEEEEENSD_19counting_iterator_tIlEES8_S8_S8_S8_S8_S8_S8_S8_EEEEPS9_S9_NSD_9__find_if7functorIS9_EEEE10hipError_tPvRmT1_T2_T3_mT4_P12ihipStream_tbEUlT_E1_NS1_11comp_targetILNS1_3genE3ELNS1_11target_archE908ELNS1_3gpuE7ELNS1_3repE0EEENS1_30default_config_static_selectorELNS0_4arch9wavefront6targetE0EEEvS14_ ; -- Begin function _ZN7rocprim17ROCPRIM_400000_NS6detail17trampoline_kernelINS0_14default_configENS1_22reduce_config_selectorIN6thrust23THRUST_200600_302600_NS5tupleIblNS6_9null_typeES8_S8_S8_S8_S8_S8_S8_EEEEZNS1_11reduce_implILb1ES3_NS6_12zip_iteratorINS7_INS6_11hip_rocprim26transform_input_iterator_tIbNSD_35transform_pair_of_input_iterators_tIbNS6_6detail15normal_iteratorINS6_10device_ptrIKsEEEESL_NS6_8equal_toIsEEEENSG_9not_fun_tINSD_8identityEEEEENSD_19counting_iterator_tIlEES8_S8_S8_S8_S8_S8_S8_S8_EEEEPS9_S9_NSD_9__find_if7functorIS9_EEEE10hipError_tPvRmT1_T2_T3_mT4_P12ihipStream_tbEUlT_E1_NS1_11comp_targetILNS1_3genE3ELNS1_11target_archE908ELNS1_3gpuE7ELNS1_3repE0EEENS1_30default_config_static_selectorELNS0_4arch9wavefront6targetE0EEEvS14_
	.globl	_ZN7rocprim17ROCPRIM_400000_NS6detail17trampoline_kernelINS0_14default_configENS1_22reduce_config_selectorIN6thrust23THRUST_200600_302600_NS5tupleIblNS6_9null_typeES8_S8_S8_S8_S8_S8_S8_EEEEZNS1_11reduce_implILb1ES3_NS6_12zip_iteratorINS7_INS6_11hip_rocprim26transform_input_iterator_tIbNSD_35transform_pair_of_input_iterators_tIbNS6_6detail15normal_iteratorINS6_10device_ptrIKsEEEESL_NS6_8equal_toIsEEEENSG_9not_fun_tINSD_8identityEEEEENSD_19counting_iterator_tIlEES8_S8_S8_S8_S8_S8_S8_S8_EEEEPS9_S9_NSD_9__find_if7functorIS9_EEEE10hipError_tPvRmT1_T2_T3_mT4_P12ihipStream_tbEUlT_E1_NS1_11comp_targetILNS1_3genE3ELNS1_11target_archE908ELNS1_3gpuE7ELNS1_3repE0EEENS1_30default_config_static_selectorELNS0_4arch9wavefront6targetE0EEEvS14_
	.p2align	8
	.type	_ZN7rocprim17ROCPRIM_400000_NS6detail17trampoline_kernelINS0_14default_configENS1_22reduce_config_selectorIN6thrust23THRUST_200600_302600_NS5tupleIblNS6_9null_typeES8_S8_S8_S8_S8_S8_S8_EEEEZNS1_11reduce_implILb1ES3_NS6_12zip_iteratorINS7_INS6_11hip_rocprim26transform_input_iterator_tIbNSD_35transform_pair_of_input_iterators_tIbNS6_6detail15normal_iteratorINS6_10device_ptrIKsEEEESL_NS6_8equal_toIsEEEENSG_9not_fun_tINSD_8identityEEEEENSD_19counting_iterator_tIlEES8_S8_S8_S8_S8_S8_S8_S8_EEEEPS9_S9_NSD_9__find_if7functorIS9_EEEE10hipError_tPvRmT1_T2_T3_mT4_P12ihipStream_tbEUlT_E1_NS1_11comp_targetILNS1_3genE3ELNS1_11target_archE908ELNS1_3gpuE7ELNS1_3repE0EEENS1_30default_config_static_selectorELNS0_4arch9wavefront6targetE0EEEvS14_,@function
_ZN7rocprim17ROCPRIM_400000_NS6detail17trampoline_kernelINS0_14default_configENS1_22reduce_config_selectorIN6thrust23THRUST_200600_302600_NS5tupleIblNS6_9null_typeES8_S8_S8_S8_S8_S8_S8_EEEEZNS1_11reduce_implILb1ES3_NS6_12zip_iteratorINS7_INS6_11hip_rocprim26transform_input_iterator_tIbNSD_35transform_pair_of_input_iterators_tIbNS6_6detail15normal_iteratorINS6_10device_ptrIKsEEEESL_NS6_8equal_toIsEEEENSG_9not_fun_tINSD_8identityEEEEENSD_19counting_iterator_tIlEES8_S8_S8_S8_S8_S8_S8_S8_EEEEPS9_S9_NSD_9__find_if7functorIS9_EEEE10hipError_tPvRmT1_T2_T3_mT4_P12ihipStream_tbEUlT_E1_NS1_11comp_targetILNS1_3genE3ELNS1_11target_archE908ELNS1_3gpuE7ELNS1_3repE0EEENS1_30default_config_static_selectorELNS0_4arch9wavefront6targetE0EEEvS14_: ; @_ZN7rocprim17ROCPRIM_400000_NS6detail17trampoline_kernelINS0_14default_configENS1_22reduce_config_selectorIN6thrust23THRUST_200600_302600_NS5tupleIblNS6_9null_typeES8_S8_S8_S8_S8_S8_S8_EEEEZNS1_11reduce_implILb1ES3_NS6_12zip_iteratorINS7_INS6_11hip_rocprim26transform_input_iterator_tIbNSD_35transform_pair_of_input_iterators_tIbNS6_6detail15normal_iteratorINS6_10device_ptrIKsEEEESL_NS6_8equal_toIsEEEENSG_9not_fun_tINSD_8identityEEEEENSD_19counting_iterator_tIlEES8_S8_S8_S8_S8_S8_S8_S8_EEEEPS9_S9_NSD_9__find_if7functorIS9_EEEE10hipError_tPvRmT1_T2_T3_mT4_P12ihipStream_tbEUlT_E1_NS1_11comp_targetILNS1_3genE3ELNS1_11target_archE908ELNS1_3gpuE7ELNS1_3repE0EEENS1_30default_config_static_selectorELNS0_4arch9wavefront6targetE0EEEvS14_
; %bb.0:
	.section	.rodata,"a",@progbits
	.p2align	6, 0x0
	.amdhsa_kernel _ZN7rocprim17ROCPRIM_400000_NS6detail17trampoline_kernelINS0_14default_configENS1_22reduce_config_selectorIN6thrust23THRUST_200600_302600_NS5tupleIblNS6_9null_typeES8_S8_S8_S8_S8_S8_S8_EEEEZNS1_11reduce_implILb1ES3_NS6_12zip_iteratorINS7_INS6_11hip_rocprim26transform_input_iterator_tIbNSD_35transform_pair_of_input_iterators_tIbNS6_6detail15normal_iteratorINS6_10device_ptrIKsEEEESL_NS6_8equal_toIsEEEENSG_9not_fun_tINSD_8identityEEEEENSD_19counting_iterator_tIlEES8_S8_S8_S8_S8_S8_S8_S8_EEEEPS9_S9_NSD_9__find_if7functorIS9_EEEE10hipError_tPvRmT1_T2_T3_mT4_P12ihipStream_tbEUlT_E1_NS1_11comp_targetILNS1_3genE3ELNS1_11target_archE908ELNS1_3gpuE7ELNS1_3repE0EEENS1_30default_config_static_selectorELNS0_4arch9wavefront6targetE0EEEvS14_
		.amdhsa_group_segment_fixed_size 0
		.amdhsa_private_segment_fixed_size 0
		.amdhsa_kernarg_size 88
		.amdhsa_user_sgpr_count 6
		.amdhsa_user_sgpr_private_segment_buffer 1
		.amdhsa_user_sgpr_dispatch_ptr 0
		.amdhsa_user_sgpr_queue_ptr 0
		.amdhsa_user_sgpr_kernarg_segment_ptr 1
		.amdhsa_user_sgpr_dispatch_id 0
		.amdhsa_user_sgpr_flat_scratch_init 0
		.amdhsa_user_sgpr_private_segment_size 0
		.amdhsa_wavefront_size32 1
		.amdhsa_uses_dynamic_stack 0
		.amdhsa_system_sgpr_private_segment_wavefront_offset 0
		.amdhsa_system_sgpr_workgroup_id_x 1
		.amdhsa_system_sgpr_workgroup_id_y 0
		.amdhsa_system_sgpr_workgroup_id_z 0
		.amdhsa_system_sgpr_workgroup_info 0
		.amdhsa_system_vgpr_workitem_id 0
		.amdhsa_next_free_vgpr 1
		.amdhsa_next_free_sgpr 1
		.amdhsa_reserve_vcc 0
		.amdhsa_reserve_flat_scratch 0
		.amdhsa_float_round_mode_32 0
		.amdhsa_float_round_mode_16_64 0
		.amdhsa_float_denorm_mode_32 3
		.amdhsa_float_denorm_mode_16_64 3
		.amdhsa_dx10_clamp 1
		.amdhsa_ieee_mode 1
		.amdhsa_fp16_overflow 0
		.amdhsa_workgroup_processor_mode 1
		.amdhsa_memory_ordered 1
		.amdhsa_forward_progress 1
		.amdhsa_shared_vgpr_count 0
		.amdhsa_exception_fp_ieee_invalid_op 0
		.amdhsa_exception_fp_denorm_src 0
		.amdhsa_exception_fp_ieee_div_zero 0
		.amdhsa_exception_fp_ieee_overflow 0
		.amdhsa_exception_fp_ieee_underflow 0
		.amdhsa_exception_fp_ieee_inexact 0
		.amdhsa_exception_int_div_zero 0
	.end_amdhsa_kernel
	.section	.text._ZN7rocprim17ROCPRIM_400000_NS6detail17trampoline_kernelINS0_14default_configENS1_22reduce_config_selectorIN6thrust23THRUST_200600_302600_NS5tupleIblNS6_9null_typeES8_S8_S8_S8_S8_S8_S8_EEEEZNS1_11reduce_implILb1ES3_NS6_12zip_iteratorINS7_INS6_11hip_rocprim26transform_input_iterator_tIbNSD_35transform_pair_of_input_iterators_tIbNS6_6detail15normal_iteratorINS6_10device_ptrIKsEEEESL_NS6_8equal_toIsEEEENSG_9not_fun_tINSD_8identityEEEEENSD_19counting_iterator_tIlEES8_S8_S8_S8_S8_S8_S8_S8_EEEEPS9_S9_NSD_9__find_if7functorIS9_EEEE10hipError_tPvRmT1_T2_T3_mT4_P12ihipStream_tbEUlT_E1_NS1_11comp_targetILNS1_3genE3ELNS1_11target_archE908ELNS1_3gpuE7ELNS1_3repE0EEENS1_30default_config_static_selectorELNS0_4arch9wavefront6targetE0EEEvS14_,"axG",@progbits,_ZN7rocprim17ROCPRIM_400000_NS6detail17trampoline_kernelINS0_14default_configENS1_22reduce_config_selectorIN6thrust23THRUST_200600_302600_NS5tupleIblNS6_9null_typeES8_S8_S8_S8_S8_S8_S8_EEEEZNS1_11reduce_implILb1ES3_NS6_12zip_iteratorINS7_INS6_11hip_rocprim26transform_input_iterator_tIbNSD_35transform_pair_of_input_iterators_tIbNS6_6detail15normal_iteratorINS6_10device_ptrIKsEEEESL_NS6_8equal_toIsEEEENSG_9not_fun_tINSD_8identityEEEEENSD_19counting_iterator_tIlEES8_S8_S8_S8_S8_S8_S8_S8_EEEEPS9_S9_NSD_9__find_if7functorIS9_EEEE10hipError_tPvRmT1_T2_T3_mT4_P12ihipStream_tbEUlT_E1_NS1_11comp_targetILNS1_3genE3ELNS1_11target_archE908ELNS1_3gpuE7ELNS1_3repE0EEENS1_30default_config_static_selectorELNS0_4arch9wavefront6targetE0EEEvS14_,comdat
.Lfunc_end310:
	.size	_ZN7rocprim17ROCPRIM_400000_NS6detail17trampoline_kernelINS0_14default_configENS1_22reduce_config_selectorIN6thrust23THRUST_200600_302600_NS5tupleIblNS6_9null_typeES8_S8_S8_S8_S8_S8_S8_EEEEZNS1_11reduce_implILb1ES3_NS6_12zip_iteratorINS7_INS6_11hip_rocprim26transform_input_iterator_tIbNSD_35transform_pair_of_input_iterators_tIbNS6_6detail15normal_iteratorINS6_10device_ptrIKsEEEESL_NS6_8equal_toIsEEEENSG_9not_fun_tINSD_8identityEEEEENSD_19counting_iterator_tIlEES8_S8_S8_S8_S8_S8_S8_S8_EEEEPS9_S9_NSD_9__find_if7functorIS9_EEEE10hipError_tPvRmT1_T2_T3_mT4_P12ihipStream_tbEUlT_E1_NS1_11comp_targetILNS1_3genE3ELNS1_11target_archE908ELNS1_3gpuE7ELNS1_3repE0EEENS1_30default_config_static_selectorELNS0_4arch9wavefront6targetE0EEEvS14_, .Lfunc_end310-_ZN7rocprim17ROCPRIM_400000_NS6detail17trampoline_kernelINS0_14default_configENS1_22reduce_config_selectorIN6thrust23THRUST_200600_302600_NS5tupleIblNS6_9null_typeES8_S8_S8_S8_S8_S8_S8_EEEEZNS1_11reduce_implILb1ES3_NS6_12zip_iteratorINS7_INS6_11hip_rocprim26transform_input_iterator_tIbNSD_35transform_pair_of_input_iterators_tIbNS6_6detail15normal_iteratorINS6_10device_ptrIKsEEEESL_NS6_8equal_toIsEEEENSG_9not_fun_tINSD_8identityEEEEENSD_19counting_iterator_tIlEES8_S8_S8_S8_S8_S8_S8_S8_EEEEPS9_S9_NSD_9__find_if7functorIS9_EEEE10hipError_tPvRmT1_T2_T3_mT4_P12ihipStream_tbEUlT_E1_NS1_11comp_targetILNS1_3genE3ELNS1_11target_archE908ELNS1_3gpuE7ELNS1_3repE0EEENS1_30default_config_static_selectorELNS0_4arch9wavefront6targetE0EEEvS14_
                                        ; -- End function
	.set _ZN7rocprim17ROCPRIM_400000_NS6detail17trampoline_kernelINS0_14default_configENS1_22reduce_config_selectorIN6thrust23THRUST_200600_302600_NS5tupleIblNS6_9null_typeES8_S8_S8_S8_S8_S8_S8_EEEEZNS1_11reduce_implILb1ES3_NS6_12zip_iteratorINS7_INS6_11hip_rocprim26transform_input_iterator_tIbNSD_35transform_pair_of_input_iterators_tIbNS6_6detail15normal_iteratorINS6_10device_ptrIKsEEEESL_NS6_8equal_toIsEEEENSG_9not_fun_tINSD_8identityEEEEENSD_19counting_iterator_tIlEES8_S8_S8_S8_S8_S8_S8_S8_EEEEPS9_S9_NSD_9__find_if7functorIS9_EEEE10hipError_tPvRmT1_T2_T3_mT4_P12ihipStream_tbEUlT_E1_NS1_11comp_targetILNS1_3genE3ELNS1_11target_archE908ELNS1_3gpuE7ELNS1_3repE0EEENS1_30default_config_static_selectorELNS0_4arch9wavefront6targetE0EEEvS14_.num_vgpr, 0
	.set _ZN7rocprim17ROCPRIM_400000_NS6detail17trampoline_kernelINS0_14default_configENS1_22reduce_config_selectorIN6thrust23THRUST_200600_302600_NS5tupleIblNS6_9null_typeES8_S8_S8_S8_S8_S8_S8_EEEEZNS1_11reduce_implILb1ES3_NS6_12zip_iteratorINS7_INS6_11hip_rocprim26transform_input_iterator_tIbNSD_35transform_pair_of_input_iterators_tIbNS6_6detail15normal_iteratorINS6_10device_ptrIKsEEEESL_NS6_8equal_toIsEEEENSG_9not_fun_tINSD_8identityEEEEENSD_19counting_iterator_tIlEES8_S8_S8_S8_S8_S8_S8_S8_EEEEPS9_S9_NSD_9__find_if7functorIS9_EEEE10hipError_tPvRmT1_T2_T3_mT4_P12ihipStream_tbEUlT_E1_NS1_11comp_targetILNS1_3genE3ELNS1_11target_archE908ELNS1_3gpuE7ELNS1_3repE0EEENS1_30default_config_static_selectorELNS0_4arch9wavefront6targetE0EEEvS14_.num_agpr, 0
	.set _ZN7rocprim17ROCPRIM_400000_NS6detail17trampoline_kernelINS0_14default_configENS1_22reduce_config_selectorIN6thrust23THRUST_200600_302600_NS5tupleIblNS6_9null_typeES8_S8_S8_S8_S8_S8_S8_EEEEZNS1_11reduce_implILb1ES3_NS6_12zip_iteratorINS7_INS6_11hip_rocprim26transform_input_iterator_tIbNSD_35transform_pair_of_input_iterators_tIbNS6_6detail15normal_iteratorINS6_10device_ptrIKsEEEESL_NS6_8equal_toIsEEEENSG_9not_fun_tINSD_8identityEEEEENSD_19counting_iterator_tIlEES8_S8_S8_S8_S8_S8_S8_S8_EEEEPS9_S9_NSD_9__find_if7functorIS9_EEEE10hipError_tPvRmT1_T2_T3_mT4_P12ihipStream_tbEUlT_E1_NS1_11comp_targetILNS1_3genE3ELNS1_11target_archE908ELNS1_3gpuE7ELNS1_3repE0EEENS1_30default_config_static_selectorELNS0_4arch9wavefront6targetE0EEEvS14_.numbered_sgpr, 0
	.set _ZN7rocprim17ROCPRIM_400000_NS6detail17trampoline_kernelINS0_14default_configENS1_22reduce_config_selectorIN6thrust23THRUST_200600_302600_NS5tupleIblNS6_9null_typeES8_S8_S8_S8_S8_S8_S8_EEEEZNS1_11reduce_implILb1ES3_NS6_12zip_iteratorINS7_INS6_11hip_rocprim26transform_input_iterator_tIbNSD_35transform_pair_of_input_iterators_tIbNS6_6detail15normal_iteratorINS6_10device_ptrIKsEEEESL_NS6_8equal_toIsEEEENSG_9not_fun_tINSD_8identityEEEEENSD_19counting_iterator_tIlEES8_S8_S8_S8_S8_S8_S8_S8_EEEEPS9_S9_NSD_9__find_if7functorIS9_EEEE10hipError_tPvRmT1_T2_T3_mT4_P12ihipStream_tbEUlT_E1_NS1_11comp_targetILNS1_3genE3ELNS1_11target_archE908ELNS1_3gpuE7ELNS1_3repE0EEENS1_30default_config_static_selectorELNS0_4arch9wavefront6targetE0EEEvS14_.num_named_barrier, 0
	.set _ZN7rocprim17ROCPRIM_400000_NS6detail17trampoline_kernelINS0_14default_configENS1_22reduce_config_selectorIN6thrust23THRUST_200600_302600_NS5tupleIblNS6_9null_typeES8_S8_S8_S8_S8_S8_S8_EEEEZNS1_11reduce_implILb1ES3_NS6_12zip_iteratorINS7_INS6_11hip_rocprim26transform_input_iterator_tIbNSD_35transform_pair_of_input_iterators_tIbNS6_6detail15normal_iteratorINS6_10device_ptrIKsEEEESL_NS6_8equal_toIsEEEENSG_9not_fun_tINSD_8identityEEEEENSD_19counting_iterator_tIlEES8_S8_S8_S8_S8_S8_S8_S8_EEEEPS9_S9_NSD_9__find_if7functorIS9_EEEE10hipError_tPvRmT1_T2_T3_mT4_P12ihipStream_tbEUlT_E1_NS1_11comp_targetILNS1_3genE3ELNS1_11target_archE908ELNS1_3gpuE7ELNS1_3repE0EEENS1_30default_config_static_selectorELNS0_4arch9wavefront6targetE0EEEvS14_.private_seg_size, 0
	.set _ZN7rocprim17ROCPRIM_400000_NS6detail17trampoline_kernelINS0_14default_configENS1_22reduce_config_selectorIN6thrust23THRUST_200600_302600_NS5tupleIblNS6_9null_typeES8_S8_S8_S8_S8_S8_S8_EEEEZNS1_11reduce_implILb1ES3_NS6_12zip_iteratorINS7_INS6_11hip_rocprim26transform_input_iterator_tIbNSD_35transform_pair_of_input_iterators_tIbNS6_6detail15normal_iteratorINS6_10device_ptrIKsEEEESL_NS6_8equal_toIsEEEENSG_9not_fun_tINSD_8identityEEEEENSD_19counting_iterator_tIlEES8_S8_S8_S8_S8_S8_S8_S8_EEEEPS9_S9_NSD_9__find_if7functorIS9_EEEE10hipError_tPvRmT1_T2_T3_mT4_P12ihipStream_tbEUlT_E1_NS1_11comp_targetILNS1_3genE3ELNS1_11target_archE908ELNS1_3gpuE7ELNS1_3repE0EEENS1_30default_config_static_selectorELNS0_4arch9wavefront6targetE0EEEvS14_.uses_vcc, 0
	.set _ZN7rocprim17ROCPRIM_400000_NS6detail17trampoline_kernelINS0_14default_configENS1_22reduce_config_selectorIN6thrust23THRUST_200600_302600_NS5tupleIblNS6_9null_typeES8_S8_S8_S8_S8_S8_S8_EEEEZNS1_11reduce_implILb1ES3_NS6_12zip_iteratorINS7_INS6_11hip_rocprim26transform_input_iterator_tIbNSD_35transform_pair_of_input_iterators_tIbNS6_6detail15normal_iteratorINS6_10device_ptrIKsEEEESL_NS6_8equal_toIsEEEENSG_9not_fun_tINSD_8identityEEEEENSD_19counting_iterator_tIlEES8_S8_S8_S8_S8_S8_S8_S8_EEEEPS9_S9_NSD_9__find_if7functorIS9_EEEE10hipError_tPvRmT1_T2_T3_mT4_P12ihipStream_tbEUlT_E1_NS1_11comp_targetILNS1_3genE3ELNS1_11target_archE908ELNS1_3gpuE7ELNS1_3repE0EEENS1_30default_config_static_selectorELNS0_4arch9wavefront6targetE0EEEvS14_.uses_flat_scratch, 0
	.set _ZN7rocprim17ROCPRIM_400000_NS6detail17trampoline_kernelINS0_14default_configENS1_22reduce_config_selectorIN6thrust23THRUST_200600_302600_NS5tupleIblNS6_9null_typeES8_S8_S8_S8_S8_S8_S8_EEEEZNS1_11reduce_implILb1ES3_NS6_12zip_iteratorINS7_INS6_11hip_rocprim26transform_input_iterator_tIbNSD_35transform_pair_of_input_iterators_tIbNS6_6detail15normal_iteratorINS6_10device_ptrIKsEEEESL_NS6_8equal_toIsEEEENSG_9not_fun_tINSD_8identityEEEEENSD_19counting_iterator_tIlEES8_S8_S8_S8_S8_S8_S8_S8_EEEEPS9_S9_NSD_9__find_if7functorIS9_EEEE10hipError_tPvRmT1_T2_T3_mT4_P12ihipStream_tbEUlT_E1_NS1_11comp_targetILNS1_3genE3ELNS1_11target_archE908ELNS1_3gpuE7ELNS1_3repE0EEENS1_30default_config_static_selectorELNS0_4arch9wavefront6targetE0EEEvS14_.has_dyn_sized_stack, 0
	.set _ZN7rocprim17ROCPRIM_400000_NS6detail17trampoline_kernelINS0_14default_configENS1_22reduce_config_selectorIN6thrust23THRUST_200600_302600_NS5tupleIblNS6_9null_typeES8_S8_S8_S8_S8_S8_S8_EEEEZNS1_11reduce_implILb1ES3_NS6_12zip_iteratorINS7_INS6_11hip_rocprim26transform_input_iterator_tIbNSD_35transform_pair_of_input_iterators_tIbNS6_6detail15normal_iteratorINS6_10device_ptrIKsEEEESL_NS6_8equal_toIsEEEENSG_9not_fun_tINSD_8identityEEEEENSD_19counting_iterator_tIlEES8_S8_S8_S8_S8_S8_S8_S8_EEEEPS9_S9_NSD_9__find_if7functorIS9_EEEE10hipError_tPvRmT1_T2_T3_mT4_P12ihipStream_tbEUlT_E1_NS1_11comp_targetILNS1_3genE3ELNS1_11target_archE908ELNS1_3gpuE7ELNS1_3repE0EEENS1_30default_config_static_selectorELNS0_4arch9wavefront6targetE0EEEvS14_.has_recursion, 0
	.set _ZN7rocprim17ROCPRIM_400000_NS6detail17trampoline_kernelINS0_14default_configENS1_22reduce_config_selectorIN6thrust23THRUST_200600_302600_NS5tupleIblNS6_9null_typeES8_S8_S8_S8_S8_S8_S8_EEEEZNS1_11reduce_implILb1ES3_NS6_12zip_iteratorINS7_INS6_11hip_rocprim26transform_input_iterator_tIbNSD_35transform_pair_of_input_iterators_tIbNS6_6detail15normal_iteratorINS6_10device_ptrIKsEEEESL_NS6_8equal_toIsEEEENSG_9not_fun_tINSD_8identityEEEEENSD_19counting_iterator_tIlEES8_S8_S8_S8_S8_S8_S8_S8_EEEEPS9_S9_NSD_9__find_if7functorIS9_EEEE10hipError_tPvRmT1_T2_T3_mT4_P12ihipStream_tbEUlT_E1_NS1_11comp_targetILNS1_3genE3ELNS1_11target_archE908ELNS1_3gpuE7ELNS1_3repE0EEENS1_30default_config_static_selectorELNS0_4arch9wavefront6targetE0EEEvS14_.has_indirect_call, 0
	.section	.AMDGPU.csdata,"",@progbits
; Kernel info:
; codeLenInByte = 0
; TotalNumSgprs: 0
; NumVgprs: 0
; ScratchSize: 0
; MemoryBound: 0
; FloatMode: 240
; IeeeMode: 1
; LDSByteSize: 0 bytes/workgroup (compile time only)
; SGPRBlocks: 0
; VGPRBlocks: 0
; NumSGPRsForWavesPerEU: 1
; NumVGPRsForWavesPerEU: 1
; Occupancy: 16
; WaveLimiterHint : 0
; COMPUTE_PGM_RSRC2:SCRATCH_EN: 0
; COMPUTE_PGM_RSRC2:USER_SGPR: 6
; COMPUTE_PGM_RSRC2:TRAP_HANDLER: 0
; COMPUTE_PGM_RSRC2:TGID_X_EN: 1
; COMPUTE_PGM_RSRC2:TGID_Y_EN: 0
; COMPUTE_PGM_RSRC2:TGID_Z_EN: 0
; COMPUTE_PGM_RSRC2:TIDIG_COMP_CNT: 0
	.section	.text._ZN7rocprim17ROCPRIM_400000_NS6detail17trampoline_kernelINS0_14default_configENS1_22reduce_config_selectorIN6thrust23THRUST_200600_302600_NS5tupleIblNS6_9null_typeES8_S8_S8_S8_S8_S8_S8_EEEEZNS1_11reduce_implILb1ES3_NS6_12zip_iteratorINS7_INS6_11hip_rocprim26transform_input_iterator_tIbNSD_35transform_pair_of_input_iterators_tIbNS6_6detail15normal_iteratorINS6_10device_ptrIKsEEEESL_NS6_8equal_toIsEEEENSG_9not_fun_tINSD_8identityEEEEENSD_19counting_iterator_tIlEES8_S8_S8_S8_S8_S8_S8_S8_EEEEPS9_S9_NSD_9__find_if7functorIS9_EEEE10hipError_tPvRmT1_T2_T3_mT4_P12ihipStream_tbEUlT_E1_NS1_11comp_targetILNS1_3genE2ELNS1_11target_archE906ELNS1_3gpuE6ELNS1_3repE0EEENS1_30default_config_static_selectorELNS0_4arch9wavefront6targetE0EEEvS14_,"axG",@progbits,_ZN7rocprim17ROCPRIM_400000_NS6detail17trampoline_kernelINS0_14default_configENS1_22reduce_config_selectorIN6thrust23THRUST_200600_302600_NS5tupleIblNS6_9null_typeES8_S8_S8_S8_S8_S8_S8_EEEEZNS1_11reduce_implILb1ES3_NS6_12zip_iteratorINS7_INS6_11hip_rocprim26transform_input_iterator_tIbNSD_35transform_pair_of_input_iterators_tIbNS6_6detail15normal_iteratorINS6_10device_ptrIKsEEEESL_NS6_8equal_toIsEEEENSG_9not_fun_tINSD_8identityEEEEENSD_19counting_iterator_tIlEES8_S8_S8_S8_S8_S8_S8_S8_EEEEPS9_S9_NSD_9__find_if7functorIS9_EEEE10hipError_tPvRmT1_T2_T3_mT4_P12ihipStream_tbEUlT_E1_NS1_11comp_targetILNS1_3genE2ELNS1_11target_archE906ELNS1_3gpuE6ELNS1_3repE0EEENS1_30default_config_static_selectorELNS0_4arch9wavefront6targetE0EEEvS14_,comdat
	.protected	_ZN7rocprim17ROCPRIM_400000_NS6detail17trampoline_kernelINS0_14default_configENS1_22reduce_config_selectorIN6thrust23THRUST_200600_302600_NS5tupleIblNS6_9null_typeES8_S8_S8_S8_S8_S8_S8_EEEEZNS1_11reduce_implILb1ES3_NS6_12zip_iteratorINS7_INS6_11hip_rocprim26transform_input_iterator_tIbNSD_35transform_pair_of_input_iterators_tIbNS6_6detail15normal_iteratorINS6_10device_ptrIKsEEEESL_NS6_8equal_toIsEEEENSG_9not_fun_tINSD_8identityEEEEENSD_19counting_iterator_tIlEES8_S8_S8_S8_S8_S8_S8_S8_EEEEPS9_S9_NSD_9__find_if7functorIS9_EEEE10hipError_tPvRmT1_T2_T3_mT4_P12ihipStream_tbEUlT_E1_NS1_11comp_targetILNS1_3genE2ELNS1_11target_archE906ELNS1_3gpuE6ELNS1_3repE0EEENS1_30default_config_static_selectorELNS0_4arch9wavefront6targetE0EEEvS14_ ; -- Begin function _ZN7rocprim17ROCPRIM_400000_NS6detail17trampoline_kernelINS0_14default_configENS1_22reduce_config_selectorIN6thrust23THRUST_200600_302600_NS5tupleIblNS6_9null_typeES8_S8_S8_S8_S8_S8_S8_EEEEZNS1_11reduce_implILb1ES3_NS6_12zip_iteratorINS7_INS6_11hip_rocprim26transform_input_iterator_tIbNSD_35transform_pair_of_input_iterators_tIbNS6_6detail15normal_iteratorINS6_10device_ptrIKsEEEESL_NS6_8equal_toIsEEEENSG_9not_fun_tINSD_8identityEEEEENSD_19counting_iterator_tIlEES8_S8_S8_S8_S8_S8_S8_S8_EEEEPS9_S9_NSD_9__find_if7functorIS9_EEEE10hipError_tPvRmT1_T2_T3_mT4_P12ihipStream_tbEUlT_E1_NS1_11comp_targetILNS1_3genE2ELNS1_11target_archE906ELNS1_3gpuE6ELNS1_3repE0EEENS1_30default_config_static_selectorELNS0_4arch9wavefront6targetE0EEEvS14_
	.globl	_ZN7rocprim17ROCPRIM_400000_NS6detail17trampoline_kernelINS0_14default_configENS1_22reduce_config_selectorIN6thrust23THRUST_200600_302600_NS5tupleIblNS6_9null_typeES8_S8_S8_S8_S8_S8_S8_EEEEZNS1_11reduce_implILb1ES3_NS6_12zip_iteratorINS7_INS6_11hip_rocprim26transform_input_iterator_tIbNSD_35transform_pair_of_input_iterators_tIbNS6_6detail15normal_iteratorINS6_10device_ptrIKsEEEESL_NS6_8equal_toIsEEEENSG_9not_fun_tINSD_8identityEEEEENSD_19counting_iterator_tIlEES8_S8_S8_S8_S8_S8_S8_S8_EEEEPS9_S9_NSD_9__find_if7functorIS9_EEEE10hipError_tPvRmT1_T2_T3_mT4_P12ihipStream_tbEUlT_E1_NS1_11comp_targetILNS1_3genE2ELNS1_11target_archE906ELNS1_3gpuE6ELNS1_3repE0EEENS1_30default_config_static_selectorELNS0_4arch9wavefront6targetE0EEEvS14_
	.p2align	8
	.type	_ZN7rocprim17ROCPRIM_400000_NS6detail17trampoline_kernelINS0_14default_configENS1_22reduce_config_selectorIN6thrust23THRUST_200600_302600_NS5tupleIblNS6_9null_typeES8_S8_S8_S8_S8_S8_S8_EEEEZNS1_11reduce_implILb1ES3_NS6_12zip_iteratorINS7_INS6_11hip_rocprim26transform_input_iterator_tIbNSD_35transform_pair_of_input_iterators_tIbNS6_6detail15normal_iteratorINS6_10device_ptrIKsEEEESL_NS6_8equal_toIsEEEENSG_9not_fun_tINSD_8identityEEEEENSD_19counting_iterator_tIlEES8_S8_S8_S8_S8_S8_S8_S8_EEEEPS9_S9_NSD_9__find_if7functorIS9_EEEE10hipError_tPvRmT1_T2_T3_mT4_P12ihipStream_tbEUlT_E1_NS1_11comp_targetILNS1_3genE2ELNS1_11target_archE906ELNS1_3gpuE6ELNS1_3repE0EEENS1_30default_config_static_selectorELNS0_4arch9wavefront6targetE0EEEvS14_,@function
_ZN7rocprim17ROCPRIM_400000_NS6detail17trampoline_kernelINS0_14default_configENS1_22reduce_config_selectorIN6thrust23THRUST_200600_302600_NS5tupleIblNS6_9null_typeES8_S8_S8_S8_S8_S8_S8_EEEEZNS1_11reduce_implILb1ES3_NS6_12zip_iteratorINS7_INS6_11hip_rocprim26transform_input_iterator_tIbNSD_35transform_pair_of_input_iterators_tIbNS6_6detail15normal_iteratorINS6_10device_ptrIKsEEEESL_NS6_8equal_toIsEEEENSG_9not_fun_tINSD_8identityEEEEENSD_19counting_iterator_tIlEES8_S8_S8_S8_S8_S8_S8_S8_EEEEPS9_S9_NSD_9__find_if7functorIS9_EEEE10hipError_tPvRmT1_T2_T3_mT4_P12ihipStream_tbEUlT_E1_NS1_11comp_targetILNS1_3genE2ELNS1_11target_archE906ELNS1_3gpuE6ELNS1_3repE0EEENS1_30default_config_static_selectorELNS0_4arch9wavefront6targetE0EEEvS14_: ; @_ZN7rocprim17ROCPRIM_400000_NS6detail17trampoline_kernelINS0_14default_configENS1_22reduce_config_selectorIN6thrust23THRUST_200600_302600_NS5tupleIblNS6_9null_typeES8_S8_S8_S8_S8_S8_S8_EEEEZNS1_11reduce_implILb1ES3_NS6_12zip_iteratorINS7_INS6_11hip_rocprim26transform_input_iterator_tIbNSD_35transform_pair_of_input_iterators_tIbNS6_6detail15normal_iteratorINS6_10device_ptrIKsEEEESL_NS6_8equal_toIsEEEENSG_9not_fun_tINSD_8identityEEEEENSD_19counting_iterator_tIlEES8_S8_S8_S8_S8_S8_S8_S8_EEEEPS9_S9_NSD_9__find_if7functorIS9_EEEE10hipError_tPvRmT1_T2_T3_mT4_P12ihipStream_tbEUlT_E1_NS1_11comp_targetILNS1_3genE2ELNS1_11target_archE906ELNS1_3gpuE6ELNS1_3repE0EEENS1_30default_config_static_selectorELNS0_4arch9wavefront6targetE0EEEvS14_
; %bb.0:
	.section	.rodata,"a",@progbits
	.p2align	6, 0x0
	.amdhsa_kernel _ZN7rocprim17ROCPRIM_400000_NS6detail17trampoline_kernelINS0_14default_configENS1_22reduce_config_selectorIN6thrust23THRUST_200600_302600_NS5tupleIblNS6_9null_typeES8_S8_S8_S8_S8_S8_S8_EEEEZNS1_11reduce_implILb1ES3_NS6_12zip_iteratorINS7_INS6_11hip_rocprim26transform_input_iterator_tIbNSD_35transform_pair_of_input_iterators_tIbNS6_6detail15normal_iteratorINS6_10device_ptrIKsEEEESL_NS6_8equal_toIsEEEENSG_9not_fun_tINSD_8identityEEEEENSD_19counting_iterator_tIlEES8_S8_S8_S8_S8_S8_S8_S8_EEEEPS9_S9_NSD_9__find_if7functorIS9_EEEE10hipError_tPvRmT1_T2_T3_mT4_P12ihipStream_tbEUlT_E1_NS1_11comp_targetILNS1_3genE2ELNS1_11target_archE906ELNS1_3gpuE6ELNS1_3repE0EEENS1_30default_config_static_selectorELNS0_4arch9wavefront6targetE0EEEvS14_
		.amdhsa_group_segment_fixed_size 0
		.amdhsa_private_segment_fixed_size 0
		.amdhsa_kernarg_size 88
		.amdhsa_user_sgpr_count 6
		.amdhsa_user_sgpr_private_segment_buffer 1
		.amdhsa_user_sgpr_dispatch_ptr 0
		.amdhsa_user_sgpr_queue_ptr 0
		.amdhsa_user_sgpr_kernarg_segment_ptr 1
		.amdhsa_user_sgpr_dispatch_id 0
		.amdhsa_user_sgpr_flat_scratch_init 0
		.amdhsa_user_sgpr_private_segment_size 0
		.amdhsa_wavefront_size32 1
		.amdhsa_uses_dynamic_stack 0
		.amdhsa_system_sgpr_private_segment_wavefront_offset 0
		.amdhsa_system_sgpr_workgroup_id_x 1
		.amdhsa_system_sgpr_workgroup_id_y 0
		.amdhsa_system_sgpr_workgroup_id_z 0
		.amdhsa_system_sgpr_workgroup_info 0
		.amdhsa_system_vgpr_workitem_id 0
		.amdhsa_next_free_vgpr 1
		.amdhsa_next_free_sgpr 1
		.amdhsa_reserve_vcc 0
		.amdhsa_reserve_flat_scratch 0
		.amdhsa_float_round_mode_32 0
		.amdhsa_float_round_mode_16_64 0
		.amdhsa_float_denorm_mode_32 3
		.amdhsa_float_denorm_mode_16_64 3
		.amdhsa_dx10_clamp 1
		.amdhsa_ieee_mode 1
		.amdhsa_fp16_overflow 0
		.amdhsa_workgroup_processor_mode 1
		.amdhsa_memory_ordered 1
		.amdhsa_forward_progress 1
		.amdhsa_shared_vgpr_count 0
		.amdhsa_exception_fp_ieee_invalid_op 0
		.amdhsa_exception_fp_denorm_src 0
		.amdhsa_exception_fp_ieee_div_zero 0
		.amdhsa_exception_fp_ieee_overflow 0
		.amdhsa_exception_fp_ieee_underflow 0
		.amdhsa_exception_fp_ieee_inexact 0
		.amdhsa_exception_int_div_zero 0
	.end_amdhsa_kernel
	.section	.text._ZN7rocprim17ROCPRIM_400000_NS6detail17trampoline_kernelINS0_14default_configENS1_22reduce_config_selectorIN6thrust23THRUST_200600_302600_NS5tupleIblNS6_9null_typeES8_S8_S8_S8_S8_S8_S8_EEEEZNS1_11reduce_implILb1ES3_NS6_12zip_iteratorINS7_INS6_11hip_rocprim26transform_input_iterator_tIbNSD_35transform_pair_of_input_iterators_tIbNS6_6detail15normal_iteratorINS6_10device_ptrIKsEEEESL_NS6_8equal_toIsEEEENSG_9not_fun_tINSD_8identityEEEEENSD_19counting_iterator_tIlEES8_S8_S8_S8_S8_S8_S8_S8_EEEEPS9_S9_NSD_9__find_if7functorIS9_EEEE10hipError_tPvRmT1_T2_T3_mT4_P12ihipStream_tbEUlT_E1_NS1_11comp_targetILNS1_3genE2ELNS1_11target_archE906ELNS1_3gpuE6ELNS1_3repE0EEENS1_30default_config_static_selectorELNS0_4arch9wavefront6targetE0EEEvS14_,"axG",@progbits,_ZN7rocprim17ROCPRIM_400000_NS6detail17trampoline_kernelINS0_14default_configENS1_22reduce_config_selectorIN6thrust23THRUST_200600_302600_NS5tupleIblNS6_9null_typeES8_S8_S8_S8_S8_S8_S8_EEEEZNS1_11reduce_implILb1ES3_NS6_12zip_iteratorINS7_INS6_11hip_rocprim26transform_input_iterator_tIbNSD_35transform_pair_of_input_iterators_tIbNS6_6detail15normal_iteratorINS6_10device_ptrIKsEEEESL_NS6_8equal_toIsEEEENSG_9not_fun_tINSD_8identityEEEEENSD_19counting_iterator_tIlEES8_S8_S8_S8_S8_S8_S8_S8_EEEEPS9_S9_NSD_9__find_if7functorIS9_EEEE10hipError_tPvRmT1_T2_T3_mT4_P12ihipStream_tbEUlT_E1_NS1_11comp_targetILNS1_3genE2ELNS1_11target_archE906ELNS1_3gpuE6ELNS1_3repE0EEENS1_30default_config_static_selectorELNS0_4arch9wavefront6targetE0EEEvS14_,comdat
.Lfunc_end311:
	.size	_ZN7rocprim17ROCPRIM_400000_NS6detail17trampoline_kernelINS0_14default_configENS1_22reduce_config_selectorIN6thrust23THRUST_200600_302600_NS5tupleIblNS6_9null_typeES8_S8_S8_S8_S8_S8_S8_EEEEZNS1_11reduce_implILb1ES3_NS6_12zip_iteratorINS7_INS6_11hip_rocprim26transform_input_iterator_tIbNSD_35transform_pair_of_input_iterators_tIbNS6_6detail15normal_iteratorINS6_10device_ptrIKsEEEESL_NS6_8equal_toIsEEEENSG_9not_fun_tINSD_8identityEEEEENSD_19counting_iterator_tIlEES8_S8_S8_S8_S8_S8_S8_S8_EEEEPS9_S9_NSD_9__find_if7functorIS9_EEEE10hipError_tPvRmT1_T2_T3_mT4_P12ihipStream_tbEUlT_E1_NS1_11comp_targetILNS1_3genE2ELNS1_11target_archE906ELNS1_3gpuE6ELNS1_3repE0EEENS1_30default_config_static_selectorELNS0_4arch9wavefront6targetE0EEEvS14_, .Lfunc_end311-_ZN7rocprim17ROCPRIM_400000_NS6detail17trampoline_kernelINS0_14default_configENS1_22reduce_config_selectorIN6thrust23THRUST_200600_302600_NS5tupleIblNS6_9null_typeES8_S8_S8_S8_S8_S8_S8_EEEEZNS1_11reduce_implILb1ES3_NS6_12zip_iteratorINS7_INS6_11hip_rocprim26transform_input_iterator_tIbNSD_35transform_pair_of_input_iterators_tIbNS6_6detail15normal_iteratorINS6_10device_ptrIKsEEEESL_NS6_8equal_toIsEEEENSG_9not_fun_tINSD_8identityEEEEENSD_19counting_iterator_tIlEES8_S8_S8_S8_S8_S8_S8_S8_EEEEPS9_S9_NSD_9__find_if7functorIS9_EEEE10hipError_tPvRmT1_T2_T3_mT4_P12ihipStream_tbEUlT_E1_NS1_11comp_targetILNS1_3genE2ELNS1_11target_archE906ELNS1_3gpuE6ELNS1_3repE0EEENS1_30default_config_static_selectorELNS0_4arch9wavefront6targetE0EEEvS14_
                                        ; -- End function
	.set _ZN7rocprim17ROCPRIM_400000_NS6detail17trampoline_kernelINS0_14default_configENS1_22reduce_config_selectorIN6thrust23THRUST_200600_302600_NS5tupleIblNS6_9null_typeES8_S8_S8_S8_S8_S8_S8_EEEEZNS1_11reduce_implILb1ES3_NS6_12zip_iteratorINS7_INS6_11hip_rocprim26transform_input_iterator_tIbNSD_35transform_pair_of_input_iterators_tIbNS6_6detail15normal_iteratorINS6_10device_ptrIKsEEEESL_NS6_8equal_toIsEEEENSG_9not_fun_tINSD_8identityEEEEENSD_19counting_iterator_tIlEES8_S8_S8_S8_S8_S8_S8_S8_EEEEPS9_S9_NSD_9__find_if7functorIS9_EEEE10hipError_tPvRmT1_T2_T3_mT4_P12ihipStream_tbEUlT_E1_NS1_11comp_targetILNS1_3genE2ELNS1_11target_archE906ELNS1_3gpuE6ELNS1_3repE0EEENS1_30default_config_static_selectorELNS0_4arch9wavefront6targetE0EEEvS14_.num_vgpr, 0
	.set _ZN7rocprim17ROCPRIM_400000_NS6detail17trampoline_kernelINS0_14default_configENS1_22reduce_config_selectorIN6thrust23THRUST_200600_302600_NS5tupleIblNS6_9null_typeES8_S8_S8_S8_S8_S8_S8_EEEEZNS1_11reduce_implILb1ES3_NS6_12zip_iteratorINS7_INS6_11hip_rocprim26transform_input_iterator_tIbNSD_35transform_pair_of_input_iterators_tIbNS6_6detail15normal_iteratorINS6_10device_ptrIKsEEEESL_NS6_8equal_toIsEEEENSG_9not_fun_tINSD_8identityEEEEENSD_19counting_iterator_tIlEES8_S8_S8_S8_S8_S8_S8_S8_EEEEPS9_S9_NSD_9__find_if7functorIS9_EEEE10hipError_tPvRmT1_T2_T3_mT4_P12ihipStream_tbEUlT_E1_NS1_11comp_targetILNS1_3genE2ELNS1_11target_archE906ELNS1_3gpuE6ELNS1_3repE0EEENS1_30default_config_static_selectorELNS0_4arch9wavefront6targetE0EEEvS14_.num_agpr, 0
	.set _ZN7rocprim17ROCPRIM_400000_NS6detail17trampoline_kernelINS0_14default_configENS1_22reduce_config_selectorIN6thrust23THRUST_200600_302600_NS5tupleIblNS6_9null_typeES8_S8_S8_S8_S8_S8_S8_EEEEZNS1_11reduce_implILb1ES3_NS6_12zip_iteratorINS7_INS6_11hip_rocprim26transform_input_iterator_tIbNSD_35transform_pair_of_input_iterators_tIbNS6_6detail15normal_iteratorINS6_10device_ptrIKsEEEESL_NS6_8equal_toIsEEEENSG_9not_fun_tINSD_8identityEEEEENSD_19counting_iterator_tIlEES8_S8_S8_S8_S8_S8_S8_S8_EEEEPS9_S9_NSD_9__find_if7functorIS9_EEEE10hipError_tPvRmT1_T2_T3_mT4_P12ihipStream_tbEUlT_E1_NS1_11comp_targetILNS1_3genE2ELNS1_11target_archE906ELNS1_3gpuE6ELNS1_3repE0EEENS1_30default_config_static_selectorELNS0_4arch9wavefront6targetE0EEEvS14_.numbered_sgpr, 0
	.set _ZN7rocprim17ROCPRIM_400000_NS6detail17trampoline_kernelINS0_14default_configENS1_22reduce_config_selectorIN6thrust23THRUST_200600_302600_NS5tupleIblNS6_9null_typeES8_S8_S8_S8_S8_S8_S8_EEEEZNS1_11reduce_implILb1ES3_NS6_12zip_iteratorINS7_INS6_11hip_rocprim26transform_input_iterator_tIbNSD_35transform_pair_of_input_iterators_tIbNS6_6detail15normal_iteratorINS6_10device_ptrIKsEEEESL_NS6_8equal_toIsEEEENSG_9not_fun_tINSD_8identityEEEEENSD_19counting_iterator_tIlEES8_S8_S8_S8_S8_S8_S8_S8_EEEEPS9_S9_NSD_9__find_if7functorIS9_EEEE10hipError_tPvRmT1_T2_T3_mT4_P12ihipStream_tbEUlT_E1_NS1_11comp_targetILNS1_3genE2ELNS1_11target_archE906ELNS1_3gpuE6ELNS1_3repE0EEENS1_30default_config_static_selectorELNS0_4arch9wavefront6targetE0EEEvS14_.num_named_barrier, 0
	.set _ZN7rocprim17ROCPRIM_400000_NS6detail17trampoline_kernelINS0_14default_configENS1_22reduce_config_selectorIN6thrust23THRUST_200600_302600_NS5tupleIblNS6_9null_typeES8_S8_S8_S8_S8_S8_S8_EEEEZNS1_11reduce_implILb1ES3_NS6_12zip_iteratorINS7_INS6_11hip_rocprim26transform_input_iterator_tIbNSD_35transform_pair_of_input_iterators_tIbNS6_6detail15normal_iteratorINS6_10device_ptrIKsEEEESL_NS6_8equal_toIsEEEENSG_9not_fun_tINSD_8identityEEEEENSD_19counting_iterator_tIlEES8_S8_S8_S8_S8_S8_S8_S8_EEEEPS9_S9_NSD_9__find_if7functorIS9_EEEE10hipError_tPvRmT1_T2_T3_mT4_P12ihipStream_tbEUlT_E1_NS1_11comp_targetILNS1_3genE2ELNS1_11target_archE906ELNS1_3gpuE6ELNS1_3repE0EEENS1_30default_config_static_selectorELNS0_4arch9wavefront6targetE0EEEvS14_.private_seg_size, 0
	.set _ZN7rocprim17ROCPRIM_400000_NS6detail17trampoline_kernelINS0_14default_configENS1_22reduce_config_selectorIN6thrust23THRUST_200600_302600_NS5tupleIblNS6_9null_typeES8_S8_S8_S8_S8_S8_S8_EEEEZNS1_11reduce_implILb1ES3_NS6_12zip_iteratorINS7_INS6_11hip_rocprim26transform_input_iterator_tIbNSD_35transform_pair_of_input_iterators_tIbNS6_6detail15normal_iteratorINS6_10device_ptrIKsEEEESL_NS6_8equal_toIsEEEENSG_9not_fun_tINSD_8identityEEEEENSD_19counting_iterator_tIlEES8_S8_S8_S8_S8_S8_S8_S8_EEEEPS9_S9_NSD_9__find_if7functorIS9_EEEE10hipError_tPvRmT1_T2_T3_mT4_P12ihipStream_tbEUlT_E1_NS1_11comp_targetILNS1_3genE2ELNS1_11target_archE906ELNS1_3gpuE6ELNS1_3repE0EEENS1_30default_config_static_selectorELNS0_4arch9wavefront6targetE0EEEvS14_.uses_vcc, 0
	.set _ZN7rocprim17ROCPRIM_400000_NS6detail17trampoline_kernelINS0_14default_configENS1_22reduce_config_selectorIN6thrust23THRUST_200600_302600_NS5tupleIblNS6_9null_typeES8_S8_S8_S8_S8_S8_S8_EEEEZNS1_11reduce_implILb1ES3_NS6_12zip_iteratorINS7_INS6_11hip_rocprim26transform_input_iterator_tIbNSD_35transform_pair_of_input_iterators_tIbNS6_6detail15normal_iteratorINS6_10device_ptrIKsEEEESL_NS6_8equal_toIsEEEENSG_9not_fun_tINSD_8identityEEEEENSD_19counting_iterator_tIlEES8_S8_S8_S8_S8_S8_S8_S8_EEEEPS9_S9_NSD_9__find_if7functorIS9_EEEE10hipError_tPvRmT1_T2_T3_mT4_P12ihipStream_tbEUlT_E1_NS1_11comp_targetILNS1_3genE2ELNS1_11target_archE906ELNS1_3gpuE6ELNS1_3repE0EEENS1_30default_config_static_selectorELNS0_4arch9wavefront6targetE0EEEvS14_.uses_flat_scratch, 0
	.set _ZN7rocprim17ROCPRIM_400000_NS6detail17trampoline_kernelINS0_14default_configENS1_22reduce_config_selectorIN6thrust23THRUST_200600_302600_NS5tupleIblNS6_9null_typeES8_S8_S8_S8_S8_S8_S8_EEEEZNS1_11reduce_implILb1ES3_NS6_12zip_iteratorINS7_INS6_11hip_rocprim26transform_input_iterator_tIbNSD_35transform_pair_of_input_iterators_tIbNS6_6detail15normal_iteratorINS6_10device_ptrIKsEEEESL_NS6_8equal_toIsEEEENSG_9not_fun_tINSD_8identityEEEEENSD_19counting_iterator_tIlEES8_S8_S8_S8_S8_S8_S8_S8_EEEEPS9_S9_NSD_9__find_if7functorIS9_EEEE10hipError_tPvRmT1_T2_T3_mT4_P12ihipStream_tbEUlT_E1_NS1_11comp_targetILNS1_3genE2ELNS1_11target_archE906ELNS1_3gpuE6ELNS1_3repE0EEENS1_30default_config_static_selectorELNS0_4arch9wavefront6targetE0EEEvS14_.has_dyn_sized_stack, 0
	.set _ZN7rocprim17ROCPRIM_400000_NS6detail17trampoline_kernelINS0_14default_configENS1_22reduce_config_selectorIN6thrust23THRUST_200600_302600_NS5tupleIblNS6_9null_typeES8_S8_S8_S8_S8_S8_S8_EEEEZNS1_11reduce_implILb1ES3_NS6_12zip_iteratorINS7_INS6_11hip_rocprim26transform_input_iterator_tIbNSD_35transform_pair_of_input_iterators_tIbNS6_6detail15normal_iteratorINS6_10device_ptrIKsEEEESL_NS6_8equal_toIsEEEENSG_9not_fun_tINSD_8identityEEEEENSD_19counting_iterator_tIlEES8_S8_S8_S8_S8_S8_S8_S8_EEEEPS9_S9_NSD_9__find_if7functorIS9_EEEE10hipError_tPvRmT1_T2_T3_mT4_P12ihipStream_tbEUlT_E1_NS1_11comp_targetILNS1_3genE2ELNS1_11target_archE906ELNS1_3gpuE6ELNS1_3repE0EEENS1_30default_config_static_selectorELNS0_4arch9wavefront6targetE0EEEvS14_.has_recursion, 0
	.set _ZN7rocprim17ROCPRIM_400000_NS6detail17trampoline_kernelINS0_14default_configENS1_22reduce_config_selectorIN6thrust23THRUST_200600_302600_NS5tupleIblNS6_9null_typeES8_S8_S8_S8_S8_S8_S8_EEEEZNS1_11reduce_implILb1ES3_NS6_12zip_iteratorINS7_INS6_11hip_rocprim26transform_input_iterator_tIbNSD_35transform_pair_of_input_iterators_tIbNS6_6detail15normal_iteratorINS6_10device_ptrIKsEEEESL_NS6_8equal_toIsEEEENSG_9not_fun_tINSD_8identityEEEEENSD_19counting_iterator_tIlEES8_S8_S8_S8_S8_S8_S8_S8_EEEEPS9_S9_NSD_9__find_if7functorIS9_EEEE10hipError_tPvRmT1_T2_T3_mT4_P12ihipStream_tbEUlT_E1_NS1_11comp_targetILNS1_3genE2ELNS1_11target_archE906ELNS1_3gpuE6ELNS1_3repE0EEENS1_30default_config_static_selectorELNS0_4arch9wavefront6targetE0EEEvS14_.has_indirect_call, 0
	.section	.AMDGPU.csdata,"",@progbits
; Kernel info:
; codeLenInByte = 0
; TotalNumSgprs: 0
; NumVgprs: 0
; ScratchSize: 0
; MemoryBound: 0
; FloatMode: 240
; IeeeMode: 1
; LDSByteSize: 0 bytes/workgroup (compile time only)
; SGPRBlocks: 0
; VGPRBlocks: 0
; NumSGPRsForWavesPerEU: 1
; NumVGPRsForWavesPerEU: 1
; Occupancy: 16
; WaveLimiterHint : 0
; COMPUTE_PGM_RSRC2:SCRATCH_EN: 0
; COMPUTE_PGM_RSRC2:USER_SGPR: 6
; COMPUTE_PGM_RSRC2:TRAP_HANDLER: 0
; COMPUTE_PGM_RSRC2:TGID_X_EN: 1
; COMPUTE_PGM_RSRC2:TGID_Y_EN: 0
; COMPUTE_PGM_RSRC2:TGID_Z_EN: 0
; COMPUTE_PGM_RSRC2:TIDIG_COMP_CNT: 0
	.section	.text._ZN7rocprim17ROCPRIM_400000_NS6detail17trampoline_kernelINS0_14default_configENS1_22reduce_config_selectorIN6thrust23THRUST_200600_302600_NS5tupleIblNS6_9null_typeES8_S8_S8_S8_S8_S8_S8_EEEEZNS1_11reduce_implILb1ES3_NS6_12zip_iteratorINS7_INS6_11hip_rocprim26transform_input_iterator_tIbNSD_35transform_pair_of_input_iterators_tIbNS6_6detail15normal_iteratorINS6_10device_ptrIKsEEEESL_NS6_8equal_toIsEEEENSG_9not_fun_tINSD_8identityEEEEENSD_19counting_iterator_tIlEES8_S8_S8_S8_S8_S8_S8_S8_EEEEPS9_S9_NSD_9__find_if7functorIS9_EEEE10hipError_tPvRmT1_T2_T3_mT4_P12ihipStream_tbEUlT_E1_NS1_11comp_targetILNS1_3genE10ELNS1_11target_archE1201ELNS1_3gpuE5ELNS1_3repE0EEENS1_30default_config_static_selectorELNS0_4arch9wavefront6targetE0EEEvS14_,"axG",@progbits,_ZN7rocprim17ROCPRIM_400000_NS6detail17trampoline_kernelINS0_14default_configENS1_22reduce_config_selectorIN6thrust23THRUST_200600_302600_NS5tupleIblNS6_9null_typeES8_S8_S8_S8_S8_S8_S8_EEEEZNS1_11reduce_implILb1ES3_NS6_12zip_iteratorINS7_INS6_11hip_rocprim26transform_input_iterator_tIbNSD_35transform_pair_of_input_iterators_tIbNS6_6detail15normal_iteratorINS6_10device_ptrIKsEEEESL_NS6_8equal_toIsEEEENSG_9not_fun_tINSD_8identityEEEEENSD_19counting_iterator_tIlEES8_S8_S8_S8_S8_S8_S8_S8_EEEEPS9_S9_NSD_9__find_if7functorIS9_EEEE10hipError_tPvRmT1_T2_T3_mT4_P12ihipStream_tbEUlT_E1_NS1_11comp_targetILNS1_3genE10ELNS1_11target_archE1201ELNS1_3gpuE5ELNS1_3repE0EEENS1_30default_config_static_selectorELNS0_4arch9wavefront6targetE0EEEvS14_,comdat
	.protected	_ZN7rocprim17ROCPRIM_400000_NS6detail17trampoline_kernelINS0_14default_configENS1_22reduce_config_selectorIN6thrust23THRUST_200600_302600_NS5tupleIblNS6_9null_typeES8_S8_S8_S8_S8_S8_S8_EEEEZNS1_11reduce_implILb1ES3_NS6_12zip_iteratorINS7_INS6_11hip_rocprim26transform_input_iterator_tIbNSD_35transform_pair_of_input_iterators_tIbNS6_6detail15normal_iteratorINS6_10device_ptrIKsEEEESL_NS6_8equal_toIsEEEENSG_9not_fun_tINSD_8identityEEEEENSD_19counting_iterator_tIlEES8_S8_S8_S8_S8_S8_S8_S8_EEEEPS9_S9_NSD_9__find_if7functorIS9_EEEE10hipError_tPvRmT1_T2_T3_mT4_P12ihipStream_tbEUlT_E1_NS1_11comp_targetILNS1_3genE10ELNS1_11target_archE1201ELNS1_3gpuE5ELNS1_3repE0EEENS1_30default_config_static_selectorELNS0_4arch9wavefront6targetE0EEEvS14_ ; -- Begin function _ZN7rocprim17ROCPRIM_400000_NS6detail17trampoline_kernelINS0_14default_configENS1_22reduce_config_selectorIN6thrust23THRUST_200600_302600_NS5tupleIblNS6_9null_typeES8_S8_S8_S8_S8_S8_S8_EEEEZNS1_11reduce_implILb1ES3_NS6_12zip_iteratorINS7_INS6_11hip_rocprim26transform_input_iterator_tIbNSD_35transform_pair_of_input_iterators_tIbNS6_6detail15normal_iteratorINS6_10device_ptrIKsEEEESL_NS6_8equal_toIsEEEENSG_9not_fun_tINSD_8identityEEEEENSD_19counting_iterator_tIlEES8_S8_S8_S8_S8_S8_S8_S8_EEEEPS9_S9_NSD_9__find_if7functorIS9_EEEE10hipError_tPvRmT1_T2_T3_mT4_P12ihipStream_tbEUlT_E1_NS1_11comp_targetILNS1_3genE10ELNS1_11target_archE1201ELNS1_3gpuE5ELNS1_3repE0EEENS1_30default_config_static_selectorELNS0_4arch9wavefront6targetE0EEEvS14_
	.globl	_ZN7rocprim17ROCPRIM_400000_NS6detail17trampoline_kernelINS0_14default_configENS1_22reduce_config_selectorIN6thrust23THRUST_200600_302600_NS5tupleIblNS6_9null_typeES8_S8_S8_S8_S8_S8_S8_EEEEZNS1_11reduce_implILb1ES3_NS6_12zip_iteratorINS7_INS6_11hip_rocprim26transform_input_iterator_tIbNSD_35transform_pair_of_input_iterators_tIbNS6_6detail15normal_iteratorINS6_10device_ptrIKsEEEESL_NS6_8equal_toIsEEEENSG_9not_fun_tINSD_8identityEEEEENSD_19counting_iterator_tIlEES8_S8_S8_S8_S8_S8_S8_S8_EEEEPS9_S9_NSD_9__find_if7functorIS9_EEEE10hipError_tPvRmT1_T2_T3_mT4_P12ihipStream_tbEUlT_E1_NS1_11comp_targetILNS1_3genE10ELNS1_11target_archE1201ELNS1_3gpuE5ELNS1_3repE0EEENS1_30default_config_static_selectorELNS0_4arch9wavefront6targetE0EEEvS14_
	.p2align	8
	.type	_ZN7rocprim17ROCPRIM_400000_NS6detail17trampoline_kernelINS0_14default_configENS1_22reduce_config_selectorIN6thrust23THRUST_200600_302600_NS5tupleIblNS6_9null_typeES8_S8_S8_S8_S8_S8_S8_EEEEZNS1_11reduce_implILb1ES3_NS6_12zip_iteratorINS7_INS6_11hip_rocprim26transform_input_iterator_tIbNSD_35transform_pair_of_input_iterators_tIbNS6_6detail15normal_iteratorINS6_10device_ptrIKsEEEESL_NS6_8equal_toIsEEEENSG_9not_fun_tINSD_8identityEEEEENSD_19counting_iterator_tIlEES8_S8_S8_S8_S8_S8_S8_S8_EEEEPS9_S9_NSD_9__find_if7functorIS9_EEEE10hipError_tPvRmT1_T2_T3_mT4_P12ihipStream_tbEUlT_E1_NS1_11comp_targetILNS1_3genE10ELNS1_11target_archE1201ELNS1_3gpuE5ELNS1_3repE0EEENS1_30default_config_static_selectorELNS0_4arch9wavefront6targetE0EEEvS14_,@function
_ZN7rocprim17ROCPRIM_400000_NS6detail17trampoline_kernelINS0_14default_configENS1_22reduce_config_selectorIN6thrust23THRUST_200600_302600_NS5tupleIblNS6_9null_typeES8_S8_S8_S8_S8_S8_S8_EEEEZNS1_11reduce_implILb1ES3_NS6_12zip_iteratorINS7_INS6_11hip_rocprim26transform_input_iterator_tIbNSD_35transform_pair_of_input_iterators_tIbNS6_6detail15normal_iteratorINS6_10device_ptrIKsEEEESL_NS6_8equal_toIsEEEENSG_9not_fun_tINSD_8identityEEEEENSD_19counting_iterator_tIlEES8_S8_S8_S8_S8_S8_S8_S8_EEEEPS9_S9_NSD_9__find_if7functorIS9_EEEE10hipError_tPvRmT1_T2_T3_mT4_P12ihipStream_tbEUlT_E1_NS1_11comp_targetILNS1_3genE10ELNS1_11target_archE1201ELNS1_3gpuE5ELNS1_3repE0EEENS1_30default_config_static_selectorELNS0_4arch9wavefront6targetE0EEEvS14_: ; @_ZN7rocprim17ROCPRIM_400000_NS6detail17trampoline_kernelINS0_14default_configENS1_22reduce_config_selectorIN6thrust23THRUST_200600_302600_NS5tupleIblNS6_9null_typeES8_S8_S8_S8_S8_S8_S8_EEEEZNS1_11reduce_implILb1ES3_NS6_12zip_iteratorINS7_INS6_11hip_rocprim26transform_input_iterator_tIbNSD_35transform_pair_of_input_iterators_tIbNS6_6detail15normal_iteratorINS6_10device_ptrIKsEEEESL_NS6_8equal_toIsEEEENSG_9not_fun_tINSD_8identityEEEEENSD_19counting_iterator_tIlEES8_S8_S8_S8_S8_S8_S8_S8_EEEEPS9_S9_NSD_9__find_if7functorIS9_EEEE10hipError_tPvRmT1_T2_T3_mT4_P12ihipStream_tbEUlT_E1_NS1_11comp_targetILNS1_3genE10ELNS1_11target_archE1201ELNS1_3gpuE5ELNS1_3repE0EEENS1_30default_config_static_selectorELNS0_4arch9wavefront6targetE0EEEvS14_
; %bb.0:
	.section	.rodata,"a",@progbits
	.p2align	6, 0x0
	.amdhsa_kernel _ZN7rocprim17ROCPRIM_400000_NS6detail17trampoline_kernelINS0_14default_configENS1_22reduce_config_selectorIN6thrust23THRUST_200600_302600_NS5tupleIblNS6_9null_typeES8_S8_S8_S8_S8_S8_S8_EEEEZNS1_11reduce_implILb1ES3_NS6_12zip_iteratorINS7_INS6_11hip_rocprim26transform_input_iterator_tIbNSD_35transform_pair_of_input_iterators_tIbNS6_6detail15normal_iteratorINS6_10device_ptrIKsEEEESL_NS6_8equal_toIsEEEENSG_9not_fun_tINSD_8identityEEEEENSD_19counting_iterator_tIlEES8_S8_S8_S8_S8_S8_S8_S8_EEEEPS9_S9_NSD_9__find_if7functorIS9_EEEE10hipError_tPvRmT1_T2_T3_mT4_P12ihipStream_tbEUlT_E1_NS1_11comp_targetILNS1_3genE10ELNS1_11target_archE1201ELNS1_3gpuE5ELNS1_3repE0EEENS1_30default_config_static_selectorELNS0_4arch9wavefront6targetE0EEEvS14_
		.amdhsa_group_segment_fixed_size 0
		.amdhsa_private_segment_fixed_size 0
		.amdhsa_kernarg_size 88
		.amdhsa_user_sgpr_count 6
		.amdhsa_user_sgpr_private_segment_buffer 1
		.amdhsa_user_sgpr_dispatch_ptr 0
		.amdhsa_user_sgpr_queue_ptr 0
		.amdhsa_user_sgpr_kernarg_segment_ptr 1
		.amdhsa_user_sgpr_dispatch_id 0
		.amdhsa_user_sgpr_flat_scratch_init 0
		.amdhsa_user_sgpr_private_segment_size 0
		.amdhsa_wavefront_size32 1
		.amdhsa_uses_dynamic_stack 0
		.amdhsa_system_sgpr_private_segment_wavefront_offset 0
		.amdhsa_system_sgpr_workgroup_id_x 1
		.amdhsa_system_sgpr_workgroup_id_y 0
		.amdhsa_system_sgpr_workgroup_id_z 0
		.amdhsa_system_sgpr_workgroup_info 0
		.amdhsa_system_vgpr_workitem_id 0
		.amdhsa_next_free_vgpr 1
		.amdhsa_next_free_sgpr 1
		.amdhsa_reserve_vcc 0
		.amdhsa_reserve_flat_scratch 0
		.amdhsa_float_round_mode_32 0
		.amdhsa_float_round_mode_16_64 0
		.amdhsa_float_denorm_mode_32 3
		.amdhsa_float_denorm_mode_16_64 3
		.amdhsa_dx10_clamp 1
		.amdhsa_ieee_mode 1
		.amdhsa_fp16_overflow 0
		.amdhsa_workgroup_processor_mode 1
		.amdhsa_memory_ordered 1
		.amdhsa_forward_progress 1
		.amdhsa_shared_vgpr_count 0
		.amdhsa_exception_fp_ieee_invalid_op 0
		.amdhsa_exception_fp_denorm_src 0
		.amdhsa_exception_fp_ieee_div_zero 0
		.amdhsa_exception_fp_ieee_overflow 0
		.amdhsa_exception_fp_ieee_underflow 0
		.amdhsa_exception_fp_ieee_inexact 0
		.amdhsa_exception_int_div_zero 0
	.end_amdhsa_kernel
	.section	.text._ZN7rocprim17ROCPRIM_400000_NS6detail17trampoline_kernelINS0_14default_configENS1_22reduce_config_selectorIN6thrust23THRUST_200600_302600_NS5tupleIblNS6_9null_typeES8_S8_S8_S8_S8_S8_S8_EEEEZNS1_11reduce_implILb1ES3_NS6_12zip_iteratorINS7_INS6_11hip_rocprim26transform_input_iterator_tIbNSD_35transform_pair_of_input_iterators_tIbNS6_6detail15normal_iteratorINS6_10device_ptrIKsEEEESL_NS6_8equal_toIsEEEENSG_9not_fun_tINSD_8identityEEEEENSD_19counting_iterator_tIlEES8_S8_S8_S8_S8_S8_S8_S8_EEEEPS9_S9_NSD_9__find_if7functorIS9_EEEE10hipError_tPvRmT1_T2_T3_mT4_P12ihipStream_tbEUlT_E1_NS1_11comp_targetILNS1_3genE10ELNS1_11target_archE1201ELNS1_3gpuE5ELNS1_3repE0EEENS1_30default_config_static_selectorELNS0_4arch9wavefront6targetE0EEEvS14_,"axG",@progbits,_ZN7rocprim17ROCPRIM_400000_NS6detail17trampoline_kernelINS0_14default_configENS1_22reduce_config_selectorIN6thrust23THRUST_200600_302600_NS5tupleIblNS6_9null_typeES8_S8_S8_S8_S8_S8_S8_EEEEZNS1_11reduce_implILb1ES3_NS6_12zip_iteratorINS7_INS6_11hip_rocprim26transform_input_iterator_tIbNSD_35transform_pair_of_input_iterators_tIbNS6_6detail15normal_iteratorINS6_10device_ptrIKsEEEESL_NS6_8equal_toIsEEEENSG_9not_fun_tINSD_8identityEEEEENSD_19counting_iterator_tIlEES8_S8_S8_S8_S8_S8_S8_S8_EEEEPS9_S9_NSD_9__find_if7functorIS9_EEEE10hipError_tPvRmT1_T2_T3_mT4_P12ihipStream_tbEUlT_E1_NS1_11comp_targetILNS1_3genE10ELNS1_11target_archE1201ELNS1_3gpuE5ELNS1_3repE0EEENS1_30default_config_static_selectorELNS0_4arch9wavefront6targetE0EEEvS14_,comdat
.Lfunc_end312:
	.size	_ZN7rocprim17ROCPRIM_400000_NS6detail17trampoline_kernelINS0_14default_configENS1_22reduce_config_selectorIN6thrust23THRUST_200600_302600_NS5tupleIblNS6_9null_typeES8_S8_S8_S8_S8_S8_S8_EEEEZNS1_11reduce_implILb1ES3_NS6_12zip_iteratorINS7_INS6_11hip_rocprim26transform_input_iterator_tIbNSD_35transform_pair_of_input_iterators_tIbNS6_6detail15normal_iteratorINS6_10device_ptrIKsEEEESL_NS6_8equal_toIsEEEENSG_9not_fun_tINSD_8identityEEEEENSD_19counting_iterator_tIlEES8_S8_S8_S8_S8_S8_S8_S8_EEEEPS9_S9_NSD_9__find_if7functorIS9_EEEE10hipError_tPvRmT1_T2_T3_mT4_P12ihipStream_tbEUlT_E1_NS1_11comp_targetILNS1_3genE10ELNS1_11target_archE1201ELNS1_3gpuE5ELNS1_3repE0EEENS1_30default_config_static_selectorELNS0_4arch9wavefront6targetE0EEEvS14_, .Lfunc_end312-_ZN7rocprim17ROCPRIM_400000_NS6detail17trampoline_kernelINS0_14default_configENS1_22reduce_config_selectorIN6thrust23THRUST_200600_302600_NS5tupleIblNS6_9null_typeES8_S8_S8_S8_S8_S8_S8_EEEEZNS1_11reduce_implILb1ES3_NS6_12zip_iteratorINS7_INS6_11hip_rocprim26transform_input_iterator_tIbNSD_35transform_pair_of_input_iterators_tIbNS6_6detail15normal_iteratorINS6_10device_ptrIKsEEEESL_NS6_8equal_toIsEEEENSG_9not_fun_tINSD_8identityEEEEENSD_19counting_iterator_tIlEES8_S8_S8_S8_S8_S8_S8_S8_EEEEPS9_S9_NSD_9__find_if7functorIS9_EEEE10hipError_tPvRmT1_T2_T3_mT4_P12ihipStream_tbEUlT_E1_NS1_11comp_targetILNS1_3genE10ELNS1_11target_archE1201ELNS1_3gpuE5ELNS1_3repE0EEENS1_30default_config_static_selectorELNS0_4arch9wavefront6targetE0EEEvS14_
                                        ; -- End function
	.set _ZN7rocprim17ROCPRIM_400000_NS6detail17trampoline_kernelINS0_14default_configENS1_22reduce_config_selectorIN6thrust23THRUST_200600_302600_NS5tupleIblNS6_9null_typeES8_S8_S8_S8_S8_S8_S8_EEEEZNS1_11reduce_implILb1ES3_NS6_12zip_iteratorINS7_INS6_11hip_rocprim26transform_input_iterator_tIbNSD_35transform_pair_of_input_iterators_tIbNS6_6detail15normal_iteratorINS6_10device_ptrIKsEEEESL_NS6_8equal_toIsEEEENSG_9not_fun_tINSD_8identityEEEEENSD_19counting_iterator_tIlEES8_S8_S8_S8_S8_S8_S8_S8_EEEEPS9_S9_NSD_9__find_if7functorIS9_EEEE10hipError_tPvRmT1_T2_T3_mT4_P12ihipStream_tbEUlT_E1_NS1_11comp_targetILNS1_3genE10ELNS1_11target_archE1201ELNS1_3gpuE5ELNS1_3repE0EEENS1_30default_config_static_selectorELNS0_4arch9wavefront6targetE0EEEvS14_.num_vgpr, 0
	.set _ZN7rocprim17ROCPRIM_400000_NS6detail17trampoline_kernelINS0_14default_configENS1_22reduce_config_selectorIN6thrust23THRUST_200600_302600_NS5tupleIblNS6_9null_typeES8_S8_S8_S8_S8_S8_S8_EEEEZNS1_11reduce_implILb1ES3_NS6_12zip_iteratorINS7_INS6_11hip_rocprim26transform_input_iterator_tIbNSD_35transform_pair_of_input_iterators_tIbNS6_6detail15normal_iteratorINS6_10device_ptrIKsEEEESL_NS6_8equal_toIsEEEENSG_9not_fun_tINSD_8identityEEEEENSD_19counting_iterator_tIlEES8_S8_S8_S8_S8_S8_S8_S8_EEEEPS9_S9_NSD_9__find_if7functorIS9_EEEE10hipError_tPvRmT1_T2_T3_mT4_P12ihipStream_tbEUlT_E1_NS1_11comp_targetILNS1_3genE10ELNS1_11target_archE1201ELNS1_3gpuE5ELNS1_3repE0EEENS1_30default_config_static_selectorELNS0_4arch9wavefront6targetE0EEEvS14_.num_agpr, 0
	.set _ZN7rocprim17ROCPRIM_400000_NS6detail17trampoline_kernelINS0_14default_configENS1_22reduce_config_selectorIN6thrust23THRUST_200600_302600_NS5tupleIblNS6_9null_typeES8_S8_S8_S8_S8_S8_S8_EEEEZNS1_11reduce_implILb1ES3_NS6_12zip_iteratorINS7_INS6_11hip_rocprim26transform_input_iterator_tIbNSD_35transform_pair_of_input_iterators_tIbNS6_6detail15normal_iteratorINS6_10device_ptrIKsEEEESL_NS6_8equal_toIsEEEENSG_9not_fun_tINSD_8identityEEEEENSD_19counting_iterator_tIlEES8_S8_S8_S8_S8_S8_S8_S8_EEEEPS9_S9_NSD_9__find_if7functorIS9_EEEE10hipError_tPvRmT1_T2_T3_mT4_P12ihipStream_tbEUlT_E1_NS1_11comp_targetILNS1_3genE10ELNS1_11target_archE1201ELNS1_3gpuE5ELNS1_3repE0EEENS1_30default_config_static_selectorELNS0_4arch9wavefront6targetE0EEEvS14_.numbered_sgpr, 0
	.set _ZN7rocprim17ROCPRIM_400000_NS6detail17trampoline_kernelINS0_14default_configENS1_22reduce_config_selectorIN6thrust23THRUST_200600_302600_NS5tupleIblNS6_9null_typeES8_S8_S8_S8_S8_S8_S8_EEEEZNS1_11reduce_implILb1ES3_NS6_12zip_iteratorINS7_INS6_11hip_rocprim26transform_input_iterator_tIbNSD_35transform_pair_of_input_iterators_tIbNS6_6detail15normal_iteratorINS6_10device_ptrIKsEEEESL_NS6_8equal_toIsEEEENSG_9not_fun_tINSD_8identityEEEEENSD_19counting_iterator_tIlEES8_S8_S8_S8_S8_S8_S8_S8_EEEEPS9_S9_NSD_9__find_if7functorIS9_EEEE10hipError_tPvRmT1_T2_T3_mT4_P12ihipStream_tbEUlT_E1_NS1_11comp_targetILNS1_3genE10ELNS1_11target_archE1201ELNS1_3gpuE5ELNS1_3repE0EEENS1_30default_config_static_selectorELNS0_4arch9wavefront6targetE0EEEvS14_.num_named_barrier, 0
	.set _ZN7rocprim17ROCPRIM_400000_NS6detail17trampoline_kernelINS0_14default_configENS1_22reduce_config_selectorIN6thrust23THRUST_200600_302600_NS5tupleIblNS6_9null_typeES8_S8_S8_S8_S8_S8_S8_EEEEZNS1_11reduce_implILb1ES3_NS6_12zip_iteratorINS7_INS6_11hip_rocprim26transform_input_iterator_tIbNSD_35transform_pair_of_input_iterators_tIbNS6_6detail15normal_iteratorINS6_10device_ptrIKsEEEESL_NS6_8equal_toIsEEEENSG_9not_fun_tINSD_8identityEEEEENSD_19counting_iterator_tIlEES8_S8_S8_S8_S8_S8_S8_S8_EEEEPS9_S9_NSD_9__find_if7functorIS9_EEEE10hipError_tPvRmT1_T2_T3_mT4_P12ihipStream_tbEUlT_E1_NS1_11comp_targetILNS1_3genE10ELNS1_11target_archE1201ELNS1_3gpuE5ELNS1_3repE0EEENS1_30default_config_static_selectorELNS0_4arch9wavefront6targetE0EEEvS14_.private_seg_size, 0
	.set _ZN7rocprim17ROCPRIM_400000_NS6detail17trampoline_kernelINS0_14default_configENS1_22reduce_config_selectorIN6thrust23THRUST_200600_302600_NS5tupleIblNS6_9null_typeES8_S8_S8_S8_S8_S8_S8_EEEEZNS1_11reduce_implILb1ES3_NS6_12zip_iteratorINS7_INS6_11hip_rocprim26transform_input_iterator_tIbNSD_35transform_pair_of_input_iterators_tIbNS6_6detail15normal_iteratorINS6_10device_ptrIKsEEEESL_NS6_8equal_toIsEEEENSG_9not_fun_tINSD_8identityEEEEENSD_19counting_iterator_tIlEES8_S8_S8_S8_S8_S8_S8_S8_EEEEPS9_S9_NSD_9__find_if7functorIS9_EEEE10hipError_tPvRmT1_T2_T3_mT4_P12ihipStream_tbEUlT_E1_NS1_11comp_targetILNS1_3genE10ELNS1_11target_archE1201ELNS1_3gpuE5ELNS1_3repE0EEENS1_30default_config_static_selectorELNS0_4arch9wavefront6targetE0EEEvS14_.uses_vcc, 0
	.set _ZN7rocprim17ROCPRIM_400000_NS6detail17trampoline_kernelINS0_14default_configENS1_22reduce_config_selectorIN6thrust23THRUST_200600_302600_NS5tupleIblNS6_9null_typeES8_S8_S8_S8_S8_S8_S8_EEEEZNS1_11reduce_implILb1ES3_NS6_12zip_iteratorINS7_INS6_11hip_rocprim26transform_input_iterator_tIbNSD_35transform_pair_of_input_iterators_tIbNS6_6detail15normal_iteratorINS6_10device_ptrIKsEEEESL_NS6_8equal_toIsEEEENSG_9not_fun_tINSD_8identityEEEEENSD_19counting_iterator_tIlEES8_S8_S8_S8_S8_S8_S8_S8_EEEEPS9_S9_NSD_9__find_if7functorIS9_EEEE10hipError_tPvRmT1_T2_T3_mT4_P12ihipStream_tbEUlT_E1_NS1_11comp_targetILNS1_3genE10ELNS1_11target_archE1201ELNS1_3gpuE5ELNS1_3repE0EEENS1_30default_config_static_selectorELNS0_4arch9wavefront6targetE0EEEvS14_.uses_flat_scratch, 0
	.set _ZN7rocprim17ROCPRIM_400000_NS6detail17trampoline_kernelINS0_14default_configENS1_22reduce_config_selectorIN6thrust23THRUST_200600_302600_NS5tupleIblNS6_9null_typeES8_S8_S8_S8_S8_S8_S8_EEEEZNS1_11reduce_implILb1ES3_NS6_12zip_iteratorINS7_INS6_11hip_rocprim26transform_input_iterator_tIbNSD_35transform_pair_of_input_iterators_tIbNS6_6detail15normal_iteratorINS6_10device_ptrIKsEEEESL_NS6_8equal_toIsEEEENSG_9not_fun_tINSD_8identityEEEEENSD_19counting_iterator_tIlEES8_S8_S8_S8_S8_S8_S8_S8_EEEEPS9_S9_NSD_9__find_if7functorIS9_EEEE10hipError_tPvRmT1_T2_T3_mT4_P12ihipStream_tbEUlT_E1_NS1_11comp_targetILNS1_3genE10ELNS1_11target_archE1201ELNS1_3gpuE5ELNS1_3repE0EEENS1_30default_config_static_selectorELNS0_4arch9wavefront6targetE0EEEvS14_.has_dyn_sized_stack, 0
	.set _ZN7rocprim17ROCPRIM_400000_NS6detail17trampoline_kernelINS0_14default_configENS1_22reduce_config_selectorIN6thrust23THRUST_200600_302600_NS5tupleIblNS6_9null_typeES8_S8_S8_S8_S8_S8_S8_EEEEZNS1_11reduce_implILb1ES3_NS6_12zip_iteratorINS7_INS6_11hip_rocprim26transform_input_iterator_tIbNSD_35transform_pair_of_input_iterators_tIbNS6_6detail15normal_iteratorINS6_10device_ptrIKsEEEESL_NS6_8equal_toIsEEEENSG_9not_fun_tINSD_8identityEEEEENSD_19counting_iterator_tIlEES8_S8_S8_S8_S8_S8_S8_S8_EEEEPS9_S9_NSD_9__find_if7functorIS9_EEEE10hipError_tPvRmT1_T2_T3_mT4_P12ihipStream_tbEUlT_E1_NS1_11comp_targetILNS1_3genE10ELNS1_11target_archE1201ELNS1_3gpuE5ELNS1_3repE0EEENS1_30default_config_static_selectorELNS0_4arch9wavefront6targetE0EEEvS14_.has_recursion, 0
	.set _ZN7rocprim17ROCPRIM_400000_NS6detail17trampoline_kernelINS0_14default_configENS1_22reduce_config_selectorIN6thrust23THRUST_200600_302600_NS5tupleIblNS6_9null_typeES8_S8_S8_S8_S8_S8_S8_EEEEZNS1_11reduce_implILb1ES3_NS6_12zip_iteratorINS7_INS6_11hip_rocprim26transform_input_iterator_tIbNSD_35transform_pair_of_input_iterators_tIbNS6_6detail15normal_iteratorINS6_10device_ptrIKsEEEESL_NS6_8equal_toIsEEEENSG_9not_fun_tINSD_8identityEEEEENSD_19counting_iterator_tIlEES8_S8_S8_S8_S8_S8_S8_S8_EEEEPS9_S9_NSD_9__find_if7functorIS9_EEEE10hipError_tPvRmT1_T2_T3_mT4_P12ihipStream_tbEUlT_E1_NS1_11comp_targetILNS1_3genE10ELNS1_11target_archE1201ELNS1_3gpuE5ELNS1_3repE0EEENS1_30default_config_static_selectorELNS0_4arch9wavefront6targetE0EEEvS14_.has_indirect_call, 0
	.section	.AMDGPU.csdata,"",@progbits
; Kernel info:
; codeLenInByte = 0
; TotalNumSgprs: 0
; NumVgprs: 0
; ScratchSize: 0
; MemoryBound: 0
; FloatMode: 240
; IeeeMode: 1
; LDSByteSize: 0 bytes/workgroup (compile time only)
; SGPRBlocks: 0
; VGPRBlocks: 0
; NumSGPRsForWavesPerEU: 1
; NumVGPRsForWavesPerEU: 1
; Occupancy: 16
; WaveLimiterHint : 0
; COMPUTE_PGM_RSRC2:SCRATCH_EN: 0
; COMPUTE_PGM_RSRC2:USER_SGPR: 6
; COMPUTE_PGM_RSRC2:TRAP_HANDLER: 0
; COMPUTE_PGM_RSRC2:TGID_X_EN: 1
; COMPUTE_PGM_RSRC2:TGID_Y_EN: 0
; COMPUTE_PGM_RSRC2:TGID_Z_EN: 0
; COMPUTE_PGM_RSRC2:TIDIG_COMP_CNT: 0
	.section	.text._ZN7rocprim17ROCPRIM_400000_NS6detail17trampoline_kernelINS0_14default_configENS1_22reduce_config_selectorIN6thrust23THRUST_200600_302600_NS5tupleIblNS6_9null_typeES8_S8_S8_S8_S8_S8_S8_EEEEZNS1_11reduce_implILb1ES3_NS6_12zip_iteratorINS7_INS6_11hip_rocprim26transform_input_iterator_tIbNSD_35transform_pair_of_input_iterators_tIbNS6_6detail15normal_iteratorINS6_10device_ptrIKsEEEESL_NS6_8equal_toIsEEEENSG_9not_fun_tINSD_8identityEEEEENSD_19counting_iterator_tIlEES8_S8_S8_S8_S8_S8_S8_S8_EEEEPS9_S9_NSD_9__find_if7functorIS9_EEEE10hipError_tPvRmT1_T2_T3_mT4_P12ihipStream_tbEUlT_E1_NS1_11comp_targetILNS1_3genE10ELNS1_11target_archE1200ELNS1_3gpuE4ELNS1_3repE0EEENS1_30default_config_static_selectorELNS0_4arch9wavefront6targetE0EEEvS14_,"axG",@progbits,_ZN7rocprim17ROCPRIM_400000_NS6detail17trampoline_kernelINS0_14default_configENS1_22reduce_config_selectorIN6thrust23THRUST_200600_302600_NS5tupleIblNS6_9null_typeES8_S8_S8_S8_S8_S8_S8_EEEEZNS1_11reduce_implILb1ES3_NS6_12zip_iteratorINS7_INS6_11hip_rocprim26transform_input_iterator_tIbNSD_35transform_pair_of_input_iterators_tIbNS6_6detail15normal_iteratorINS6_10device_ptrIKsEEEESL_NS6_8equal_toIsEEEENSG_9not_fun_tINSD_8identityEEEEENSD_19counting_iterator_tIlEES8_S8_S8_S8_S8_S8_S8_S8_EEEEPS9_S9_NSD_9__find_if7functorIS9_EEEE10hipError_tPvRmT1_T2_T3_mT4_P12ihipStream_tbEUlT_E1_NS1_11comp_targetILNS1_3genE10ELNS1_11target_archE1200ELNS1_3gpuE4ELNS1_3repE0EEENS1_30default_config_static_selectorELNS0_4arch9wavefront6targetE0EEEvS14_,comdat
	.protected	_ZN7rocprim17ROCPRIM_400000_NS6detail17trampoline_kernelINS0_14default_configENS1_22reduce_config_selectorIN6thrust23THRUST_200600_302600_NS5tupleIblNS6_9null_typeES8_S8_S8_S8_S8_S8_S8_EEEEZNS1_11reduce_implILb1ES3_NS6_12zip_iteratorINS7_INS6_11hip_rocprim26transform_input_iterator_tIbNSD_35transform_pair_of_input_iterators_tIbNS6_6detail15normal_iteratorINS6_10device_ptrIKsEEEESL_NS6_8equal_toIsEEEENSG_9not_fun_tINSD_8identityEEEEENSD_19counting_iterator_tIlEES8_S8_S8_S8_S8_S8_S8_S8_EEEEPS9_S9_NSD_9__find_if7functorIS9_EEEE10hipError_tPvRmT1_T2_T3_mT4_P12ihipStream_tbEUlT_E1_NS1_11comp_targetILNS1_3genE10ELNS1_11target_archE1200ELNS1_3gpuE4ELNS1_3repE0EEENS1_30default_config_static_selectorELNS0_4arch9wavefront6targetE0EEEvS14_ ; -- Begin function _ZN7rocprim17ROCPRIM_400000_NS6detail17trampoline_kernelINS0_14default_configENS1_22reduce_config_selectorIN6thrust23THRUST_200600_302600_NS5tupleIblNS6_9null_typeES8_S8_S8_S8_S8_S8_S8_EEEEZNS1_11reduce_implILb1ES3_NS6_12zip_iteratorINS7_INS6_11hip_rocprim26transform_input_iterator_tIbNSD_35transform_pair_of_input_iterators_tIbNS6_6detail15normal_iteratorINS6_10device_ptrIKsEEEESL_NS6_8equal_toIsEEEENSG_9not_fun_tINSD_8identityEEEEENSD_19counting_iterator_tIlEES8_S8_S8_S8_S8_S8_S8_S8_EEEEPS9_S9_NSD_9__find_if7functorIS9_EEEE10hipError_tPvRmT1_T2_T3_mT4_P12ihipStream_tbEUlT_E1_NS1_11comp_targetILNS1_3genE10ELNS1_11target_archE1200ELNS1_3gpuE4ELNS1_3repE0EEENS1_30default_config_static_selectorELNS0_4arch9wavefront6targetE0EEEvS14_
	.globl	_ZN7rocprim17ROCPRIM_400000_NS6detail17trampoline_kernelINS0_14default_configENS1_22reduce_config_selectorIN6thrust23THRUST_200600_302600_NS5tupleIblNS6_9null_typeES8_S8_S8_S8_S8_S8_S8_EEEEZNS1_11reduce_implILb1ES3_NS6_12zip_iteratorINS7_INS6_11hip_rocprim26transform_input_iterator_tIbNSD_35transform_pair_of_input_iterators_tIbNS6_6detail15normal_iteratorINS6_10device_ptrIKsEEEESL_NS6_8equal_toIsEEEENSG_9not_fun_tINSD_8identityEEEEENSD_19counting_iterator_tIlEES8_S8_S8_S8_S8_S8_S8_S8_EEEEPS9_S9_NSD_9__find_if7functorIS9_EEEE10hipError_tPvRmT1_T2_T3_mT4_P12ihipStream_tbEUlT_E1_NS1_11comp_targetILNS1_3genE10ELNS1_11target_archE1200ELNS1_3gpuE4ELNS1_3repE0EEENS1_30default_config_static_selectorELNS0_4arch9wavefront6targetE0EEEvS14_
	.p2align	8
	.type	_ZN7rocprim17ROCPRIM_400000_NS6detail17trampoline_kernelINS0_14default_configENS1_22reduce_config_selectorIN6thrust23THRUST_200600_302600_NS5tupleIblNS6_9null_typeES8_S8_S8_S8_S8_S8_S8_EEEEZNS1_11reduce_implILb1ES3_NS6_12zip_iteratorINS7_INS6_11hip_rocprim26transform_input_iterator_tIbNSD_35transform_pair_of_input_iterators_tIbNS6_6detail15normal_iteratorINS6_10device_ptrIKsEEEESL_NS6_8equal_toIsEEEENSG_9not_fun_tINSD_8identityEEEEENSD_19counting_iterator_tIlEES8_S8_S8_S8_S8_S8_S8_S8_EEEEPS9_S9_NSD_9__find_if7functorIS9_EEEE10hipError_tPvRmT1_T2_T3_mT4_P12ihipStream_tbEUlT_E1_NS1_11comp_targetILNS1_3genE10ELNS1_11target_archE1200ELNS1_3gpuE4ELNS1_3repE0EEENS1_30default_config_static_selectorELNS0_4arch9wavefront6targetE0EEEvS14_,@function
_ZN7rocprim17ROCPRIM_400000_NS6detail17trampoline_kernelINS0_14default_configENS1_22reduce_config_selectorIN6thrust23THRUST_200600_302600_NS5tupleIblNS6_9null_typeES8_S8_S8_S8_S8_S8_S8_EEEEZNS1_11reduce_implILb1ES3_NS6_12zip_iteratorINS7_INS6_11hip_rocprim26transform_input_iterator_tIbNSD_35transform_pair_of_input_iterators_tIbNS6_6detail15normal_iteratorINS6_10device_ptrIKsEEEESL_NS6_8equal_toIsEEEENSG_9not_fun_tINSD_8identityEEEEENSD_19counting_iterator_tIlEES8_S8_S8_S8_S8_S8_S8_S8_EEEEPS9_S9_NSD_9__find_if7functorIS9_EEEE10hipError_tPvRmT1_T2_T3_mT4_P12ihipStream_tbEUlT_E1_NS1_11comp_targetILNS1_3genE10ELNS1_11target_archE1200ELNS1_3gpuE4ELNS1_3repE0EEENS1_30default_config_static_selectorELNS0_4arch9wavefront6targetE0EEEvS14_: ; @_ZN7rocprim17ROCPRIM_400000_NS6detail17trampoline_kernelINS0_14default_configENS1_22reduce_config_selectorIN6thrust23THRUST_200600_302600_NS5tupleIblNS6_9null_typeES8_S8_S8_S8_S8_S8_S8_EEEEZNS1_11reduce_implILb1ES3_NS6_12zip_iteratorINS7_INS6_11hip_rocprim26transform_input_iterator_tIbNSD_35transform_pair_of_input_iterators_tIbNS6_6detail15normal_iteratorINS6_10device_ptrIKsEEEESL_NS6_8equal_toIsEEEENSG_9not_fun_tINSD_8identityEEEEENSD_19counting_iterator_tIlEES8_S8_S8_S8_S8_S8_S8_S8_EEEEPS9_S9_NSD_9__find_if7functorIS9_EEEE10hipError_tPvRmT1_T2_T3_mT4_P12ihipStream_tbEUlT_E1_NS1_11comp_targetILNS1_3genE10ELNS1_11target_archE1200ELNS1_3gpuE4ELNS1_3repE0EEENS1_30default_config_static_selectorELNS0_4arch9wavefront6targetE0EEEvS14_
; %bb.0:
	.section	.rodata,"a",@progbits
	.p2align	6, 0x0
	.amdhsa_kernel _ZN7rocprim17ROCPRIM_400000_NS6detail17trampoline_kernelINS0_14default_configENS1_22reduce_config_selectorIN6thrust23THRUST_200600_302600_NS5tupleIblNS6_9null_typeES8_S8_S8_S8_S8_S8_S8_EEEEZNS1_11reduce_implILb1ES3_NS6_12zip_iteratorINS7_INS6_11hip_rocprim26transform_input_iterator_tIbNSD_35transform_pair_of_input_iterators_tIbNS6_6detail15normal_iteratorINS6_10device_ptrIKsEEEESL_NS6_8equal_toIsEEEENSG_9not_fun_tINSD_8identityEEEEENSD_19counting_iterator_tIlEES8_S8_S8_S8_S8_S8_S8_S8_EEEEPS9_S9_NSD_9__find_if7functorIS9_EEEE10hipError_tPvRmT1_T2_T3_mT4_P12ihipStream_tbEUlT_E1_NS1_11comp_targetILNS1_3genE10ELNS1_11target_archE1200ELNS1_3gpuE4ELNS1_3repE0EEENS1_30default_config_static_selectorELNS0_4arch9wavefront6targetE0EEEvS14_
		.amdhsa_group_segment_fixed_size 0
		.amdhsa_private_segment_fixed_size 0
		.amdhsa_kernarg_size 88
		.amdhsa_user_sgpr_count 6
		.amdhsa_user_sgpr_private_segment_buffer 1
		.amdhsa_user_sgpr_dispatch_ptr 0
		.amdhsa_user_sgpr_queue_ptr 0
		.amdhsa_user_sgpr_kernarg_segment_ptr 1
		.amdhsa_user_sgpr_dispatch_id 0
		.amdhsa_user_sgpr_flat_scratch_init 0
		.amdhsa_user_sgpr_private_segment_size 0
		.amdhsa_wavefront_size32 1
		.amdhsa_uses_dynamic_stack 0
		.amdhsa_system_sgpr_private_segment_wavefront_offset 0
		.amdhsa_system_sgpr_workgroup_id_x 1
		.amdhsa_system_sgpr_workgroup_id_y 0
		.amdhsa_system_sgpr_workgroup_id_z 0
		.amdhsa_system_sgpr_workgroup_info 0
		.amdhsa_system_vgpr_workitem_id 0
		.amdhsa_next_free_vgpr 1
		.amdhsa_next_free_sgpr 1
		.amdhsa_reserve_vcc 0
		.amdhsa_reserve_flat_scratch 0
		.amdhsa_float_round_mode_32 0
		.amdhsa_float_round_mode_16_64 0
		.amdhsa_float_denorm_mode_32 3
		.amdhsa_float_denorm_mode_16_64 3
		.amdhsa_dx10_clamp 1
		.amdhsa_ieee_mode 1
		.amdhsa_fp16_overflow 0
		.amdhsa_workgroup_processor_mode 1
		.amdhsa_memory_ordered 1
		.amdhsa_forward_progress 1
		.amdhsa_shared_vgpr_count 0
		.amdhsa_exception_fp_ieee_invalid_op 0
		.amdhsa_exception_fp_denorm_src 0
		.amdhsa_exception_fp_ieee_div_zero 0
		.amdhsa_exception_fp_ieee_overflow 0
		.amdhsa_exception_fp_ieee_underflow 0
		.amdhsa_exception_fp_ieee_inexact 0
		.amdhsa_exception_int_div_zero 0
	.end_amdhsa_kernel
	.section	.text._ZN7rocprim17ROCPRIM_400000_NS6detail17trampoline_kernelINS0_14default_configENS1_22reduce_config_selectorIN6thrust23THRUST_200600_302600_NS5tupleIblNS6_9null_typeES8_S8_S8_S8_S8_S8_S8_EEEEZNS1_11reduce_implILb1ES3_NS6_12zip_iteratorINS7_INS6_11hip_rocprim26transform_input_iterator_tIbNSD_35transform_pair_of_input_iterators_tIbNS6_6detail15normal_iteratorINS6_10device_ptrIKsEEEESL_NS6_8equal_toIsEEEENSG_9not_fun_tINSD_8identityEEEEENSD_19counting_iterator_tIlEES8_S8_S8_S8_S8_S8_S8_S8_EEEEPS9_S9_NSD_9__find_if7functorIS9_EEEE10hipError_tPvRmT1_T2_T3_mT4_P12ihipStream_tbEUlT_E1_NS1_11comp_targetILNS1_3genE10ELNS1_11target_archE1200ELNS1_3gpuE4ELNS1_3repE0EEENS1_30default_config_static_selectorELNS0_4arch9wavefront6targetE0EEEvS14_,"axG",@progbits,_ZN7rocprim17ROCPRIM_400000_NS6detail17trampoline_kernelINS0_14default_configENS1_22reduce_config_selectorIN6thrust23THRUST_200600_302600_NS5tupleIblNS6_9null_typeES8_S8_S8_S8_S8_S8_S8_EEEEZNS1_11reduce_implILb1ES3_NS6_12zip_iteratorINS7_INS6_11hip_rocprim26transform_input_iterator_tIbNSD_35transform_pair_of_input_iterators_tIbNS6_6detail15normal_iteratorINS6_10device_ptrIKsEEEESL_NS6_8equal_toIsEEEENSG_9not_fun_tINSD_8identityEEEEENSD_19counting_iterator_tIlEES8_S8_S8_S8_S8_S8_S8_S8_EEEEPS9_S9_NSD_9__find_if7functorIS9_EEEE10hipError_tPvRmT1_T2_T3_mT4_P12ihipStream_tbEUlT_E1_NS1_11comp_targetILNS1_3genE10ELNS1_11target_archE1200ELNS1_3gpuE4ELNS1_3repE0EEENS1_30default_config_static_selectorELNS0_4arch9wavefront6targetE0EEEvS14_,comdat
.Lfunc_end313:
	.size	_ZN7rocprim17ROCPRIM_400000_NS6detail17trampoline_kernelINS0_14default_configENS1_22reduce_config_selectorIN6thrust23THRUST_200600_302600_NS5tupleIblNS6_9null_typeES8_S8_S8_S8_S8_S8_S8_EEEEZNS1_11reduce_implILb1ES3_NS6_12zip_iteratorINS7_INS6_11hip_rocprim26transform_input_iterator_tIbNSD_35transform_pair_of_input_iterators_tIbNS6_6detail15normal_iteratorINS6_10device_ptrIKsEEEESL_NS6_8equal_toIsEEEENSG_9not_fun_tINSD_8identityEEEEENSD_19counting_iterator_tIlEES8_S8_S8_S8_S8_S8_S8_S8_EEEEPS9_S9_NSD_9__find_if7functorIS9_EEEE10hipError_tPvRmT1_T2_T3_mT4_P12ihipStream_tbEUlT_E1_NS1_11comp_targetILNS1_3genE10ELNS1_11target_archE1200ELNS1_3gpuE4ELNS1_3repE0EEENS1_30default_config_static_selectorELNS0_4arch9wavefront6targetE0EEEvS14_, .Lfunc_end313-_ZN7rocprim17ROCPRIM_400000_NS6detail17trampoline_kernelINS0_14default_configENS1_22reduce_config_selectorIN6thrust23THRUST_200600_302600_NS5tupleIblNS6_9null_typeES8_S8_S8_S8_S8_S8_S8_EEEEZNS1_11reduce_implILb1ES3_NS6_12zip_iteratorINS7_INS6_11hip_rocprim26transform_input_iterator_tIbNSD_35transform_pair_of_input_iterators_tIbNS6_6detail15normal_iteratorINS6_10device_ptrIKsEEEESL_NS6_8equal_toIsEEEENSG_9not_fun_tINSD_8identityEEEEENSD_19counting_iterator_tIlEES8_S8_S8_S8_S8_S8_S8_S8_EEEEPS9_S9_NSD_9__find_if7functorIS9_EEEE10hipError_tPvRmT1_T2_T3_mT4_P12ihipStream_tbEUlT_E1_NS1_11comp_targetILNS1_3genE10ELNS1_11target_archE1200ELNS1_3gpuE4ELNS1_3repE0EEENS1_30default_config_static_selectorELNS0_4arch9wavefront6targetE0EEEvS14_
                                        ; -- End function
	.set _ZN7rocprim17ROCPRIM_400000_NS6detail17trampoline_kernelINS0_14default_configENS1_22reduce_config_selectorIN6thrust23THRUST_200600_302600_NS5tupleIblNS6_9null_typeES8_S8_S8_S8_S8_S8_S8_EEEEZNS1_11reduce_implILb1ES3_NS6_12zip_iteratorINS7_INS6_11hip_rocprim26transform_input_iterator_tIbNSD_35transform_pair_of_input_iterators_tIbNS6_6detail15normal_iteratorINS6_10device_ptrIKsEEEESL_NS6_8equal_toIsEEEENSG_9not_fun_tINSD_8identityEEEEENSD_19counting_iterator_tIlEES8_S8_S8_S8_S8_S8_S8_S8_EEEEPS9_S9_NSD_9__find_if7functorIS9_EEEE10hipError_tPvRmT1_T2_T3_mT4_P12ihipStream_tbEUlT_E1_NS1_11comp_targetILNS1_3genE10ELNS1_11target_archE1200ELNS1_3gpuE4ELNS1_3repE0EEENS1_30default_config_static_selectorELNS0_4arch9wavefront6targetE0EEEvS14_.num_vgpr, 0
	.set _ZN7rocprim17ROCPRIM_400000_NS6detail17trampoline_kernelINS0_14default_configENS1_22reduce_config_selectorIN6thrust23THRUST_200600_302600_NS5tupleIblNS6_9null_typeES8_S8_S8_S8_S8_S8_S8_EEEEZNS1_11reduce_implILb1ES3_NS6_12zip_iteratorINS7_INS6_11hip_rocprim26transform_input_iterator_tIbNSD_35transform_pair_of_input_iterators_tIbNS6_6detail15normal_iteratorINS6_10device_ptrIKsEEEESL_NS6_8equal_toIsEEEENSG_9not_fun_tINSD_8identityEEEEENSD_19counting_iterator_tIlEES8_S8_S8_S8_S8_S8_S8_S8_EEEEPS9_S9_NSD_9__find_if7functorIS9_EEEE10hipError_tPvRmT1_T2_T3_mT4_P12ihipStream_tbEUlT_E1_NS1_11comp_targetILNS1_3genE10ELNS1_11target_archE1200ELNS1_3gpuE4ELNS1_3repE0EEENS1_30default_config_static_selectorELNS0_4arch9wavefront6targetE0EEEvS14_.num_agpr, 0
	.set _ZN7rocprim17ROCPRIM_400000_NS6detail17trampoline_kernelINS0_14default_configENS1_22reduce_config_selectorIN6thrust23THRUST_200600_302600_NS5tupleIblNS6_9null_typeES8_S8_S8_S8_S8_S8_S8_EEEEZNS1_11reduce_implILb1ES3_NS6_12zip_iteratorINS7_INS6_11hip_rocprim26transform_input_iterator_tIbNSD_35transform_pair_of_input_iterators_tIbNS6_6detail15normal_iteratorINS6_10device_ptrIKsEEEESL_NS6_8equal_toIsEEEENSG_9not_fun_tINSD_8identityEEEEENSD_19counting_iterator_tIlEES8_S8_S8_S8_S8_S8_S8_S8_EEEEPS9_S9_NSD_9__find_if7functorIS9_EEEE10hipError_tPvRmT1_T2_T3_mT4_P12ihipStream_tbEUlT_E1_NS1_11comp_targetILNS1_3genE10ELNS1_11target_archE1200ELNS1_3gpuE4ELNS1_3repE0EEENS1_30default_config_static_selectorELNS0_4arch9wavefront6targetE0EEEvS14_.numbered_sgpr, 0
	.set _ZN7rocprim17ROCPRIM_400000_NS6detail17trampoline_kernelINS0_14default_configENS1_22reduce_config_selectorIN6thrust23THRUST_200600_302600_NS5tupleIblNS6_9null_typeES8_S8_S8_S8_S8_S8_S8_EEEEZNS1_11reduce_implILb1ES3_NS6_12zip_iteratorINS7_INS6_11hip_rocprim26transform_input_iterator_tIbNSD_35transform_pair_of_input_iterators_tIbNS6_6detail15normal_iteratorINS6_10device_ptrIKsEEEESL_NS6_8equal_toIsEEEENSG_9not_fun_tINSD_8identityEEEEENSD_19counting_iterator_tIlEES8_S8_S8_S8_S8_S8_S8_S8_EEEEPS9_S9_NSD_9__find_if7functorIS9_EEEE10hipError_tPvRmT1_T2_T3_mT4_P12ihipStream_tbEUlT_E1_NS1_11comp_targetILNS1_3genE10ELNS1_11target_archE1200ELNS1_3gpuE4ELNS1_3repE0EEENS1_30default_config_static_selectorELNS0_4arch9wavefront6targetE0EEEvS14_.num_named_barrier, 0
	.set _ZN7rocprim17ROCPRIM_400000_NS6detail17trampoline_kernelINS0_14default_configENS1_22reduce_config_selectorIN6thrust23THRUST_200600_302600_NS5tupleIblNS6_9null_typeES8_S8_S8_S8_S8_S8_S8_EEEEZNS1_11reduce_implILb1ES3_NS6_12zip_iteratorINS7_INS6_11hip_rocprim26transform_input_iterator_tIbNSD_35transform_pair_of_input_iterators_tIbNS6_6detail15normal_iteratorINS6_10device_ptrIKsEEEESL_NS6_8equal_toIsEEEENSG_9not_fun_tINSD_8identityEEEEENSD_19counting_iterator_tIlEES8_S8_S8_S8_S8_S8_S8_S8_EEEEPS9_S9_NSD_9__find_if7functorIS9_EEEE10hipError_tPvRmT1_T2_T3_mT4_P12ihipStream_tbEUlT_E1_NS1_11comp_targetILNS1_3genE10ELNS1_11target_archE1200ELNS1_3gpuE4ELNS1_3repE0EEENS1_30default_config_static_selectorELNS0_4arch9wavefront6targetE0EEEvS14_.private_seg_size, 0
	.set _ZN7rocprim17ROCPRIM_400000_NS6detail17trampoline_kernelINS0_14default_configENS1_22reduce_config_selectorIN6thrust23THRUST_200600_302600_NS5tupleIblNS6_9null_typeES8_S8_S8_S8_S8_S8_S8_EEEEZNS1_11reduce_implILb1ES3_NS6_12zip_iteratorINS7_INS6_11hip_rocprim26transform_input_iterator_tIbNSD_35transform_pair_of_input_iterators_tIbNS6_6detail15normal_iteratorINS6_10device_ptrIKsEEEESL_NS6_8equal_toIsEEEENSG_9not_fun_tINSD_8identityEEEEENSD_19counting_iterator_tIlEES8_S8_S8_S8_S8_S8_S8_S8_EEEEPS9_S9_NSD_9__find_if7functorIS9_EEEE10hipError_tPvRmT1_T2_T3_mT4_P12ihipStream_tbEUlT_E1_NS1_11comp_targetILNS1_3genE10ELNS1_11target_archE1200ELNS1_3gpuE4ELNS1_3repE0EEENS1_30default_config_static_selectorELNS0_4arch9wavefront6targetE0EEEvS14_.uses_vcc, 0
	.set _ZN7rocprim17ROCPRIM_400000_NS6detail17trampoline_kernelINS0_14default_configENS1_22reduce_config_selectorIN6thrust23THRUST_200600_302600_NS5tupleIblNS6_9null_typeES8_S8_S8_S8_S8_S8_S8_EEEEZNS1_11reduce_implILb1ES3_NS6_12zip_iteratorINS7_INS6_11hip_rocprim26transform_input_iterator_tIbNSD_35transform_pair_of_input_iterators_tIbNS6_6detail15normal_iteratorINS6_10device_ptrIKsEEEESL_NS6_8equal_toIsEEEENSG_9not_fun_tINSD_8identityEEEEENSD_19counting_iterator_tIlEES8_S8_S8_S8_S8_S8_S8_S8_EEEEPS9_S9_NSD_9__find_if7functorIS9_EEEE10hipError_tPvRmT1_T2_T3_mT4_P12ihipStream_tbEUlT_E1_NS1_11comp_targetILNS1_3genE10ELNS1_11target_archE1200ELNS1_3gpuE4ELNS1_3repE0EEENS1_30default_config_static_selectorELNS0_4arch9wavefront6targetE0EEEvS14_.uses_flat_scratch, 0
	.set _ZN7rocprim17ROCPRIM_400000_NS6detail17trampoline_kernelINS0_14default_configENS1_22reduce_config_selectorIN6thrust23THRUST_200600_302600_NS5tupleIblNS6_9null_typeES8_S8_S8_S8_S8_S8_S8_EEEEZNS1_11reduce_implILb1ES3_NS6_12zip_iteratorINS7_INS6_11hip_rocprim26transform_input_iterator_tIbNSD_35transform_pair_of_input_iterators_tIbNS6_6detail15normal_iteratorINS6_10device_ptrIKsEEEESL_NS6_8equal_toIsEEEENSG_9not_fun_tINSD_8identityEEEEENSD_19counting_iterator_tIlEES8_S8_S8_S8_S8_S8_S8_S8_EEEEPS9_S9_NSD_9__find_if7functorIS9_EEEE10hipError_tPvRmT1_T2_T3_mT4_P12ihipStream_tbEUlT_E1_NS1_11comp_targetILNS1_3genE10ELNS1_11target_archE1200ELNS1_3gpuE4ELNS1_3repE0EEENS1_30default_config_static_selectorELNS0_4arch9wavefront6targetE0EEEvS14_.has_dyn_sized_stack, 0
	.set _ZN7rocprim17ROCPRIM_400000_NS6detail17trampoline_kernelINS0_14default_configENS1_22reduce_config_selectorIN6thrust23THRUST_200600_302600_NS5tupleIblNS6_9null_typeES8_S8_S8_S8_S8_S8_S8_EEEEZNS1_11reduce_implILb1ES3_NS6_12zip_iteratorINS7_INS6_11hip_rocprim26transform_input_iterator_tIbNSD_35transform_pair_of_input_iterators_tIbNS6_6detail15normal_iteratorINS6_10device_ptrIKsEEEESL_NS6_8equal_toIsEEEENSG_9not_fun_tINSD_8identityEEEEENSD_19counting_iterator_tIlEES8_S8_S8_S8_S8_S8_S8_S8_EEEEPS9_S9_NSD_9__find_if7functorIS9_EEEE10hipError_tPvRmT1_T2_T3_mT4_P12ihipStream_tbEUlT_E1_NS1_11comp_targetILNS1_3genE10ELNS1_11target_archE1200ELNS1_3gpuE4ELNS1_3repE0EEENS1_30default_config_static_selectorELNS0_4arch9wavefront6targetE0EEEvS14_.has_recursion, 0
	.set _ZN7rocprim17ROCPRIM_400000_NS6detail17trampoline_kernelINS0_14default_configENS1_22reduce_config_selectorIN6thrust23THRUST_200600_302600_NS5tupleIblNS6_9null_typeES8_S8_S8_S8_S8_S8_S8_EEEEZNS1_11reduce_implILb1ES3_NS6_12zip_iteratorINS7_INS6_11hip_rocprim26transform_input_iterator_tIbNSD_35transform_pair_of_input_iterators_tIbNS6_6detail15normal_iteratorINS6_10device_ptrIKsEEEESL_NS6_8equal_toIsEEEENSG_9not_fun_tINSD_8identityEEEEENSD_19counting_iterator_tIlEES8_S8_S8_S8_S8_S8_S8_S8_EEEEPS9_S9_NSD_9__find_if7functorIS9_EEEE10hipError_tPvRmT1_T2_T3_mT4_P12ihipStream_tbEUlT_E1_NS1_11comp_targetILNS1_3genE10ELNS1_11target_archE1200ELNS1_3gpuE4ELNS1_3repE0EEENS1_30default_config_static_selectorELNS0_4arch9wavefront6targetE0EEEvS14_.has_indirect_call, 0
	.section	.AMDGPU.csdata,"",@progbits
; Kernel info:
; codeLenInByte = 0
; TotalNumSgprs: 0
; NumVgprs: 0
; ScratchSize: 0
; MemoryBound: 0
; FloatMode: 240
; IeeeMode: 1
; LDSByteSize: 0 bytes/workgroup (compile time only)
; SGPRBlocks: 0
; VGPRBlocks: 0
; NumSGPRsForWavesPerEU: 1
; NumVGPRsForWavesPerEU: 1
; Occupancy: 16
; WaveLimiterHint : 0
; COMPUTE_PGM_RSRC2:SCRATCH_EN: 0
; COMPUTE_PGM_RSRC2:USER_SGPR: 6
; COMPUTE_PGM_RSRC2:TRAP_HANDLER: 0
; COMPUTE_PGM_RSRC2:TGID_X_EN: 1
; COMPUTE_PGM_RSRC2:TGID_Y_EN: 0
; COMPUTE_PGM_RSRC2:TGID_Z_EN: 0
; COMPUTE_PGM_RSRC2:TIDIG_COMP_CNT: 0
	.section	.text._ZN7rocprim17ROCPRIM_400000_NS6detail17trampoline_kernelINS0_14default_configENS1_22reduce_config_selectorIN6thrust23THRUST_200600_302600_NS5tupleIblNS6_9null_typeES8_S8_S8_S8_S8_S8_S8_EEEEZNS1_11reduce_implILb1ES3_NS6_12zip_iteratorINS7_INS6_11hip_rocprim26transform_input_iterator_tIbNSD_35transform_pair_of_input_iterators_tIbNS6_6detail15normal_iteratorINS6_10device_ptrIKsEEEESL_NS6_8equal_toIsEEEENSG_9not_fun_tINSD_8identityEEEEENSD_19counting_iterator_tIlEES8_S8_S8_S8_S8_S8_S8_S8_EEEEPS9_S9_NSD_9__find_if7functorIS9_EEEE10hipError_tPvRmT1_T2_T3_mT4_P12ihipStream_tbEUlT_E1_NS1_11comp_targetILNS1_3genE9ELNS1_11target_archE1100ELNS1_3gpuE3ELNS1_3repE0EEENS1_30default_config_static_selectorELNS0_4arch9wavefront6targetE0EEEvS14_,"axG",@progbits,_ZN7rocprim17ROCPRIM_400000_NS6detail17trampoline_kernelINS0_14default_configENS1_22reduce_config_selectorIN6thrust23THRUST_200600_302600_NS5tupleIblNS6_9null_typeES8_S8_S8_S8_S8_S8_S8_EEEEZNS1_11reduce_implILb1ES3_NS6_12zip_iteratorINS7_INS6_11hip_rocprim26transform_input_iterator_tIbNSD_35transform_pair_of_input_iterators_tIbNS6_6detail15normal_iteratorINS6_10device_ptrIKsEEEESL_NS6_8equal_toIsEEEENSG_9not_fun_tINSD_8identityEEEEENSD_19counting_iterator_tIlEES8_S8_S8_S8_S8_S8_S8_S8_EEEEPS9_S9_NSD_9__find_if7functorIS9_EEEE10hipError_tPvRmT1_T2_T3_mT4_P12ihipStream_tbEUlT_E1_NS1_11comp_targetILNS1_3genE9ELNS1_11target_archE1100ELNS1_3gpuE3ELNS1_3repE0EEENS1_30default_config_static_selectorELNS0_4arch9wavefront6targetE0EEEvS14_,comdat
	.protected	_ZN7rocprim17ROCPRIM_400000_NS6detail17trampoline_kernelINS0_14default_configENS1_22reduce_config_selectorIN6thrust23THRUST_200600_302600_NS5tupleIblNS6_9null_typeES8_S8_S8_S8_S8_S8_S8_EEEEZNS1_11reduce_implILb1ES3_NS6_12zip_iteratorINS7_INS6_11hip_rocprim26transform_input_iterator_tIbNSD_35transform_pair_of_input_iterators_tIbNS6_6detail15normal_iteratorINS6_10device_ptrIKsEEEESL_NS6_8equal_toIsEEEENSG_9not_fun_tINSD_8identityEEEEENSD_19counting_iterator_tIlEES8_S8_S8_S8_S8_S8_S8_S8_EEEEPS9_S9_NSD_9__find_if7functorIS9_EEEE10hipError_tPvRmT1_T2_T3_mT4_P12ihipStream_tbEUlT_E1_NS1_11comp_targetILNS1_3genE9ELNS1_11target_archE1100ELNS1_3gpuE3ELNS1_3repE0EEENS1_30default_config_static_selectorELNS0_4arch9wavefront6targetE0EEEvS14_ ; -- Begin function _ZN7rocprim17ROCPRIM_400000_NS6detail17trampoline_kernelINS0_14default_configENS1_22reduce_config_selectorIN6thrust23THRUST_200600_302600_NS5tupleIblNS6_9null_typeES8_S8_S8_S8_S8_S8_S8_EEEEZNS1_11reduce_implILb1ES3_NS6_12zip_iteratorINS7_INS6_11hip_rocprim26transform_input_iterator_tIbNSD_35transform_pair_of_input_iterators_tIbNS6_6detail15normal_iteratorINS6_10device_ptrIKsEEEESL_NS6_8equal_toIsEEEENSG_9not_fun_tINSD_8identityEEEEENSD_19counting_iterator_tIlEES8_S8_S8_S8_S8_S8_S8_S8_EEEEPS9_S9_NSD_9__find_if7functorIS9_EEEE10hipError_tPvRmT1_T2_T3_mT4_P12ihipStream_tbEUlT_E1_NS1_11comp_targetILNS1_3genE9ELNS1_11target_archE1100ELNS1_3gpuE3ELNS1_3repE0EEENS1_30default_config_static_selectorELNS0_4arch9wavefront6targetE0EEEvS14_
	.globl	_ZN7rocprim17ROCPRIM_400000_NS6detail17trampoline_kernelINS0_14default_configENS1_22reduce_config_selectorIN6thrust23THRUST_200600_302600_NS5tupleIblNS6_9null_typeES8_S8_S8_S8_S8_S8_S8_EEEEZNS1_11reduce_implILb1ES3_NS6_12zip_iteratorINS7_INS6_11hip_rocprim26transform_input_iterator_tIbNSD_35transform_pair_of_input_iterators_tIbNS6_6detail15normal_iteratorINS6_10device_ptrIKsEEEESL_NS6_8equal_toIsEEEENSG_9not_fun_tINSD_8identityEEEEENSD_19counting_iterator_tIlEES8_S8_S8_S8_S8_S8_S8_S8_EEEEPS9_S9_NSD_9__find_if7functorIS9_EEEE10hipError_tPvRmT1_T2_T3_mT4_P12ihipStream_tbEUlT_E1_NS1_11comp_targetILNS1_3genE9ELNS1_11target_archE1100ELNS1_3gpuE3ELNS1_3repE0EEENS1_30default_config_static_selectorELNS0_4arch9wavefront6targetE0EEEvS14_
	.p2align	8
	.type	_ZN7rocprim17ROCPRIM_400000_NS6detail17trampoline_kernelINS0_14default_configENS1_22reduce_config_selectorIN6thrust23THRUST_200600_302600_NS5tupleIblNS6_9null_typeES8_S8_S8_S8_S8_S8_S8_EEEEZNS1_11reduce_implILb1ES3_NS6_12zip_iteratorINS7_INS6_11hip_rocprim26transform_input_iterator_tIbNSD_35transform_pair_of_input_iterators_tIbNS6_6detail15normal_iteratorINS6_10device_ptrIKsEEEESL_NS6_8equal_toIsEEEENSG_9not_fun_tINSD_8identityEEEEENSD_19counting_iterator_tIlEES8_S8_S8_S8_S8_S8_S8_S8_EEEEPS9_S9_NSD_9__find_if7functorIS9_EEEE10hipError_tPvRmT1_T2_T3_mT4_P12ihipStream_tbEUlT_E1_NS1_11comp_targetILNS1_3genE9ELNS1_11target_archE1100ELNS1_3gpuE3ELNS1_3repE0EEENS1_30default_config_static_selectorELNS0_4arch9wavefront6targetE0EEEvS14_,@function
_ZN7rocprim17ROCPRIM_400000_NS6detail17trampoline_kernelINS0_14default_configENS1_22reduce_config_selectorIN6thrust23THRUST_200600_302600_NS5tupleIblNS6_9null_typeES8_S8_S8_S8_S8_S8_S8_EEEEZNS1_11reduce_implILb1ES3_NS6_12zip_iteratorINS7_INS6_11hip_rocprim26transform_input_iterator_tIbNSD_35transform_pair_of_input_iterators_tIbNS6_6detail15normal_iteratorINS6_10device_ptrIKsEEEESL_NS6_8equal_toIsEEEENSG_9not_fun_tINSD_8identityEEEEENSD_19counting_iterator_tIlEES8_S8_S8_S8_S8_S8_S8_S8_EEEEPS9_S9_NSD_9__find_if7functorIS9_EEEE10hipError_tPvRmT1_T2_T3_mT4_P12ihipStream_tbEUlT_E1_NS1_11comp_targetILNS1_3genE9ELNS1_11target_archE1100ELNS1_3gpuE3ELNS1_3repE0EEENS1_30default_config_static_selectorELNS0_4arch9wavefront6targetE0EEEvS14_: ; @_ZN7rocprim17ROCPRIM_400000_NS6detail17trampoline_kernelINS0_14default_configENS1_22reduce_config_selectorIN6thrust23THRUST_200600_302600_NS5tupleIblNS6_9null_typeES8_S8_S8_S8_S8_S8_S8_EEEEZNS1_11reduce_implILb1ES3_NS6_12zip_iteratorINS7_INS6_11hip_rocprim26transform_input_iterator_tIbNSD_35transform_pair_of_input_iterators_tIbNS6_6detail15normal_iteratorINS6_10device_ptrIKsEEEESL_NS6_8equal_toIsEEEENSG_9not_fun_tINSD_8identityEEEEENSD_19counting_iterator_tIlEES8_S8_S8_S8_S8_S8_S8_S8_EEEEPS9_S9_NSD_9__find_if7functorIS9_EEEE10hipError_tPvRmT1_T2_T3_mT4_P12ihipStream_tbEUlT_E1_NS1_11comp_targetILNS1_3genE9ELNS1_11target_archE1100ELNS1_3gpuE3ELNS1_3repE0EEENS1_30default_config_static_selectorELNS0_4arch9wavefront6targetE0EEEvS14_
; %bb.0:
	.section	.rodata,"a",@progbits
	.p2align	6, 0x0
	.amdhsa_kernel _ZN7rocprim17ROCPRIM_400000_NS6detail17trampoline_kernelINS0_14default_configENS1_22reduce_config_selectorIN6thrust23THRUST_200600_302600_NS5tupleIblNS6_9null_typeES8_S8_S8_S8_S8_S8_S8_EEEEZNS1_11reduce_implILb1ES3_NS6_12zip_iteratorINS7_INS6_11hip_rocprim26transform_input_iterator_tIbNSD_35transform_pair_of_input_iterators_tIbNS6_6detail15normal_iteratorINS6_10device_ptrIKsEEEESL_NS6_8equal_toIsEEEENSG_9not_fun_tINSD_8identityEEEEENSD_19counting_iterator_tIlEES8_S8_S8_S8_S8_S8_S8_S8_EEEEPS9_S9_NSD_9__find_if7functorIS9_EEEE10hipError_tPvRmT1_T2_T3_mT4_P12ihipStream_tbEUlT_E1_NS1_11comp_targetILNS1_3genE9ELNS1_11target_archE1100ELNS1_3gpuE3ELNS1_3repE0EEENS1_30default_config_static_selectorELNS0_4arch9wavefront6targetE0EEEvS14_
		.amdhsa_group_segment_fixed_size 0
		.amdhsa_private_segment_fixed_size 0
		.amdhsa_kernarg_size 88
		.amdhsa_user_sgpr_count 6
		.amdhsa_user_sgpr_private_segment_buffer 1
		.amdhsa_user_sgpr_dispatch_ptr 0
		.amdhsa_user_sgpr_queue_ptr 0
		.amdhsa_user_sgpr_kernarg_segment_ptr 1
		.amdhsa_user_sgpr_dispatch_id 0
		.amdhsa_user_sgpr_flat_scratch_init 0
		.amdhsa_user_sgpr_private_segment_size 0
		.amdhsa_wavefront_size32 1
		.amdhsa_uses_dynamic_stack 0
		.amdhsa_system_sgpr_private_segment_wavefront_offset 0
		.amdhsa_system_sgpr_workgroup_id_x 1
		.amdhsa_system_sgpr_workgroup_id_y 0
		.amdhsa_system_sgpr_workgroup_id_z 0
		.amdhsa_system_sgpr_workgroup_info 0
		.amdhsa_system_vgpr_workitem_id 0
		.amdhsa_next_free_vgpr 1
		.amdhsa_next_free_sgpr 1
		.amdhsa_reserve_vcc 0
		.amdhsa_reserve_flat_scratch 0
		.amdhsa_float_round_mode_32 0
		.amdhsa_float_round_mode_16_64 0
		.amdhsa_float_denorm_mode_32 3
		.amdhsa_float_denorm_mode_16_64 3
		.amdhsa_dx10_clamp 1
		.amdhsa_ieee_mode 1
		.amdhsa_fp16_overflow 0
		.amdhsa_workgroup_processor_mode 1
		.amdhsa_memory_ordered 1
		.amdhsa_forward_progress 1
		.amdhsa_shared_vgpr_count 0
		.amdhsa_exception_fp_ieee_invalid_op 0
		.amdhsa_exception_fp_denorm_src 0
		.amdhsa_exception_fp_ieee_div_zero 0
		.amdhsa_exception_fp_ieee_overflow 0
		.amdhsa_exception_fp_ieee_underflow 0
		.amdhsa_exception_fp_ieee_inexact 0
		.amdhsa_exception_int_div_zero 0
	.end_amdhsa_kernel
	.section	.text._ZN7rocprim17ROCPRIM_400000_NS6detail17trampoline_kernelINS0_14default_configENS1_22reduce_config_selectorIN6thrust23THRUST_200600_302600_NS5tupleIblNS6_9null_typeES8_S8_S8_S8_S8_S8_S8_EEEEZNS1_11reduce_implILb1ES3_NS6_12zip_iteratorINS7_INS6_11hip_rocprim26transform_input_iterator_tIbNSD_35transform_pair_of_input_iterators_tIbNS6_6detail15normal_iteratorINS6_10device_ptrIKsEEEESL_NS6_8equal_toIsEEEENSG_9not_fun_tINSD_8identityEEEEENSD_19counting_iterator_tIlEES8_S8_S8_S8_S8_S8_S8_S8_EEEEPS9_S9_NSD_9__find_if7functorIS9_EEEE10hipError_tPvRmT1_T2_T3_mT4_P12ihipStream_tbEUlT_E1_NS1_11comp_targetILNS1_3genE9ELNS1_11target_archE1100ELNS1_3gpuE3ELNS1_3repE0EEENS1_30default_config_static_selectorELNS0_4arch9wavefront6targetE0EEEvS14_,"axG",@progbits,_ZN7rocprim17ROCPRIM_400000_NS6detail17trampoline_kernelINS0_14default_configENS1_22reduce_config_selectorIN6thrust23THRUST_200600_302600_NS5tupleIblNS6_9null_typeES8_S8_S8_S8_S8_S8_S8_EEEEZNS1_11reduce_implILb1ES3_NS6_12zip_iteratorINS7_INS6_11hip_rocprim26transform_input_iterator_tIbNSD_35transform_pair_of_input_iterators_tIbNS6_6detail15normal_iteratorINS6_10device_ptrIKsEEEESL_NS6_8equal_toIsEEEENSG_9not_fun_tINSD_8identityEEEEENSD_19counting_iterator_tIlEES8_S8_S8_S8_S8_S8_S8_S8_EEEEPS9_S9_NSD_9__find_if7functorIS9_EEEE10hipError_tPvRmT1_T2_T3_mT4_P12ihipStream_tbEUlT_E1_NS1_11comp_targetILNS1_3genE9ELNS1_11target_archE1100ELNS1_3gpuE3ELNS1_3repE0EEENS1_30default_config_static_selectorELNS0_4arch9wavefront6targetE0EEEvS14_,comdat
.Lfunc_end314:
	.size	_ZN7rocprim17ROCPRIM_400000_NS6detail17trampoline_kernelINS0_14default_configENS1_22reduce_config_selectorIN6thrust23THRUST_200600_302600_NS5tupleIblNS6_9null_typeES8_S8_S8_S8_S8_S8_S8_EEEEZNS1_11reduce_implILb1ES3_NS6_12zip_iteratorINS7_INS6_11hip_rocprim26transform_input_iterator_tIbNSD_35transform_pair_of_input_iterators_tIbNS6_6detail15normal_iteratorINS6_10device_ptrIKsEEEESL_NS6_8equal_toIsEEEENSG_9not_fun_tINSD_8identityEEEEENSD_19counting_iterator_tIlEES8_S8_S8_S8_S8_S8_S8_S8_EEEEPS9_S9_NSD_9__find_if7functorIS9_EEEE10hipError_tPvRmT1_T2_T3_mT4_P12ihipStream_tbEUlT_E1_NS1_11comp_targetILNS1_3genE9ELNS1_11target_archE1100ELNS1_3gpuE3ELNS1_3repE0EEENS1_30default_config_static_selectorELNS0_4arch9wavefront6targetE0EEEvS14_, .Lfunc_end314-_ZN7rocprim17ROCPRIM_400000_NS6detail17trampoline_kernelINS0_14default_configENS1_22reduce_config_selectorIN6thrust23THRUST_200600_302600_NS5tupleIblNS6_9null_typeES8_S8_S8_S8_S8_S8_S8_EEEEZNS1_11reduce_implILb1ES3_NS6_12zip_iteratorINS7_INS6_11hip_rocprim26transform_input_iterator_tIbNSD_35transform_pair_of_input_iterators_tIbNS6_6detail15normal_iteratorINS6_10device_ptrIKsEEEESL_NS6_8equal_toIsEEEENSG_9not_fun_tINSD_8identityEEEEENSD_19counting_iterator_tIlEES8_S8_S8_S8_S8_S8_S8_S8_EEEEPS9_S9_NSD_9__find_if7functorIS9_EEEE10hipError_tPvRmT1_T2_T3_mT4_P12ihipStream_tbEUlT_E1_NS1_11comp_targetILNS1_3genE9ELNS1_11target_archE1100ELNS1_3gpuE3ELNS1_3repE0EEENS1_30default_config_static_selectorELNS0_4arch9wavefront6targetE0EEEvS14_
                                        ; -- End function
	.set _ZN7rocprim17ROCPRIM_400000_NS6detail17trampoline_kernelINS0_14default_configENS1_22reduce_config_selectorIN6thrust23THRUST_200600_302600_NS5tupleIblNS6_9null_typeES8_S8_S8_S8_S8_S8_S8_EEEEZNS1_11reduce_implILb1ES3_NS6_12zip_iteratorINS7_INS6_11hip_rocprim26transform_input_iterator_tIbNSD_35transform_pair_of_input_iterators_tIbNS6_6detail15normal_iteratorINS6_10device_ptrIKsEEEESL_NS6_8equal_toIsEEEENSG_9not_fun_tINSD_8identityEEEEENSD_19counting_iterator_tIlEES8_S8_S8_S8_S8_S8_S8_S8_EEEEPS9_S9_NSD_9__find_if7functorIS9_EEEE10hipError_tPvRmT1_T2_T3_mT4_P12ihipStream_tbEUlT_E1_NS1_11comp_targetILNS1_3genE9ELNS1_11target_archE1100ELNS1_3gpuE3ELNS1_3repE0EEENS1_30default_config_static_selectorELNS0_4arch9wavefront6targetE0EEEvS14_.num_vgpr, 0
	.set _ZN7rocprim17ROCPRIM_400000_NS6detail17trampoline_kernelINS0_14default_configENS1_22reduce_config_selectorIN6thrust23THRUST_200600_302600_NS5tupleIblNS6_9null_typeES8_S8_S8_S8_S8_S8_S8_EEEEZNS1_11reduce_implILb1ES3_NS6_12zip_iteratorINS7_INS6_11hip_rocprim26transform_input_iterator_tIbNSD_35transform_pair_of_input_iterators_tIbNS6_6detail15normal_iteratorINS6_10device_ptrIKsEEEESL_NS6_8equal_toIsEEEENSG_9not_fun_tINSD_8identityEEEEENSD_19counting_iterator_tIlEES8_S8_S8_S8_S8_S8_S8_S8_EEEEPS9_S9_NSD_9__find_if7functorIS9_EEEE10hipError_tPvRmT1_T2_T3_mT4_P12ihipStream_tbEUlT_E1_NS1_11comp_targetILNS1_3genE9ELNS1_11target_archE1100ELNS1_3gpuE3ELNS1_3repE0EEENS1_30default_config_static_selectorELNS0_4arch9wavefront6targetE0EEEvS14_.num_agpr, 0
	.set _ZN7rocprim17ROCPRIM_400000_NS6detail17trampoline_kernelINS0_14default_configENS1_22reduce_config_selectorIN6thrust23THRUST_200600_302600_NS5tupleIblNS6_9null_typeES8_S8_S8_S8_S8_S8_S8_EEEEZNS1_11reduce_implILb1ES3_NS6_12zip_iteratorINS7_INS6_11hip_rocprim26transform_input_iterator_tIbNSD_35transform_pair_of_input_iterators_tIbNS6_6detail15normal_iteratorINS6_10device_ptrIKsEEEESL_NS6_8equal_toIsEEEENSG_9not_fun_tINSD_8identityEEEEENSD_19counting_iterator_tIlEES8_S8_S8_S8_S8_S8_S8_S8_EEEEPS9_S9_NSD_9__find_if7functorIS9_EEEE10hipError_tPvRmT1_T2_T3_mT4_P12ihipStream_tbEUlT_E1_NS1_11comp_targetILNS1_3genE9ELNS1_11target_archE1100ELNS1_3gpuE3ELNS1_3repE0EEENS1_30default_config_static_selectorELNS0_4arch9wavefront6targetE0EEEvS14_.numbered_sgpr, 0
	.set _ZN7rocprim17ROCPRIM_400000_NS6detail17trampoline_kernelINS0_14default_configENS1_22reduce_config_selectorIN6thrust23THRUST_200600_302600_NS5tupleIblNS6_9null_typeES8_S8_S8_S8_S8_S8_S8_EEEEZNS1_11reduce_implILb1ES3_NS6_12zip_iteratorINS7_INS6_11hip_rocprim26transform_input_iterator_tIbNSD_35transform_pair_of_input_iterators_tIbNS6_6detail15normal_iteratorINS6_10device_ptrIKsEEEESL_NS6_8equal_toIsEEEENSG_9not_fun_tINSD_8identityEEEEENSD_19counting_iterator_tIlEES8_S8_S8_S8_S8_S8_S8_S8_EEEEPS9_S9_NSD_9__find_if7functorIS9_EEEE10hipError_tPvRmT1_T2_T3_mT4_P12ihipStream_tbEUlT_E1_NS1_11comp_targetILNS1_3genE9ELNS1_11target_archE1100ELNS1_3gpuE3ELNS1_3repE0EEENS1_30default_config_static_selectorELNS0_4arch9wavefront6targetE0EEEvS14_.num_named_barrier, 0
	.set _ZN7rocprim17ROCPRIM_400000_NS6detail17trampoline_kernelINS0_14default_configENS1_22reduce_config_selectorIN6thrust23THRUST_200600_302600_NS5tupleIblNS6_9null_typeES8_S8_S8_S8_S8_S8_S8_EEEEZNS1_11reduce_implILb1ES3_NS6_12zip_iteratorINS7_INS6_11hip_rocprim26transform_input_iterator_tIbNSD_35transform_pair_of_input_iterators_tIbNS6_6detail15normal_iteratorINS6_10device_ptrIKsEEEESL_NS6_8equal_toIsEEEENSG_9not_fun_tINSD_8identityEEEEENSD_19counting_iterator_tIlEES8_S8_S8_S8_S8_S8_S8_S8_EEEEPS9_S9_NSD_9__find_if7functorIS9_EEEE10hipError_tPvRmT1_T2_T3_mT4_P12ihipStream_tbEUlT_E1_NS1_11comp_targetILNS1_3genE9ELNS1_11target_archE1100ELNS1_3gpuE3ELNS1_3repE0EEENS1_30default_config_static_selectorELNS0_4arch9wavefront6targetE0EEEvS14_.private_seg_size, 0
	.set _ZN7rocprim17ROCPRIM_400000_NS6detail17trampoline_kernelINS0_14default_configENS1_22reduce_config_selectorIN6thrust23THRUST_200600_302600_NS5tupleIblNS6_9null_typeES8_S8_S8_S8_S8_S8_S8_EEEEZNS1_11reduce_implILb1ES3_NS6_12zip_iteratorINS7_INS6_11hip_rocprim26transform_input_iterator_tIbNSD_35transform_pair_of_input_iterators_tIbNS6_6detail15normal_iteratorINS6_10device_ptrIKsEEEESL_NS6_8equal_toIsEEEENSG_9not_fun_tINSD_8identityEEEEENSD_19counting_iterator_tIlEES8_S8_S8_S8_S8_S8_S8_S8_EEEEPS9_S9_NSD_9__find_if7functorIS9_EEEE10hipError_tPvRmT1_T2_T3_mT4_P12ihipStream_tbEUlT_E1_NS1_11comp_targetILNS1_3genE9ELNS1_11target_archE1100ELNS1_3gpuE3ELNS1_3repE0EEENS1_30default_config_static_selectorELNS0_4arch9wavefront6targetE0EEEvS14_.uses_vcc, 0
	.set _ZN7rocprim17ROCPRIM_400000_NS6detail17trampoline_kernelINS0_14default_configENS1_22reduce_config_selectorIN6thrust23THRUST_200600_302600_NS5tupleIblNS6_9null_typeES8_S8_S8_S8_S8_S8_S8_EEEEZNS1_11reduce_implILb1ES3_NS6_12zip_iteratorINS7_INS6_11hip_rocprim26transform_input_iterator_tIbNSD_35transform_pair_of_input_iterators_tIbNS6_6detail15normal_iteratorINS6_10device_ptrIKsEEEESL_NS6_8equal_toIsEEEENSG_9not_fun_tINSD_8identityEEEEENSD_19counting_iterator_tIlEES8_S8_S8_S8_S8_S8_S8_S8_EEEEPS9_S9_NSD_9__find_if7functorIS9_EEEE10hipError_tPvRmT1_T2_T3_mT4_P12ihipStream_tbEUlT_E1_NS1_11comp_targetILNS1_3genE9ELNS1_11target_archE1100ELNS1_3gpuE3ELNS1_3repE0EEENS1_30default_config_static_selectorELNS0_4arch9wavefront6targetE0EEEvS14_.uses_flat_scratch, 0
	.set _ZN7rocprim17ROCPRIM_400000_NS6detail17trampoline_kernelINS0_14default_configENS1_22reduce_config_selectorIN6thrust23THRUST_200600_302600_NS5tupleIblNS6_9null_typeES8_S8_S8_S8_S8_S8_S8_EEEEZNS1_11reduce_implILb1ES3_NS6_12zip_iteratorINS7_INS6_11hip_rocprim26transform_input_iterator_tIbNSD_35transform_pair_of_input_iterators_tIbNS6_6detail15normal_iteratorINS6_10device_ptrIKsEEEESL_NS6_8equal_toIsEEEENSG_9not_fun_tINSD_8identityEEEEENSD_19counting_iterator_tIlEES8_S8_S8_S8_S8_S8_S8_S8_EEEEPS9_S9_NSD_9__find_if7functorIS9_EEEE10hipError_tPvRmT1_T2_T3_mT4_P12ihipStream_tbEUlT_E1_NS1_11comp_targetILNS1_3genE9ELNS1_11target_archE1100ELNS1_3gpuE3ELNS1_3repE0EEENS1_30default_config_static_selectorELNS0_4arch9wavefront6targetE0EEEvS14_.has_dyn_sized_stack, 0
	.set _ZN7rocprim17ROCPRIM_400000_NS6detail17trampoline_kernelINS0_14default_configENS1_22reduce_config_selectorIN6thrust23THRUST_200600_302600_NS5tupleIblNS6_9null_typeES8_S8_S8_S8_S8_S8_S8_EEEEZNS1_11reduce_implILb1ES3_NS6_12zip_iteratorINS7_INS6_11hip_rocprim26transform_input_iterator_tIbNSD_35transform_pair_of_input_iterators_tIbNS6_6detail15normal_iteratorINS6_10device_ptrIKsEEEESL_NS6_8equal_toIsEEEENSG_9not_fun_tINSD_8identityEEEEENSD_19counting_iterator_tIlEES8_S8_S8_S8_S8_S8_S8_S8_EEEEPS9_S9_NSD_9__find_if7functorIS9_EEEE10hipError_tPvRmT1_T2_T3_mT4_P12ihipStream_tbEUlT_E1_NS1_11comp_targetILNS1_3genE9ELNS1_11target_archE1100ELNS1_3gpuE3ELNS1_3repE0EEENS1_30default_config_static_selectorELNS0_4arch9wavefront6targetE0EEEvS14_.has_recursion, 0
	.set _ZN7rocprim17ROCPRIM_400000_NS6detail17trampoline_kernelINS0_14default_configENS1_22reduce_config_selectorIN6thrust23THRUST_200600_302600_NS5tupleIblNS6_9null_typeES8_S8_S8_S8_S8_S8_S8_EEEEZNS1_11reduce_implILb1ES3_NS6_12zip_iteratorINS7_INS6_11hip_rocprim26transform_input_iterator_tIbNSD_35transform_pair_of_input_iterators_tIbNS6_6detail15normal_iteratorINS6_10device_ptrIKsEEEESL_NS6_8equal_toIsEEEENSG_9not_fun_tINSD_8identityEEEEENSD_19counting_iterator_tIlEES8_S8_S8_S8_S8_S8_S8_S8_EEEEPS9_S9_NSD_9__find_if7functorIS9_EEEE10hipError_tPvRmT1_T2_T3_mT4_P12ihipStream_tbEUlT_E1_NS1_11comp_targetILNS1_3genE9ELNS1_11target_archE1100ELNS1_3gpuE3ELNS1_3repE0EEENS1_30default_config_static_selectorELNS0_4arch9wavefront6targetE0EEEvS14_.has_indirect_call, 0
	.section	.AMDGPU.csdata,"",@progbits
; Kernel info:
; codeLenInByte = 0
; TotalNumSgprs: 0
; NumVgprs: 0
; ScratchSize: 0
; MemoryBound: 0
; FloatMode: 240
; IeeeMode: 1
; LDSByteSize: 0 bytes/workgroup (compile time only)
; SGPRBlocks: 0
; VGPRBlocks: 0
; NumSGPRsForWavesPerEU: 1
; NumVGPRsForWavesPerEU: 1
; Occupancy: 16
; WaveLimiterHint : 0
; COMPUTE_PGM_RSRC2:SCRATCH_EN: 0
; COMPUTE_PGM_RSRC2:USER_SGPR: 6
; COMPUTE_PGM_RSRC2:TRAP_HANDLER: 0
; COMPUTE_PGM_RSRC2:TGID_X_EN: 1
; COMPUTE_PGM_RSRC2:TGID_Y_EN: 0
; COMPUTE_PGM_RSRC2:TGID_Z_EN: 0
; COMPUTE_PGM_RSRC2:TIDIG_COMP_CNT: 0
	.section	.text._ZN7rocprim17ROCPRIM_400000_NS6detail17trampoline_kernelINS0_14default_configENS1_22reduce_config_selectorIN6thrust23THRUST_200600_302600_NS5tupleIblNS6_9null_typeES8_S8_S8_S8_S8_S8_S8_EEEEZNS1_11reduce_implILb1ES3_NS6_12zip_iteratorINS7_INS6_11hip_rocprim26transform_input_iterator_tIbNSD_35transform_pair_of_input_iterators_tIbNS6_6detail15normal_iteratorINS6_10device_ptrIKsEEEESL_NS6_8equal_toIsEEEENSG_9not_fun_tINSD_8identityEEEEENSD_19counting_iterator_tIlEES8_S8_S8_S8_S8_S8_S8_S8_EEEEPS9_S9_NSD_9__find_if7functorIS9_EEEE10hipError_tPvRmT1_T2_T3_mT4_P12ihipStream_tbEUlT_E1_NS1_11comp_targetILNS1_3genE8ELNS1_11target_archE1030ELNS1_3gpuE2ELNS1_3repE0EEENS1_30default_config_static_selectorELNS0_4arch9wavefront6targetE0EEEvS14_,"axG",@progbits,_ZN7rocprim17ROCPRIM_400000_NS6detail17trampoline_kernelINS0_14default_configENS1_22reduce_config_selectorIN6thrust23THRUST_200600_302600_NS5tupleIblNS6_9null_typeES8_S8_S8_S8_S8_S8_S8_EEEEZNS1_11reduce_implILb1ES3_NS6_12zip_iteratorINS7_INS6_11hip_rocprim26transform_input_iterator_tIbNSD_35transform_pair_of_input_iterators_tIbNS6_6detail15normal_iteratorINS6_10device_ptrIKsEEEESL_NS6_8equal_toIsEEEENSG_9not_fun_tINSD_8identityEEEEENSD_19counting_iterator_tIlEES8_S8_S8_S8_S8_S8_S8_S8_EEEEPS9_S9_NSD_9__find_if7functorIS9_EEEE10hipError_tPvRmT1_T2_T3_mT4_P12ihipStream_tbEUlT_E1_NS1_11comp_targetILNS1_3genE8ELNS1_11target_archE1030ELNS1_3gpuE2ELNS1_3repE0EEENS1_30default_config_static_selectorELNS0_4arch9wavefront6targetE0EEEvS14_,comdat
	.protected	_ZN7rocprim17ROCPRIM_400000_NS6detail17trampoline_kernelINS0_14default_configENS1_22reduce_config_selectorIN6thrust23THRUST_200600_302600_NS5tupleIblNS6_9null_typeES8_S8_S8_S8_S8_S8_S8_EEEEZNS1_11reduce_implILb1ES3_NS6_12zip_iteratorINS7_INS6_11hip_rocprim26transform_input_iterator_tIbNSD_35transform_pair_of_input_iterators_tIbNS6_6detail15normal_iteratorINS6_10device_ptrIKsEEEESL_NS6_8equal_toIsEEEENSG_9not_fun_tINSD_8identityEEEEENSD_19counting_iterator_tIlEES8_S8_S8_S8_S8_S8_S8_S8_EEEEPS9_S9_NSD_9__find_if7functorIS9_EEEE10hipError_tPvRmT1_T2_T3_mT4_P12ihipStream_tbEUlT_E1_NS1_11comp_targetILNS1_3genE8ELNS1_11target_archE1030ELNS1_3gpuE2ELNS1_3repE0EEENS1_30default_config_static_selectorELNS0_4arch9wavefront6targetE0EEEvS14_ ; -- Begin function _ZN7rocprim17ROCPRIM_400000_NS6detail17trampoline_kernelINS0_14default_configENS1_22reduce_config_selectorIN6thrust23THRUST_200600_302600_NS5tupleIblNS6_9null_typeES8_S8_S8_S8_S8_S8_S8_EEEEZNS1_11reduce_implILb1ES3_NS6_12zip_iteratorINS7_INS6_11hip_rocprim26transform_input_iterator_tIbNSD_35transform_pair_of_input_iterators_tIbNS6_6detail15normal_iteratorINS6_10device_ptrIKsEEEESL_NS6_8equal_toIsEEEENSG_9not_fun_tINSD_8identityEEEEENSD_19counting_iterator_tIlEES8_S8_S8_S8_S8_S8_S8_S8_EEEEPS9_S9_NSD_9__find_if7functorIS9_EEEE10hipError_tPvRmT1_T2_T3_mT4_P12ihipStream_tbEUlT_E1_NS1_11comp_targetILNS1_3genE8ELNS1_11target_archE1030ELNS1_3gpuE2ELNS1_3repE0EEENS1_30default_config_static_selectorELNS0_4arch9wavefront6targetE0EEEvS14_
	.globl	_ZN7rocprim17ROCPRIM_400000_NS6detail17trampoline_kernelINS0_14default_configENS1_22reduce_config_selectorIN6thrust23THRUST_200600_302600_NS5tupleIblNS6_9null_typeES8_S8_S8_S8_S8_S8_S8_EEEEZNS1_11reduce_implILb1ES3_NS6_12zip_iteratorINS7_INS6_11hip_rocprim26transform_input_iterator_tIbNSD_35transform_pair_of_input_iterators_tIbNS6_6detail15normal_iteratorINS6_10device_ptrIKsEEEESL_NS6_8equal_toIsEEEENSG_9not_fun_tINSD_8identityEEEEENSD_19counting_iterator_tIlEES8_S8_S8_S8_S8_S8_S8_S8_EEEEPS9_S9_NSD_9__find_if7functorIS9_EEEE10hipError_tPvRmT1_T2_T3_mT4_P12ihipStream_tbEUlT_E1_NS1_11comp_targetILNS1_3genE8ELNS1_11target_archE1030ELNS1_3gpuE2ELNS1_3repE0EEENS1_30default_config_static_selectorELNS0_4arch9wavefront6targetE0EEEvS14_
	.p2align	8
	.type	_ZN7rocprim17ROCPRIM_400000_NS6detail17trampoline_kernelINS0_14default_configENS1_22reduce_config_selectorIN6thrust23THRUST_200600_302600_NS5tupleIblNS6_9null_typeES8_S8_S8_S8_S8_S8_S8_EEEEZNS1_11reduce_implILb1ES3_NS6_12zip_iteratorINS7_INS6_11hip_rocprim26transform_input_iterator_tIbNSD_35transform_pair_of_input_iterators_tIbNS6_6detail15normal_iteratorINS6_10device_ptrIKsEEEESL_NS6_8equal_toIsEEEENSG_9not_fun_tINSD_8identityEEEEENSD_19counting_iterator_tIlEES8_S8_S8_S8_S8_S8_S8_S8_EEEEPS9_S9_NSD_9__find_if7functorIS9_EEEE10hipError_tPvRmT1_T2_T3_mT4_P12ihipStream_tbEUlT_E1_NS1_11comp_targetILNS1_3genE8ELNS1_11target_archE1030ELNS1_3gpuE2ELNS1_3repE0EEENS1_30default_config_static_selectorELNS0_4arch9wavefront6targetE0EEEvS14_,@function
_ZN7rocprim17ROCPRIM_400000_NS6detail17trampoline_kernelINS0_14default_configENS1_22reduce_config_selectorIN6thrust23THRUST_200600_302600_NS5tupleIblNS6_9null_typeES8_S8_S8_S8_S8_S8_S8_EEEEZNS1_11reduce_implILb1ES3_NS6_12zip_iteratorINS7_INS6_11hip_rocprim26transform_input_iterator_tIbNSD_35transform_pair_of_input_iterators_tIbNS6_6detail15normal_iteratorINS6_10device_ptrIKsEEEESL_NS6_8equal_toIsEEEENSG_9not_fun_tINSD_8identityEEEEENSD_19counting_iterator_tIlEES8_S8_S8_S8_S8_S8_S8_S8_EEEEPS9_S9_NSD_9__find_if7functorIS9_EEEE10hipError_tPvRmT1_T2_T3_mT4_P12ihipStream_tbEUlT_E1_NS1_11comp_targetILNS1_3genE8ELNS1_11target_archE1030ELNS1_3gpuE2ELNS1_3repE0EEENS1_30default_config_static_selectorELNS0_4arch9wavefront6targetE0EEEvS14_: ; @_ZN7rocprim17ROCPRIM_400000_NS6detail17trampoline_kernelINS0_14default_configENS1_22reduce_config_selectorIN6thrust23THRUST_200600_302600_NS5tupleIblNS6_9null_typeES8_S8_S8_S8_S8_S8_S8_EEEEZNS1_11reduce_implILb1ES3_NS6_12zip_iteratorINS7_INS6_11hip_rocprim26transform_input_iterator_tIbNSD_35transform_pair_of_input_iterators_tIbNS6_6detail15normal_iteratorINS6_10device_ptrIKsEEEESL_NS6_8equal_toIsEEEENSG_9not_fun_tINSD_8identityEEEEENSD_19counting_iterator_tIlEES8_S8_S8_S8_S8_S8_S8_S8_EEEEPS9_S9_NSD_9__find_if7functorIS9_EEEE10hipError_tPvRmT1_T2_T3_mT4_P12ihipStream_tbEUlT_E1_NS1_11comp_targetILNS1_3genE8ELNS1_11target_archE1030ELNS1_3gpuE2ELNS1_3repE0EEENS1_30default_config_static_selectorELNS0_4arch9wavefront6targetE0EEEvS14_
; %bb.0:
	s_clause 0x4
	s_load_dword s25, s[4:5], 0x4
	s_load_dwordx4 s[16:19], s[4:5], 0x8
	s_load_dwordx4 s[12:15], s[4:5], 0x28
	s_load_dword s24, s[4:5], 0x40
	s_load_dwordx2 s[20:21], s[4:5], 0x48
	s_waitcnt lgkmcnt(0)
	s_cmp_lt_i32 s25, 4
	s_cbranch_scc1 .LBB315_21
; %bb.1:
	s_cmp_gt_i32 s25, 7
	s_cbranch_scc0 .LBB315_22
; %bb.2:
	s_cmp_eq_u32 s25, 8
	s_mov_b32 s26, 0
	s_cbranch_scc0 .LBB315_23
; %bb.3:
	s_mov_b32 s7, 0
	s_lshl_b32 s8, s6, 11
	s_mov_b32 s9, s7
	s_lshr_b64 s[2:3], s[14:15], 11
	s_lshl_b64 s[0:1], s[8:9], 1
	s_add_u32 s10, s16, s0
	s_addc_u32 s11, s17, s1
	s_add_u32 s22, s18, s0
	s_addc_u32 s23, s19, s1
	;; [unrolled: 2-line block ×3, first 2 shown]
	s_cmp_lg_u64 s[2:3], s[6:7]
	s_cbranch_scc0 .LBB315_44
; %bb.4:
	v_lshlrev_b32_e32 v1, 1, v0
	s_clause 0x7
	global_load_ushort v6, v1, s[10:11]
	global_load_ushort v7, v1, s[22:23]
	global_load_ushort v8, v1, s[10:11] offset:512
	global_load_ushort v9, v1, s[22:23] offset:512
	;; [unrolled: 1-line block ×6, first 2 shown]
	v_add_co_u32 v3, s0, s10, v1
	v_add_co_ci_u32_e64 v4, null, s11, 0, s0
	v_add_co_u32 v2, s0, s22, v1
	v_add_co_ci_u32_e64 v5, null, s23, 0, s0
	v_add_co_u32 v1, vcc_lo, 0x800, v2
	v_add_co_ci_u32_e64 v2, null, 0, v5, vcc_lo
	v_add_co_u32 v3, vcc_lo, 0x800, v3
	v_add_co_ci_u32_e64 v4, null, 0, v4, vcc_lo
	global_load_ushort v5, v[1:2], off
	s_clause 0x1
	global_load_ushort v14, v[3:4], off
	global_load_ushort v15, v[3:4], off offset:512
	s_clause 0x1
	global_load_ushort v16, v[1:2], off offset:512
	global_load_ushort v17, v[1:2], off offset:1024
	s_clause 0x1
	global_load_ushort v18, v[3:4], off offset:1024
	global_load_ushort v3, v[3:4], off offset:1536
	;; [unrolled: 1-line block ×3, first 2 shown]
	v_mov_b32_e32 v2, 0x100
	v_mov_b32_e32 v4, 0x300
	s_waitcnt vmcnt(14)
	v_cmp_ne_u16_e64 s0, v6, v7
	v_mov_b32_e32 v6, 0x500
	s_waitcnt vmcnt(12)
	v_cmp_ne_u16_e32 vcc_lo, v8, v9
	s_waitcnt vmcnt(10)
	v_cmp_ne_u16_e64 s1, v10, v11
	s_waitcnt vmcnt(8)
	v_cmp_ne_u16_e64 s2, v13, v12
	v_cndmask_b32_e32 v2, 0x200, v2, vcc_lo
	v_cndmask_b32_e64 v4, 0x400, v4, s2
	v_cndmask_b32_e64 v2, v2, 0, s0
	s_or_b32 s0, s0, vcc_lo
	s_or_b32 s0, s0, s1
	s_or_b32 s2, s0, s2
	v_cndmask_b32_e64 v2, v4, v2, s0
	s_waitcnt vmcnt(6)
	v_cmp_ne_u16_e32 vcc_lo, v14, v5
	s_waitcnt vmcnt(4)
	v_cmp_ne_u16_e64 s1, v15, v16
	s_waitcnt vmcnt(2)
	v_cmp_ne_u16_e64 s0, v18, v17
	s_or_b32 vcc_lo, s2, vcc_lo
	v_cndmask_b32_e64 v4, 0x600, v6, s1
	s_or_b32 s1, vcc_lo, s1
	v_cndmask_b32_e32 v2, v4, v2, vcc_lo
	s_or_b32 vcc_lo, s1, s0
	v_add_co_u32 v4, s0, s28, v0
	v_add_co_ci_u32_e64 v5, null, s29, 0, s0
	v_cndmask_b32_e32 v2, 0x700, v2, vcc_lo
	s_waitcnt vmcnt(0)
	v_cmp_ne_u16_e64 s0, v3, v1
	v_add_co_u32 v1, s1, v4, v2
	v_add_co_ci_u32_e64 v2, null, 0, v5, s1
	s_or_b32 s0, vcc_lo, s0
	v_mov_b32_dpp v3, v1 quad_perm:[1,0,3,2] row_mask:0xf bank_mask:0xf
	v_cndmask_b32_e64 v5, 0, 1, s0
	v_mov_b32_dpp v4, v2 quad_perm:[1,0,3,2] row_mask:0xf bank_mask:0xf
	v_mov_b32_dpp v6, v5 quad_perm:[1,0,3,2] row_mask:0xf bank_mask:0xf
	v_cmp_lt_i64_e32 vcc_lo, v[1:2], v[3:4]
	v_and_b32_e32 v6, 1, v6
	s_and_b32 vcc_lo, s0, vcc_lo
	v_cndmask_b32_e32 v3, v3, v1, vcc_lo
	v_cndmask_b32_e32 v4, v4, v2, vcc_lo
	v_cmp_eq_u32_e32 vcc_lo, 1, v6
	v_cndmask_b32_e32 v2, v2, v4, vcc_lo
	v_cndmask_b32_e32 v1, v1, v3, vcc_lo
	v_cndmask_b32_e64 v5, v5, 1, vcc_lo
	v_mov_b32_dpp v4, v2 quad_perm:[2,3,0,1] row_mask:0xf bank_mask:0xf
	v_mov_b32_dpp v3, v1 quad_perm:[2,3,0,1] row_mask:0xf bank_mask:0xf
	v_and_b32_e32 v7, 1, v5
	v_mov_b32_dpp v6, v5 quad_perm:[2,3,0,1] row_mask:0xf bank_mask:0xf
	v_cmp_lt_i64_e32 vcc_lo, v[1:2], v[3:4]
	v_cmp_eq_u32_e64 s0, 1, v7
	v_and_b32_e32 v6, 1, v6
	s_and_b32 vcc_lo, s0, vcc_lo
	v_cmp_eq_u32_e64 s1, 1, v6
	v_cndmask_b32_e32 v3, v3, v1, vcc_lo
	v_cndmask_b32_e32 v4, v4, v2, vcc_lo
	v_cndmask_b32_e64 v5, v5, 1, s1
	v_cndmask_b32_e64 v1, v1, v3, s1
	;; [unrolled: 1-line block ×3, first 2 shown]
	v_and_b32_e32 v7, 1, v5
	v_mov_b32_dpp v3, v1 row_ror:4 row_mask:0xf bank_mask:0xf
	v_mov_b32_dpp v4, v2 row_ror:4 row_mask:0xf bank_mask:0xf
	;; [unrolled: 1-line block ×3, first 2 shown]
	v_cmp_eq_u32_e64 s0, 1, v7
	v_cmp_lt_i64_e32 vcc_lo, v[1:2], v[3:4]
	v_and_b32_e32 v6, 1, v6
	s_and_b32 vcc_lo, s0, vcc_lo
	v_cmp_eq_u32_e64 s1, 1, v6
	v_cndmask_b32_e32 v3, v3, v1, vcc_lo
	v_cndmask_b32_e32 v4, v4, v2, vcc_lo
	v_cndmask_b32_e64 v5, v5, 1, s1
	v_cndmask_b32_e64 v1, v1, v3, s1
	;; [unrolled: 1-line block ×3, first 2 shown]
	v_and_b32_e32 v7, 1, v5
	v_mov_b32_dpp v3, v1 row_ror:8 row_mask:0xf bank_mask:0xf
	v_mov_b32_dpp v4, v2 row_ror:8 row_mask:0xf bank_mask:0xf
	;; [unrolled: 1-line block ×3, first 2 shown]
	v_cmp_eq_u32_e64 s0, 1, v7
	v_cmp_lt_i64_e32 vcc_lo, v[1:2], v[3:4]
	v_and_b32_e32 v6, 1, v6
	s_and_b32 vcc_lo, s0, vcc_lo
	v_cmp_eq_u32_e64 s1, 1, v6
	v_cndmask_b32_e32 v3, v3, v1, vcc_lo
	v_cndmask_b32_e32 v4, v4, v2, vcc_lo
	v_cndmask_b32_e64 v5, v5, 1, s1
	v_cndmask_b32_e64 v1, v1, v3, s1
	;; [unrolled: 1-line block ×3, first 2 shown]
	ds_swizzle_b32 v6, v5 offset:swizzle(BROADCAST,32,15)
	ds_swizzle_b32 v3, v1 offset:swizzle(BROADCAST,32,15)
	;; [unrolled: 1-line block ×3, first 2 shown]
	v_and_b32_e32 v7, 1, v5
	v_cmp_eq_u32_e64 s0, 1, v7
	v_mbcnt_lo_u32_b32 v7, -1, 0
	s_waitcnt lgkmcnt(2)
	v_and_b32_e32 v6, 1, v6
	s_waitcnt lgkmcnt(0)
	v_cmp_lt_i64_e32 vcc_lo, v[1:2], v[3:4]
	v_cmp_eq_u32_e64 s1, 1, v6
	v_mov_b32_e32 v6, 0
	s_and_b32 vcc_lo, s0, vcc_lo
	s_mov_b32 s0, exec_lo
	v_cndmask_b32_e32 v3, v3, v1, vcc_lo
	v_cndmask_b32_e32 v4, v4, v2, vcc_lo
	v_cndmask_b32_e64 v5, v5, 1, s1
	v_cndmask_b32_e64 v1, v1, v3, s1
	;; [unrolled: 1-line block ×3, first 2 shown]
	ds_bpermute_b32 v17, v6, v5 offset:124
	ds_bpermute_b32 v1, v6, v1 offset:124
	;; [unrolled: 1-line block ×3, first 2 shown]
	v_cmpx_eq_u32_e32 0, v7
	s_cbranch_execz .LBB315_6
; %bb.5:
	v_lshrrev_b32_e32 v3, 1, v0
	v_and_b32_e32 v3, 0x70, v3
	s_waitcnt lgkmcnt(2)
	ds_write_b8 v3, v17 offset:384
	s_waitcnt lgkmcnt(1)
	ds_write_b64 v3, v[1:2] offset:392
.LBB315_6:
	s_or_b32 exec_lo, exec_lo, s0
	s_mov_b32 s0, exec_lo
	s_waitcnt lgkmcnt(0)
	s_barrier
	buffer_gl0_inv
	v_cmpx_gt_u32_e32 32, v0
	s_cbranch_execz .LBB315_20
; %bb.7:
	v_and_b32_e32 v8, 7, v7
	v_lshlrev_b32_e32 v1, 4, v8
	v_cmp_ne_u32_e32 vcc_lo, 7, v8
	ds_read_u8 v10, v1 offset:384
	ds_read_b64 v[3:4], v1 offset:392
	v_add_co_ci_u32_e64 v2, null, 0, v7, vcc_lo
	v_lshlrev_b32_e32 v2, 2, v2
	s_waitcnt lgkmcnt(1)
	v_and_b32_e32 v1, 0xff, v10
	s_waitcnt lgkmcnt(0)
	ds_bpermute_b32 v5, v2, v3
	ds_bpermute_b32 v6, v2, v4
	;; [unrolled: 1-line block ×3, first 2 shown]
	s_waitcnt lgkmcnt(0)
	v_and_b32_e32 v1, v10, v11
	v_and_b32_e32 v1, 1, v1
	v_cmp_eq_u32_e32 vcc_lo, 1, v1
                                        ; implicit-def: $vgpr1_vgpr2
	s_and_saveexec_b32 s1, vcc_lo
	s_xor_b32 s1, exec_lo, s1
; %bb.8:
	v_cmp_lt_i64_e32 vcc_lo, v[5:6], v[3:4]
                                        ; implicit-def: $vgpr10
                                        ; implicit-def: $vgpr11
	v_cndmask_b32_e32 v2, v4, v6, vcc_lo
	v_cndmask_b32_e32 v1, v3, v5, vcc_lo
                                        ; implicit-def: $vgpr5_vgpr6
                                        ; implicit-def: $vgpr3_vgpr4
; %bb.9:
	s_or_saveexec_b32 s1, s1
	v_mov_b32_e32 v9, 1
	s_xor_b32 exec_lo, exec_lo, s1
; %bb.10:
	v_and_b32_e32 v1, 1, v10
	v_and_b32_e32 v9, 0xff, v11
	v_cmp_eq_u32_e32 vcc_lo, 1, v1
	v_cndmask_b32_e32 v2, v6, v4, vcc_lo
	v_cndmask_b32_e32 v1, v5, v3, vcc_lo
	v_cndmask_b32_e64 v9, v9, 1, vcc_lo
; %bb.11:
	s_or_b32 exec_lo, exec_lo, s1
	v_cmp_gt_u32_e32 vcc_lo, 6, v8
	v_cndmask_b32_e64 v3, 0, 2, vcc_lo
	v_add_lshl_u32 v3, v3, v7, 2
	ds_bpermute_b32 v8, v3, v9
	ds_bpermute_b32 v5, v3, v1
	ds_bpermute_b32 v6, v3, v2
	s_waitcnt lgkmcnt(2)
	v_and_b32_e32 v3, v9, v8
	v_and_b32_e32 v3, 1, v3
	v_cmp_eq_u32_e32 vcc_lo, 1, v3
                                        ; implicit-def: $vgpr3_vgpr4
	s_and_saveexec_b32 s1, vcc_lo
	s_xor_b32 s1, exec_lo, s1
	s_cbranch_execz .LBB315_13
; %bb.12:
	s_waitcnt lgkmcnt(0)
	v_cmp_lt_i64_e32 vcc_lo, v[5:6], v[1:2]
                                        ; implicit-def: $vgpr9
                                        ; implicit-def: $vgpr8
	v_cndmask_b32_e32 v4, v2, v6, vcc_lo
	v_cndmask_b32_e32 v3, v1, v5, vcc_lo
                                        ; implicit-def: $vgpr5_vgpr6
                                        ; implicit-def: $vgpr1_vgpr2
.LBB315_13:
	s_or_saveexec_b32 s1, s1
	v_lshlrev_b32_e32 v10, 2, v7
	v_mov_b32_e32 v7, 1
	s_xor_b32 exec_lo, exec_lo, s1
	s_cbranch_execz .LBB315_15
; %bb.14:
	v_and_b32_e32 v3, 1, v9
	v_and_b32_e32 v7, 0xff, v8
	v_cmp_eq_u32_e32 vcc_lo, 1, v3
	s_waitcnt lgkmcnt(0)
	v_cndmask_b32_e32 v4, v6, v2, vcc_lo
	v_cndmask_b32_e32 v3, v5, v1, vcc_lo
	v_cndmask_b32_e64 v7, v7, 1, vcc_lo
.LBB315_15:
	s_or_b32 exec_lo, exec_lo, s1
	v_or_b32_e32 v1, 16, v10
	ds_bpermute_b32 v8, v1, v7
	s_waitcnt lgkmcnt(2)
	ds_bpermute_b32 v5, v1, v3
	s_waitcnt lgkmcnt(2)
	;; [unrolled: 2-line block ×3, first 2 shown]
	v_and_b32_e32 v1, v7, v8
	v_and_b32_e32 v1, 1, v1
	v_cmp_eq_u32_e32 vcc_lo, 1, v1
                                        ; implicit-def: $vgpr1_vgpr2
	s_and_saveexec_b32 s1, vcc_lo
	s_xor_b32 s1, exec_lo, s1
	s_cbranch_execz .LBB315_17
; %bb.16:
	s_waitcnt lgkmcnt(0)
	v_cmp_lt_i64_e32 vcc_lo, v[5:6], v[3:4]
                                        ; implicit-def: $vgpr7
                                        ; implicit-def: $vgpr8
	v_cndmask_b32_e32 v2, v4, v6, vcc_lo
	v_cndmask_b32_e32 v1, v3, v5, vcc_lo
                                        ; implicit-def: $vgpr5_vgpr6
                                        ; implicit-def: $vgpr3_vgpr4
.LBB315_17:
	s_or_saveexec_b32 s1, s1
	v_mov_b32_e32 v17, 1
	s_xor_b32 exec_lo, exec_lo, s1
	s_cbranch_execz .LBB315_19
; %bb.18:
	v_and_b32_e32 v1, 1, v7
	v_cmp_eq_u32_e32 vcc_lo, 1, v1
	s_waitcnt lgkmcnt(0)
	v_cndmask_b32_e32 v2, v6, v4, vcc_lo
	v_cndmask_b32_e32 v1, v5, v3, vcc_lo
	v_cndmask_b32_e64 v17, v8, 1, vcc_lo
.LBB315_19:
	s_or_b32 exec_lo, exec_lo, s1
.LBB315_20:
	s_or_b32 exec_lo, exec_lo, s0
	s_branch .LBB315_167
.LBB315_21:
	s_mov_b32 s22, 0
                                        ; implicit-def: $vgpr3_vgpr4
                                        ; implicit-def: $vgpr5
                                        ; implicit-def: $vgpr1_vgpr2
	s_cbranch_execnz .LBB315_247
	s_branch .LBB315_356
.LBB315_22:
	s_mov_b32 s26, -1
.LBB315_23:
	s_mov_b32 s22, 0
                                        ; implicit-def: $vgpr3_vgpr4
                                        ; implicit-def: $vgpr5
                                        ; implicit-def: $vgpr1_vgpr2
	s_and_b32 vcc_lo, exec_lo, s26
	s_cbranch_vccz .LBB315_172
.LBB315_24:
	s_cmp_eq_u32 s25, 4
	s_cbranch_scc0 .LBB315_43
; %bb.25:
	s_mov_b32 s7, 0
	s_lshl_b32 s10, s6, 10
	s_mov_b32 s11, s7
	s_lshr_b64 s[26:27], s[14:15], 10
	s_lshl_b64 s[0:1], s[10:11], 1
	s_add_u32 s2, s16, s0
	s_addc_u32 s3, s17, s1
	s_add_u32 s8, s18, s0
	s_addc_u32 s9, s19, s1
	;; [unrolled: 2-line block ×3, first 2 shown]
	s_cmp_lg_u64 s[26:27], s[6:7]
	s_cbranch_scc0 .LBB315_67
; %bb.26:
	v_lshlrev_b32_e32 v1, 1, v0
	v_mov_b32_e32 v9, 0x100
	global_load_ushort v2, v1, s[2:3] offset:512
	s_waitcnt lgkmcnt(1)
	global_load_ushort v3, v1, s[8:9] offset:512
	s_waitcnt lgkmcnt(0)
	s_clause 0x5
	global_load_ushort v4, v1, s[2:3]
	global_load_ushort v5, v1, s[8:9]
	global_load_ushort v6, v1, s[2:3] offset:1024
	global_load_ushort v7, v1, s[8:9] offset:1024
	;; [unrolled: 1-line block ×4, first 2 shown]
	s_waitcnt vmcnt(6)
	v_cmp_ne_u16_e32 vcc_lo, v2, v3
	s_waitcnt vmcnt(4)
	v_cmp_ne_u16_e64 s0, v4, v5
	s_waitcnt vmcnt(2)
	v_cmp_ne_u16_e64 s1, v6, v7
	v_cndmask_b32_e32 v2, 0x200, v9, vcc_lo
	v_cndmask_b32_e64 v2, v2, 0, s0
	s_or_b32 s0, s0, vcc_lo
	s_or_b32 vcc_lo, s0, s1
	v_add_co_u32 v3, s0, s11, v0
	v_cndmask_b32_e32 v2, 0x300, v2, vcc_lo
	v_add_co_ci_u32_e64 v4, null, s23, 0, s0
	s_waitcnt vmcnt(0)
	v_cmp_ne_u16_e64 s0, v1, v8
	v_add_co_u32 v1, s1, v3, v2
	v_add_co_ci_u32_e64 v2, null, 0, v4, s1
	s_or_b32 s0, vcc_lo, s0
	v_mov_b32_dpp v3, v1 quad_perm:[1,0,3,2] row_mask:0xf bank_mask:0xf
	v_cndmask_b32_e64 v5, 0, 1, s0
	v_mov_b32_dpp v4, v2 quad_perm:[1,0,3,2] row_mask:0xf bank_mask:0xf
	v_mov_b32_dpp v6, v5 quad_perm:[1,0,3,2] row_mask:0xf bank_mask:0xf
	v_cmp_lt_i64_e32 vcc_lo, v[1:2], v[3:4]
	v_and_b32_e32 v6, 1, v6
	s_and_b32 vcc_lo, s0, vcc_lo
	v_cndmask_b32_e32 v3, v3, v1, vcc_lo
	v_cndmask_b32_e32 v4, v4, v2, vcc_lo
	v_cmp_eq_u32_e32 vcc_lo, 1, v6
	v_cndmask_b32_e32 v2, v2, v4, vcc_lo
	v_cndmask_b32_e32 v1, v1, v3, vcc_lo
	v_cndmask_b32_e64 v5, v5, 1, vcc_lo
	v_mov_b32_dpp v4, v2 quad_perm:[2,3,0,1] row_mask:0xf bank_mask:0xf
	v_mov_b32_dpp v3, v1 quad_perm:[2,3,0,1] row_mask:0xf bank_mask:0xf
	v_and_b32_e32 v7, 1, v5
	v_mov_b32_dpp v6, v5 quad_perm:[2,3,0,1] row_mask:0xf bank_mask:0xf
	v_cmp_lt_i64_e32 vcc_lo, v[1:2], v[3:4]
	v_cmp_eq_u32_e64 s0, 1, v7
	v_and_b32_e32 v6, 1, v6
	s_and_b32 vcc_lo, s0, vcc_lo
	v_cmp_eq_u32_e64 s1, 1, v6
	v_cndmask_b32_e32 v3, v3, v1, vcc_lo
	v_cndmask_b32_e32 v4, v4, v2, vcc_lo
	v_cndmask_b32_e64 v5, v5, 1, s1
	v_cndmask_b32_e64 v1, v1, v3, s1
	;; [unrolled: 1-line block ×3, first 2 shown]
	v_and_b32_e32 v7, 1, v5
	v_mov_b32_dpp v3, v1 row_ror:4 row_mask:0xf bank_mask:0xf
	v_mov_b32_dpp v4, v2 row_ror:4 row_mask:0xf bank_mask:0xf
	;; [unrolled: 1-line block ×3, first 2 shown]
	v_cmp_eq_u32_e64 s0, 1, v7
	v_cmp_lt_i64_e32 vcc_lo, v[1:2], v[3:4]
	v_and_b32_e32 v6, 1, v6
	s_and_b32 vcc_lo, s0, vcc_lo
	v_cmp_eq_u32_e64 s1, 1, v6
	v_cndmask_b32_e32 v3, v3, v1, vcc_lo
	v_cndmask_b32_e32 v4, v4, v2, vcc_lo
	v_cndmask_b32_e64 v5, v5, 1, s1
	v_cndmask_b32_e64 v1, v1, v3, s1
	;; [unrolled: 1-line block ×3, first 2 shown]
	v_and_b32_e32 v7, 1, v5
	v_mov_b32_dpp v3, v1 row_ror:8 row_mask:0xf bank_mask:0xf
	v_mov_b32_dpp v4, v2 row_ror:8 row_mask:0xf bank_mask:0xf
	;; [unrolled: 1-line block ×3, first 2 shown]
	v_cmp_eq_u32_e64 s0, 1, v7
	v_cmp_lt_i64_e32 vcc_lo, v[1:2], v[3:4]
	v_and_b32_e32 v6, 1, v6
	s_and_b32 vcc_lo, s0, vcc_lo
	v_cmp_eq_u32_e64 s1, 1, v6
	v_cndmask_b32_e32 v3, v3, v1, vcc_lo
	v_cndmask_b32_e32 v4, v4, v2, vcc_lo
	v_cndmask_b32_e64 v5, v5, 1, s1
	v_cndmask_b32_e64 v1, v1, v3, s1
	;; [unrolled: 1-line block ×3, first 2 shown]
	ds_swizzle_b32 v6, v5 offset:swizzle(BROADCAST,32,15)
	ds_swizzle_b32 v3, v1 offset:swizzle(BROADCAST,32,15)
	;; [unrolled: 1-line block ×3, first 2 shown]
	v_and_b32_e32 v7, 1, v5
	v_cmp_eq_u32_e64 s0, 1, v7
	v_mbcnt_lo_u32_b32 v7, -1, 0
	s_waitcnt lgkmcnt(2)
	v_and_b32_e32 v6, 1, v6
	s_waitcnt lgkmcnt(0)
	v_cmp_lt_i64_e32 vcc_lo, v[1:2], v[3:4]
	v_cmp_eq_u32_e64 s1, 1, v6
	v_mov_b32_e32 v6, 0
	s_and_b32 vcc_lo, s0, vcc_lo
	s_mov_b32 s0, exec_lo
	v_cndmask_b32_e32 v3, v3, v1, vcc_lo
	v_cndmask_b32_e32 v4, v4, v2, vcc_lo
	v_cndmask_b32_e64 v5, v5, 1, s1
	v_cndmask_b32_e64 v1, v1, v3, s1
	;; [unrolled: 1-line block ×3, first 2 shown]
	ds_bpermute_b32 v9, v6, v5 offset:124
	ds_bpermute_b32 v1, v6, v1 offset:124
	;; [unrolled: 1-line block ×3, first 2 shown]
	v_cmpx_eq_u32_e32 0, v7
	s_cbranch_execz .LBB315_28
; %bb.27:
	v_lshrrev_b32_e32 v3, 1, v0
	v_and_b32_e32 v3, 0x70, v3
	s_waitcnt lgkmcnt(2)
	ds_write_b8 v3, v9 offset:256
	s_waitcnt lgkmcnt(1)
	ds_write_b64 v3, v[1:2] offset:264
.LBB315_28:
	s_or_b32 exec_lo, exec_lo, s0
	s_mov_b32 s0, exec_lo
	s_waitcnt lgkmcnt(0)
	s_barrier
	buffer_gl0_inv
	v_cmpx_gt_u32_e32 32, v0
	s_cbranch_execz .LBB315_42
; %bb.29:
	v_and_b32_e32 v8, 7, v7
	v_lshlrev_b32_e32 v1, 4, v8
	v_cmp_ne_u32_e32 vcc_lo, 7, v8
	ds_read_u8 v10, v1 offset:256
	ds_read_b64 v[3:4], v1 offset:264
	v_add_co_ci_u32_e64 v2, null, 0, v7, vcc_lo
	v_lshlrev_b32_e32 v2, 2, v2
	s_waitcnt lgkmcnt(1)
	v_and_b32_e32 v1, 0xff, v10
	s_waitcnt lgkmcnt(0)
	ds_bpermute_b32 v5, v2, v3
	ds_bpermute_b32 v6, v2, v4
	;; [unrolled: 1-line block ×3, first 2 shown]
	s_waitcnt lgkmcnt(0)
	v_and_b32_e32 v1, v10, v11
	v_and_b32_e32 v1, 1, v1
	v_cmp_eq_u32_e32 vcc_lo, 1, v1
                                        ; implicit-def: $vgpr1_vgpr2
	s_and_saveexec_b32 s1, vcc_lo
	s_xor_b32 s1, exec_lo, s1
; %bb.30:
	v_cmp_lt_i64_e32 vcc_lo, v[5:6], v[3:4]
                                        ; implicit-def: $vgpr10
                                        ; implicit-def: $vgpr11
	v_cndmask_b32_e32 v2, v4, v6, vcc_lo
	v_cndmask_b32_e32 v1, v3, v5, vcc_lo
                                        ; implicit-def: $vgpr5_vgpr6
                                        ; implicit-def: $vgpr3_vgpr4
; %bb.31:
	s_or_saveexec_b32 s1, s1
	v_mov_b32_e32 v9, 1
	s_xor_b32 exec_lo, exec_lo, s1
; %bb.32:
	v_and_b32_e32 v1, 1, v10
	v_and_b32_e32 v9, 0xff, v11
	v_cmp_eq_u32_e32 vcc_lo, 1, v1
	v_cndmask_b32_e32 v2, v6, v4, vcc_lo
	v_cndmask_b32_e32 v1, v5, v3, vcc_lo
	v_cndmask_b32_e64 v9, v9, 1, vcc_lo
; %bb.33:
	s_or_b32 exec_lo, exec_lo, s1
	v_cmp_gt_u32_e32 vcc_lo, 6, v8
	v_cndmask_b32_e64 v3, 0, 2, vcc_lo
	v_add_lshl_u32 v3, v3, v7, 2
	ds_bpermute_b32 v8, v3, v9
	ds_bpermute_b32 v5, v3, v1
	;; [unrolled: 1-line block ×3, first 2 shown]
	s_waitcnt lgkmcnt(2)
	v_and_b32_e32 v3, v9, v8
	v_and_b32_e32 v3, 1, v3
	v_cmp_eq_u32_e32 vcc_lo, 1, v3
                                        ; implicit-def: $vgpr3_vgpr4
	s_and_saveexec_b32 s1, vcc_lo
	s_xor_b32 s1, exec_lo, s1
	s_cbranch_execz .LBB315_35
; %bb.34:
	s_waitcnt lgkmcnt(0)
	v_cmp_lt_i64_e32 vcc_lo, v[5:6], v[1:2]
                                        ; implicit-def: $vgpr9
                                        ; implicit-def: $vgpr8
	v_cndmask_b32_e32 v4, v2, v6, vcc_lo
	v_cndmask_b32_e32 v3, v1, v5, vcc_lo
                                        ; implicit-def: $vgpr5_vgpr6
                                        ; implicit-def: $vgpr1_vgpr2
.LBB315_35:
	s_or_saveexec_b32 s1, s1
	v_lshlrev_b32_e32 v10, 2, v7
	v_mov_b32_e32 v7, 1
	s_xor_b32 exec_lo, exec_lo, s1
	s_cbranch_execz .LBB315_37
; %bb.36:
	v_and_b32_e32 v3, 1, v9
	v_and_b32_e32 v7, 0xff, v8
	v_cmp_eq_u32_e32 vcc_lo, 1, v3
	s_waitcnt lgkmcnt(0)
	v_cndmask_b32_e32 v4, v6, v2, vcc_lo
	v_cndmask_b32_e32 v3, v5, v1, vcc_lo
	v_cndmask_b32_e64 v7, v7, 1, vcc_lo
.LBB315_37:
	s_or_b32 exec_lo, exec_lo, s1
	v_or_b32_e32 v1, 16, v10
	ds_bpermute_b32 v8, v1, v7
	s_waitcnt lgkmcnt(2)
	ds_bpermute_b32 v5, v1, v3
	s_waitcnt lgkmcnt(2)
	;; [unrolled: 2-line block ×3, first 2 shown]
	v_and_b32_e32 v1, v7, v8
	v_and_b32_e32 v1, 1, v1
	v_cmp_eq_u32_e32 vcc_lo, 1, v1
                                        ; implicit-def: $vgpr1_vgpr2
	s_and_saveexec_b32 s1, vcc_lo
	s_xor_b32 s1, exec_lo, s1
	s_cbranch_execz .LBB315_39
; %bb.38:
	s_waitcnt lgkmcnt(0)
	v_cmp_lt_i64_e32 vcc_lo, v[5:6], v[3:4]
                                        ; implicit-def: $vgpr7
                                        ; implicit-def: $vgpr8
	v_cndmask_b32_e32 v2, v4, v6, vcc_lo
	v_cndmask_b32_e32 v1, v3, v5, vcc_lo
                                        ; implicit-def: $vgpr5_vgpr6
                                        ; implicit-def: $vgpr3_vgpr4
.LBB315_39:
	s_or_saveexec_b32 s1, s1
	v_mov_b32_e32 v9, 1
	s_xor_b32 exec_lo, exec_lo, s1
	s_cbranch_execz .LBB315_41
; %bb.40:
	v_and_b32_e32 v1, 1, v7
	v_cmp_eq_u32_e32 vcc_lo, 1, v1
	s_waitcnt lgkmcnt(0)
	v_cndmask_b32_e32 v2, v6, v4, vcc_lo
	v_cndmask_b32_e32 v1, v5, v3, vcc_lo
	v_cndmask_b32_e64 v9, v8, 1, vcc_lo
.LBB315_41:
	s_or_b32 exec_lo, exec_lo, s1
.LBB315_42:
	s_or_b32 exec_lo, exec_lo, s0
	s_branch .LBB315_242
.LBB315_43:
                                        ; implicit-def: $vgpr3_vgpr4
                                        ; implicit-def: $vgpr5
                                        ; implicit-def: $vgpr1_vgpr2
	s_branch .LBB315_356
.LBB315_44:
                                        ; implicit-def: $vgpr1_vgpr2
                                        ; implicit-def: $vgpr17
	s_cbranch_execz .LBB315_167
; %bb.45:
	v_mov_b32_e32 v15, 0
	v_mov_b32_e32 v1, 0
	;; [unrolled: 1-line block ×6, first 2 shown]
	s_sub_i32 s27, s14, s8
	s_mov_b32 s0, exec_lo
	v_cmpx_gt_u32_e64 s27, v0
	s_cbranch_execz .LBB315_47
; %bb.46:
	v_lshlrev_b32_e32 v1, 1, v0
	s_clause 0x1
	global_load_ushort v3, v1, s[10:11]
	global_load_ushort v4, v1, s[22:23]
	v_add_co_u32 v1, s1, s28, v0
	v_add_co_ci_u32_e64 v2, null, s29, 0, s1
	s_waitcnt vmcnt(0)
	v_cmp_ne_u16_e32 vcc_lo, v3, v4
	v_cndmask_b32_e64 v17, 0, 1, vcc_lo
.LBB315_47:
	s_or_b32 exec_lo, exec_lo, s0
	v_or_b32_e32 v3, 0x100, v0
	v_cmp_gt_u32_e64 s9, s27, v3
	s_and_saveexec_b32 s0, s9
	s_cbranch_execz .LBB315_49
; %bb.48:
	v_lshlrev_b32_e32 v4, 1, v0
	v_add_co_u32 v15, s1, s28, v3
	v_add_co_ci_u32_e64 v16, null, s29, 0, s1
	s_waitcnt lgkmcnt(1)
	s_clause 0x1
	global_load_ushort v5, v4, s[10:11] offset:512
	global_load_ushort v4, v4, s[22:23] offset:512
	s_waitcnt vmcnt(0)
	v_cmp_ne_u16_e32 vcc_lo, v5, v4
	v_cndmask_b32_e64 v24, 0, 1, vcc_lo
.LBB315_49:
	s_or_b32 exec_lo, exec_lo, s0
	v_or_b32_e32 v3, 0x200, v0
	v_mov_b32_e32 v11, 0
	v_mov_b32_e32 v13, 0
	;; [unrolled: 1-line block ×5, first 2 shown]
	v_cmp_gt_u32_e64 s8, s27, v3
	v_mov_b32_e32 v23, 0
	s_and_saveexec_b32 s0, s8
	s_cbranch_execz .LBB315_51
; %bb.50:
	v_lshlrev_b32_e32 v4, 1, v0
	v_add_co_u32 v13, s1, s28, v3
	v_add_co_ci_u32_e64 v14, null, s29, 0, s1
	s_waitcnt lgkmcnt(1)
	s_clause 0x1
	global_load_ushort v5, v4, s[10:11] offset:1024
	global_load_ushort v4, v4, s[22:23] offset:1024
	s_waitcnt vmcnt(0)
	v_cmp_ne_u16_e32 vcc_lo, v5, v4
	v_cndmask_b32_e64 v23, 0, 1, vcc_lo
.LBB315_51:
	s_or_b32 exec_lo, exec_lo, s0
	v_or_b32_e32 v3, 0x300, v0
	v_cmp_gt_u32_e64 s3, s27, v3
	s_and_saveexec_b32 s0, s3
	s_cbranch_execz .LBB315_53
; %bb.52:
	v_lshlrev_b32_e32 v4, 1, v0
	v_add_co_u32 v11, s1, s28, v3
	v_add_co_ci_u32_e64 v12, null, s29, 0, s1
	s_waitcnt lgkmcnt(1)
	s_clause 0x1
	global_load_ushort v5, v4, s[10:11] offset:1536
	global_load_ushort v4, v4, s[22:23] offset:1536
	s_waitcnt vmcnt(0)
	v_cmp_ne_u16_e32 vcc_lo, v5, v4
	v_cndmask_b32_e64 v22, 0, 1, vcc_lo
.LBB315_53:
	s_or_b32 exec_lo, exec_lo, s0
	v_or_b32_e32 v3, 0x400, v0
	v_mov_b32_e32 v7, 0
	v_mov_b32_e32 v9, 0
	;; [unrolled: 1-line block ×5, first 2 shown]
	v_cmp_gt_u32_e64 s2, s27, v3
	v_mov_b32_e32 v21, 0
	s_and_saveexec_b32 s0, s2
	s_cbranch_execz .LBB315_55
; %bb.54:
	v_lshlrev_b32_e32 v4, 1, v3
	v_add_co_u32 v9, s1, s28, v3
	v_add_co_ci_u32_e64 v10, null, s29, 0, s1
	s_waitcnt lgkmcnt(1)
	s_clause 0x1
	global_load_ushort v5, v4, s[10:11]
	global_load_ushort v4, v4, s[22:23]
	s_waitcnt vmcnt(0)
	v_cmp_ne_u16_e32 vcc_lo, v5, v4
	v_cndmask_b32_e64 v21, 0, 1, vcc_lo
.LBB315_55:
	s_or_b32 exec_lo, exec_lo, s0
	v_or_b32_e32 v3, 0x500, v0
	v_cmp_gt_u32_e64 s1, s27, v3
	s_and_saveexec_b32 s0, s1
	s_cbranch_execz .LBB315_57
; %bb.56:
	v_lshlrev_b32_e32 v4, 1, v3
	v_add_co_u32 v7, s30, s28, v3
	v_add_co_ci_u32_e64 v8, null, s29, 0, s30
	s_waitcnt lgkmcnt(1)
	s_clause 0x1
	global_load_ushort v5, v4, s[10:11]
	global_load_ushort v4, v4, s[22:23]
	s_waitcnt vmcnt(0)
	v_cmp_ne_u16_e32 vcc_lo, v5, v4
	v_cndmask_b32_e64 v20, 0, 1, vcc_lo
.LBB315_57:
	s_or_b32 exec_lo, exec_lo, s0
	v_or_b32_e32 v25, 0x600, v0
	v_mov_b32_e32 v3, 0
	s_waitcnt lgkmcnt(0)
	v_mov_b32_e32 v5, 0
	v_mov_b32_e32 v4, 0
	;; [unrolled: 1-line block ×4, first 2 shown]
	v_cmp_gt_u32_e64 s0, s27, v25
	v_mov_b32_e32 v19, 0
	s_and_saveexec_b32 s30, s0
	s_cbranch_execz .LBB315_59
; %bb.58:
	v_lshlrev_b32_e32 v5, 1, v25
	s_clause 0x1
	global_load_ushort v19, v5, s[10:11]
	global_load_ushort v26, v5, s[22:23]
	v_add_co_u32 v5, s31, s28, v25
	v_add_co_ci_u32_e64 v6, null, s29, 0, s31
	s_waitcnt vmcnt(0)
	v_cmp_ne_u16_e32 vcc_lo, v19, v26
	v_cndmask_b32_e64 v19, 0, 1, vcc_lo
.LBB315_59:
	s_or_b32 exec_lo, exec_lo, s30
	v_or_b32_e32 v25, 0x700, v0
	v_cmp_gt_u32_e32 vcc_lo, s27, v25
	s_and_saveexec_b32 s30, vcc_lo
	s_cbranch_execnz .LBB315_78
; %bb.60:
	s_or_b32 exec_lo, exec_lo, s30
	s_and_saveexec_b32 s11, s9
	s_cbranch_execnz .LBB315_79
.LBB315_61:
	s_or_b32 exec_lo, exec_lo, s11
	s_and_saveexec_b32 s10, s8
	s_cbranch_execnz .LBB315_84
.LBB315_62:
	s_or_b32 exec_lo, exec_lo, s10
	s_and_saveexec_b32 s9, s3
	s_cbranch_execnz .LBB315_89
.LBB315_63:
	s_or_b32 exec_lo, exec_lo, s9
	s_and_saveexec_b32 s8, s2
	s_cbranch_execnz .LBB315_94
.LBB315_64:
	s_or_b32 exec_lo, exec_lo, s8
	s_and_saveexec_b32 s3, s1
	s_cbranch_execnz .LBB315_99
.LBB315_65:
	s_or_b32 exec_lo, exec_lo, s3
	s_and_saveexec_b32 s2, s0
	s_cbranch_execnz .LBB315_104
.LBB315_66:
	s_or_b32 exec_lo, exec_lo, s2
	s_and_saveexec_b32 s1, vcc_lo
	s_cbranch_execnz .LBB315_109
	s_branch .LBB315_114
.LBB315_67:
                                        ; implicit-def: $vgpr1_vgpr2
                                        ; implicit-def: $vgpr9
	s_cbranch_execz .LBB315_242
; %bb.68:
	v_mov_b32_e32 v7, 0
	v_mov_b32_e32 v1, 0
	;; [unrolled: 1-line block ×6, first 2 shown]
	s_sub_i32 s10, s14, s10
	s_mov_b32 s0, exec_lo
	v_cmpx_gt_u32_e64 s10, v0
	s_cbranch_execz .LBB315_70
; %bb.69:
	v_lshlrev_b32_e32 v1, 1, v0
	s_waitcnt lgkmcnt(1)
	global_load_ushort v3, v1, s[2:3]
	s_waitcnt lgkmcnt(0)
	global_load_ushort v4, v1, s[8:9]
	v_add_co_u32 v1, s1, s11, v0
	v_add_co_ci_u32_e64 v2, null, s23, 0, s1
	s_waitcnt vmcnt(0)
	v_cmp_ne_u16_e32 vcc_lo, v3, v4
	v_cndmask_b32_e64 v9, 0, 1, vcc_lo
.LBB315_70:
	s_or_b32 exec_lo, exec_lo, s0
	s_waitcnt lgkmcnt(1)
	v_or_b32_e32 v3, 0x100, v0
	v_cmp_gt_u32_e64 s1, s10, v3
	s_and_saveexec_b32 s0, s1
	s_cbranch_execz .LBB315_72
; %bb.71:
	s_waitcnt lgkmcnt(0)
	v_lshlrev_b32_e32 v4, 1, v0
	v_add_co_u32 v7, s26, s11, v3
	v_add_co_ci_u32_e64 v8, null, s23, 0, s26
	s_clause 0x1
	global_load_ushort v5, v4, s[2:3] offset:512
	global_load_ushort v4, v4, s[8:9] offset:512
	s_waitcnt vmcnt(0)
	v_cmp_ne_u16_e32 vcc_lo, v5, v4
	v_cndmask_b32_e64 v12, 0, 1, vcc_lo
.LBB315_72:
	s_or_b32 exec_lo, exec_lo, s0
	v_or_b32_e32 v13, 0x200, v0
	s_waitcnt lgkmcnt(0)
	v_mov_b32_e32 v3, 0
	v_mov_b32_e32 v5, 0
	;; [unrolled: 1-line block ×5, first 2 shown]
	v_cmp_gt_u32_e64 s0, s10, v13
	v_mov_b32_e32 v11, 0
	s_and_saveexec_b32 s26, s0
	s_cbranch_execz .LBB315_74
; %bb.73:
	v_lshlrev_b32_e32 v5, 1, v0
	s_clause 0x1
	global_load_ushort v11, v5, s[2:3] offset:1024
	global_load_ushort v14, v5, s[8:9] offset:1024
	v_add_co_u32 v5, s27, s11, v13
	v_add_co_ci_u32_e64 v6, null, s23, 0, s27
	s_waitcnt vmcnt(0)
	v_cmp_ne_u16_e32 vcc_lo, v11, v14
	v_cndmask_b32_e64 v11, 0, 1, vcc_lo
.LBB315_74:
	s_or_b32 exec_lo, exec_lo, s26
	v_or_b32_e32 v13, 0x300, v0
	v_cmp_gt_u32_e32 vcc_lo, s10, v13
	s_and_saveexec_b32 s26, vcc_lo
	s_cbranch_execnz .LBB315_173
; %bb.75:
	s_or_b32 exec_lo, exec_lo, s26
	s_and_saveexec_b32 s3, s1
	s_cbranch_execnz .LBB315_174
.LBB315_76:
	s_or_b32 exec_lo, exec_lo, s3
	s_and_saveexec_b32 s2, s0
	s_cbranch_execnz .LBB315_179
.LBB315_77:
	s_or_b32 exec_lo, exec_lo, s2
	s_and_saveexec_b32 s1, vcc_lo
	s_cbranch_execnz .LBB315_184
	s_branch .LBB315_189
.LBB315_78:
	v_lshlrev_b32_e32 v3, 1, v25
	s_clause 0x1
	global_load_ushort v18, v3, s[10:11]
	global_load_ushort v26, v3, s[22:23]
	v_add_co_u32 v3, s10, s28, v25
	v_add_co_ci_u32_e64 v4, null, s29, 0, s10
	s_waitcnt vmcnt(0)
	v_cmp_ne_u16_e64 s10, v18, v26
	v_cndmask_b32_e64 v18, 0, 1, s10
	s_or_b32 exec_lo, exec_lo, s30
	s_and_saveexec_b32 s11, s9
	s_cbranch_execz .LBB315_61
.LBB315_79:
	v_and_b32_e32 v17, 1, v17
	v_and_b32_e32 v25, 1, v24
	v_cmp_eq_u32_e64 s9, 1, v17
	v_cmp_eq_u32_e64 s10, 1, v25
                                        ; implicit-def: $vgpr17
	s_and_b32 s10, s9, s10
	s_xor_b32 s10, s10, -1
	s_and_saveexec_b32 s22, s10
	s_xor_b32 s10, exec_lo, s22
; %bb.80:
	v_and_b32_e32 v17, 0xffff, v24
	v_cndmask_b32_e64 v2, v16, v2, s9
	v_cndmask_b32_e64 v1, v15, v1, s9
                                        ; implicit-def: $vgpr15_vgpr16
	v_cndmask_b32_e64 v17, v17, 1, s9
; %bb.81:
	s_andn2_saveexec_b32 s10, s10
; %bb.82:
	v_cmp_lt_i64_e64 s9, v[15:16], v[1:2]
	v_mov_b32_e32 v17, 1
	v_cndmask_b32_e64 v2, v2, v16, s9
	v_cndmask_b32_e64 v1, v1, v15, s9
; %bb.83:
	s_or_b32 exec_lo, exec_lo, s10
	s_or_b32 exec_lo, exec_lo, s11
	s_and_saveexec_b32 s10, s8
	s_cbranch_execz .LBB315_62
.LBB315_84:
	v_and_b32_e32 v15, 1, v17
	v_and_b32_e32 v16, 1, v23
                                        ; implicit-def: $vgpr17
	v_cmp_eq_u32_e64 s8, 1, v15
	v_cmp_eq_u32_e64 s9, 1, v16
	s_and_b32 s9, s8, s9
	s_xor_b32 s9, s9, -1
	s_and_saveexec_b32 s11, s9
	s_xor_b32 s9, exec_lo, s11
; %bb.85:
	v_and_b32_e32 v15, 0xffff, v23
	v_cndmask_b32_e64 v2, v14, v2, s8
	v_cndmask_b32_e64 v1, v13, v1, s8
                                        ; implicit-def: $vgpr13_vgpr14
	v_cndmask_b32_e64 v17, v15, 1, s8
; %bb.86:
	s_andn2_saveexec_b32 s9, s9
; %bb.87:
	v_cmp_lt_i64_e64 s8, v[13:14], v[1:2]
	v_mov_b32_e32 v17, 1
	v_cndmask_b32_e64 v2, v2, v14, s8
	v_cndmask_b32_e64 v1, v1, v13, s8
; %bb.88:
	s_or_b32 exec_lo, exec_lo, s9
	s_or_b32 exec_lo, exec_lo, s10
	s_and_saveexec_b32 s9, s3
	s_cbranch_execz .LBB315_63
.LBB315_89:
	v_and_b32_e32 v13, 1, v17
	v_and_b32_e32 v14, 1, v22
                                        ; implicit-def: $vgpr17
	v_cmp_eq_u32_e64 s3, 1, v13
	v_cmp_eq_u32_e64 s8, 1, v14
	s_and_b32 s8, s3, s8
	s_xor_b32 s8, s8, -1
	s_and_saveexec_b32 s10, s8
	s_xor_b32 s8, exec_lo, s10
; %bb.90:
	v_and_b32_e32 v13, 0xffff, v22
	v_cndmask_b32_e64 v2, v12, v2, s3
	v_cndmask_b32_e64 v1, v11, v1, s3
                                        ; implicit-def: $vgpr11_vgpr12
	v_cndmask_b32_e64 v17, v13, 1, s3
; %bb.91:
	s_andn2_saveexec_b32 s8, s8
; %bb.92:
	v_cmp_lt_i64_e64 s3, v[11:12], v[1:2]
	v_mov_b32_e32 v17, 1
	v_cndmask_b32_e64 v2, v2, v12, s3
	v_cndmask_b32_e64 v1, v1, v11, s3
; %bb.93:
	s_or_b32 exec_lo, exec_lo, s8
	s_or_b32 exec_lo, exec_lo, s9
	s_and_saveexec_b32 s8, s2
	s_cbranch_execz .LBB315_64
.LBB315_94:
	v_and_b32_e32 v11, 1, v17
	v_and_b32_e32 v12, 1, v21
                                        ; implicit-def: $vgpr17
	v_cmp_eq_u32_e64 s2, 1, v11
	v_cmp_eq_u32_e64 s3, 1, v12
	s_and_b32 s3, s2, s3
	s_xor_b32 s3, s3, -1
	s_and_saveexec_b32 s9, s3
	s_xor_b32 s3, exec_lo, s9
; %bb.95:
	v_and_b32_e32 v11, 0xffff, v21
	v_cndmask_b32_e64 v2, v10, v2, s2
	v_cndmask_b32_e64 v1, v9, v1, s2
                                        ; implicit-def: $vgpr9_vgpr10
	v_cndmask_b32_e64 v17, v11, 1, s2
; %bb.96:
	s_andn2_saveexec_b32 s3, s3
; %bb.97:
	v_cmp_lt_i64_e64 s2, v[9:10], v[1:2]
	v_mov_b32_e32 v17, 1
	v_cndmask_b32_e64 v2, v2, v10, s2
	v_cndmask_b32_e64 v1, v1, v9, s2
; %bb.98:
	s_or_b32 exec_lo, exec_lo, s3
	s_or_b32 exec_lo, exec_lo, s8
	s_and_saveexec_b32 s3, s1
	s_cbranch_execz .LBB315_65
.LBB315_99:
	v_and_b32_e32 v9, 1, v17
	v_and_b32_e32 v10, 1, v20
                                        ; implicit-def: $vgpr17
	v_cmp_eq_u32_e64 s1, 1, v9
	v_cmp_eq_u32_e64 s2, 1, v10
	s_and_b32 s2, s1, s2
	s_xor_b32 s2, s2, -1
	s_and_saveexec_b32 s8, s2
	s_xor_b32 s2, exec_lo, s8
; %bb.100:
	v_and_b32_e32 v9, 0xffff, v20
	v_cndmask_b32_e64 v2, v8, v2, s1
	v_cndmask_b32_e64 v1, v7, v1, s1
                                        ; implicit-def: $vgpr7_vgpr8
	v_cndmask_b32_e64 v17, v9, 1, s1
; %bb.101:
	s_andn2_saveexec_b32 s2, s2
; %bb.102:
	v_cmp_lt_i64_e64 s1, v[7:8], v[1:2]
	v_mov_b32_e32 v17, 1
	v_cndmask_b32_e64 v2, v2, v8, s1
	v_cndmask_b32_e64 v1, v1, v7, s1
; %bb.103:
	s_or_b32 exec_lo, exec_lo, s2
	s_or_b32 exec_lo, exec_lo, s3
	s_and_saveexec_b32 s2, s0
	s_cbranch_execz .LBB315_66
.LBB315_104:
	v_and_b32_e32 v7, 1, v17
	v_and_b32_e32 v8, 1, v19
                                        ; implicit-def: $vgpr17
	v_cmp_eq_u32_e64 s0, 1, v7
	v_cmp_eq_u32_e64 s1, 1, v8
	s_and_b32 s1, s0, s1
	s_xor_b32 s1, s1, -1
	s_and_saveexec_b32 s3, s1
	s_xor_b32 s1, exec_lo, s3
; %bb.105:
	v_and_b32_e32 v7, 0xffff, v19
	v_cndmask_b32_e64 v2, v6, v2, s0
	v_cndmask_b32_e64 v1, v5, v1, s0
                                        ; implicit-def: $vgpr5_vgpr6
	v_cndmask_b32_e64 v17, v7, 1, s0
; %bb.106:
	s_andn2_saveexec_b32 s1, s1
; %bb.107:
	v_cmp_lt_i64_e64 s0, v[5:6], v[1:2]
	v_mov_b32_e32 v17, 1
	v_cndmask_b32_e64 v2, v2, v6, s0
	v_cndmask_b32_e64 v1, v1, v5, s0
; %bb.108:
	s_or_b32 exec_lo, exec_lo, s1
	s_or_b32 exec_lo, exec_lo, s2
	s_and_saveexec_b32 s1, vcc_lo
	s_cbranch_execz .LBB315_114
.LBB315_109:
	v_and_b32_e32 v5, 1, v17
	v_and_b32_e32 v6, 1, v18
                                        ; implicit-def: $vgpr17
	v_cmp_eq_u32_e32 vcc_lo, 1, v5
	v_cmp_eq_u32_e64 s0, 1, v6
	s_and_b32 s0, vcc_lo, s0
	s_xor_b32 s0, s0, -1
	s_and_saveexec_b32 s2, s0
	s_xor_b32 s0, exec_lo, s2
; %bb.110:
	v_and_b32_e32 v5, 0xffff, v18
	v_cndmask_b32_e32 v2, v4, v2, vcc_lo
	v_cndmask_b32_e32 v1, v3, v1, vcc_lo
                                        ; implicit-def: $vgpr3_vgpr4
	v_cndmask_b32_e64 v17, v5, 1, vcc_lo
; %bb.111:
	s_andn2_saveexec_b32 s0, s0
; %bb.112:
	v_cmp_lt_i64_e32 vcc_lo, v[3:4], v[1:2]
	v_mov_b32_e32 v17, 1
	v_cndmask_b32_e32 v2, v2, v4, vcc_lo
	v_cndmask_b32_e32 v1, v1, v3, vcc_lo
; %bb.113:
	s_or_b32 exec_lo, exec_lo, s0
.LBB315_114:
	s_or_b32 exec_lo, exec_lo, s1
	v_mbcnt_lo_u32_b32 v5, -1, 0
	v_and_b32_e32 v6, 0xe0, v0
	s_min_u32 s0, s27, 0x100
	s_mov_b32 s1, exec_lo
	v_cmp_ne_u32_e32 vcc_lo, 31, v5
	v_sub_nc_u32_e64 v6, s0, v6 clamp
	v_add_nc_u32_e32 v8, 1, v5
	v_add_co_ci_u32_e64 v3, null, 0, v5, vcc_lo
	v_lshlrev_b32_e32 v4, 2, v3
	ds_bpermute_b32 v7, v4, v17
	ds_bpermute_b32 v3, v4, v1
	;; [unrolled: 1-line block ×3, first 2 shown]
	v_cmpx_lt_u32_e64 v8, v6
	s_xor_b32 s1, exec_lo, s1
	s_cbranch_execz .LBB315_120
; %bb.115:
	s_waitcnt lgkmcnt(2)
	v_and_b32_e32 v8, v7, v17
	s_mov_b32 s2, exec_lo
	v_cmpx_ne_u32_e32 0, v8
	s_xor_b32 s2, exec_lo, s2
	s_cbranch_execz .LBB315_117
; %bb.116:
	s_waitcnt lgkmcnt(0)
	v_cmp_lt_i64_e32 vcc_lo, v[3:4], v[1:2]
                                        ; implicit-def: $vgpr17
                                        ; implicit-def: $vgpr7
	v_cndmask_b32_e32 v2, v2, v4, vcc_lo
	v_cndmask_b32_e32 v1, v1, v3, vcc_lo
                                        ; implicit-def: $vgpr3_vgpr4
.LBB315_117:
	s_or_saveexec_b32 s2, s2
	v_mov_b32_e32 v8, 1
	s_xor_b32 exec_lo, exec_lo, s2
	s_cbranch_execz .LBB315_119
; %bb.118:
	v_and_b32_e32 v8, 1, v17
	v_and_b32_e32 v7, 0xff, v7
	v_cmp_eq_u32_e32 vcc_lo, 1, v8
	s_waitcnt lgkmcnt(0)
	v_cndmask_b32_e32 v2, v4, v2, vcc_lo
	v_cndmask_b32_e32 v1, v3, v1, vcc_lo
	v_cndmask_b32_e64 v8, v7, 1, vcc_lo
.LBB315_119:
	s_or_b32 exec_lo, exec_lo, s2
	v_mov_b32_e32 v17, v8
.LBB315_120:
	s_or_b32 exec_lo, exec_lo, s1
	v_cmp_gt_u32_e32 vcc_lo, 30, v5
	v_add_nc_u32_e32 v8, 2, v5
	s_mov_b32 s1, exec_lo
	s_waitcnt lgkmcnt(1)
	v_cndmask_b32_e64 v3, 0, 2, vcc_lo
	s_waitcnt lgkmcnt(0)
	v_add_lshl_u32 v4, v3, v5, 2
	ds_bpermute_b32 v7, v4, v17
	ds_bpermute_b32 v3, v4, v1
	ds_bpermute_b32 v4, v4, v2
	v_cmpx_lt_u32_e64 v8, v6
	s_cbranch_execz .LBB315_126
; %bb.121:
	s_waitcnt lgkmcnt(2)
	v_and_b32_e32 v8, v17, v7
	s_mov_b32 s2, exec_lo
	v_and_b32_e32 v8, 1, v8
	v_cmpx_eq_u32_e32 1, v8
	s_xor_b32 s2, exec_lo, s2
	s_cbranch_execz .LBB315_123
; %bb.122:
	s_waitcnt lgkmcnt(0)
	v_cmp_lt_i64_e32 vcc_lo, v[3:4], v[1:2]
                                        ; implicit-def: $vgpr17
                                        ; implicit-def: $vgpr7
	v_cndmask_b32_e32 v2, v2, v4, vcc_lo
	v_cndmask_b32_e32 v1, v1, v3, vcc_lo
                                        ; implicit-def: $vgpr3_vgpr4
.LBB315_123:
	s_or_saveexec_b32 s2, s2
	v_mov_b32_e32 v8, 1
	s_xor_b32 exec_lo, exec_lo, s2
	s_cbranch_execz .LBB315_125
; %bb.124:
	v_and_b32_e32 v8, 1, v17
	v_and_b32_e32 v7, 0xff, v7
	v_cmp_eq_u32_e32 vcc_lo, 1, v8
	s_waitcnt lgkmcnt(0)
	v_cndmask_b32_e32 v2, v4, v2, vcc_lo
	v_cndmask_b32_e32 v1, v3, v1, vcc_lo
	v_cndmask_b32_e64 v8, v7, 1, vcc_lo
.LBB315_125:
	s_or_b32 exec_lo, exec_lo, s2
	v_mov_b32_e32 v17, v8
.LBB315_126:
	s_or_b32 exec_lo, exec_lo, s1
	v_cmp_gt_u32_e32 vcc_lo, 28, v5
	v_add_nc_u32_e32 v8, 4, v5
	s_mov_b32 s1, exec_lo
	s_waitcnt lgkmcnt(1)
	v_cndmask_b32_e64 v3, 0, 4, vcc_lo
	s_waitcnt lgkmcnt(0)
	v_add_lshl_u32 v4, v3, v5, 2
	ds_bpermute_b32 v7, v4, v17
	ds_bpermute_b32 v3, v4, v1
	ds_bpermute_b32 v4, v4, v2
	v_cmpx_lt_u32_e64 v8, v6
	s_cbranch_execz .LBB315_132
; %bb.127:
	s_waitcnt lgkmcnt(2)
	v_and_b32_e32 v8, v17, v7
	s_mov_b32 s2, exec_lo
	v_and_b32_e32 v8, 1, v8
	v_cmpx_eq_u32_e32 1, v8
	s_xor_b32 s2, exec_lo, s2
	s_cbranch_execz .LBB315_129
; %bb.128:
	s_waitcnt lgkmcnt(0)
	v_cmp_lt_i64_e32 vcc_lo, v[3:4], v[1:2]
                                        ; implicit-def: $vgpr17
                                        ; implicit-def: $vgpr7
	v_cndmask_b32_e32 v2, v2, v4, vcc_lo
	v_cndmask_b32_e32 v1, v1, v3, vcc_lo
                                        ; implicit-def: $vgpr3_vgpr4
.LBB315_129:
	s_or_saveexec_b32 s2, s2
	v_mov_b32_e32 v8, 1
	s_xor_b32 exec_lo, exec_lo, s2
	s_cbranch_execz .LBB315_131
; %bb.130:
	v_and_b32_e32 v8, 1, v17
	v_and_b32_e32 v7, 0xff, v7
	v_cmp_eq_u32_e32 vcc_lo, 1, v8
	s_waitcnt lgkmcnt(0)
	v_cndmask_b32_e32 v2, v4, v2, vcc_lo
	v_cndmask_b32_e32 v1, v3, v1, vcc_lo
	v_cndmask_b32_e64 v8, v7, 1, vcc_lo
.LBB315_131:
	s_or_b32 exec_lo, exec_lo, s2
	v_mov_b32_e32 v17, v8
.LBB315_132:
	;; [unrolled: 46-line block ×3, first 2 shown]
	s_or_b32 exec_lo, exec_lo, s1
	s_waitcnt lgkmcnt(2)
	v_lshlrev_b32_e32 v7, 2, v5
	v_add_nc_u32_e32 v9, 16, v5
	s_waitcnt lgkmcnt(0)
	v_or_b32_e32 v4, 64, v7
	v_cmp_lt_u32_e32 vcc_lo, v9, v6
	v_mov_b32_e32 v6, v17
	ds_bpermute_b32 v8, v4, v17
	ds_bpermute_b32 v3, v4, v1
	;; [unrolled: 1-line block ×3, first 2 shown]
	s_and_saveexec_b32 s1, vcc_lo
	s_cbranch_execz .LBB315_144
; %bb.139:
	s_waitcnt lgkmcnt(2)
	v_and_b32_e32 v6, v17, v8
	s_mov_b32 s2, exec_lo
	v_and_b32_e32 v6, 1, v6
	v_cmpx_eq_u32_e32 1, v6
	s_xor_b32 s2, exec_lo, s2
	s_cbranch_execz .LBB315_141
; %bb.140:
	s_waitcnt lgkmcnt(0)
	v_cmp_lt_i64_e32 vcc_lo, v[3:4], v[1:2]
                                        ; implicit-def: $vgpr17
                                        ; implicit-def: $vgpr8
	v_cndmask_b32_e32 v2, v2, v4, vcc_lo
	v_cndmask_b32_e32 v1, v1, v3, vcc_lo
                                        ; implicit-def: $vgpr3_vgpr4
.LBB315_141:
	s_or_saveexec_b32 s2, s2
	v_mov_b32_e32 v6, 1
	s_xor_b32 exec_lo, exec_lo, s2
	s_cbranch_execz .LBB315_143
; %bb.142:
	v_and_b32_e32 v6, 1, v17
	v_cmp_eq_u32_e32 vcc_lo, 1, v6
	v_cndmask_b32_e64 v6, v8, 1, vcc_lo
	s_waitcnt lgkmcnt(0)
	v_cndmask_b32_e32 v2, v4, v2, vcc_lo
	v_cndmask_b32_e32 v1, v3, v1, vcc_lo
.LBB315_143:
	s_or_b32 exec_lo, exec_lo, s2
	v_and_b32_e32 v17, 0xff, v6
.LBB315_144:
	s_or_b32 exec_lo, exec_lo, s1
	s_mov_b32 s1, exec_lo
	v_cmpx_eq_u32_e32 0, v5
	s_cbranch_execz .LBB315_146
; %bb.145:
	s_waitcnt lgkmcnt(1)
	v_lshrrev_b32_e32 v3, 1, v0
	v_and_b32_e32 v3, 0x70, v3
	ds_write_b8 v3, v6 offset:512
	ds_write_b64 v3, v[1:2] offset:520
.LBB315_146:
	s_or_b32 exec_lo, exec_lo, s1
	s_mov_b32 s1, exec_lo
	s_waitcnt lgkmcnt(0)
	s_barrier
	buffer_gl0_inv
	v_cmpx_gt_u32_e32 8, v0
	s_cbranch_execz .LBB315_166
; %bb.147:
	v_lshlrev_b32_e32 v1, 4, v5
	v_and_b32_e32 v6, 7, v5
	s_add_i32 s0, s0, 31
	s_mov_b32 s2, exec_lo
	s_lshr_b32 s0, s0, 5
	ds_read_u8 v8, v1 offset:512
	ds_read_b64 v[1:2], v1 offset:520
	v_cmp_ne_u32_e32 vcc_lo, 7, v6
	v_add_nc_u32_e32 v10, 1, v6
	v_add_co_ci_u32_e64 v3, null, 0, v5, vcc_lo
	v_lshlrev_b32_e32 v4, 2, v3
	s_waitcnt lgkmcnt(1)
	v_and_b32_e32 v17, 0xff, v8
	s_waitcnt lgkmcnt(0)
	ds_bpermute_b32 v3, v4, v1
	ds_bpermute_b32 v9, v4, v17
	;; [unrolled: 1-line block ×3, first 2 shown]
	v_cmpx_gt_u32_e64 s0, v10
	s_cbranch_execz .LBB315_153
; %bb.148:
	s_waitcnt lgkmcnt(1)
	v_and_b32_e32 v10, v17, v9
	s_mov_b32 s3, exec_lo
	v_and_b32_e32 v10, 1, v10
	v_cmpx_eq_u32_e32 1, v10
	s_xor_b32 s3, exec_lo, s3
	s_cbranch_execz .LBB315_150
; %bb.149:
	s_waitcnt lgkmcnt(0)
	v_cmp_lt_i64_e32 vcc_lo, v[3:4], v[1:2]
                                        ; implicit-def: $vgpr8
                                        ; implicit-def: $vgpr9
	v_cndmask_b32_e32 v2, v2, v4, vcc_lo
	v_cndmask_b32_e32 v1, v1, v3, vcc_lo
                                        ; implicit-def: $vgpr3_vgpr4
.LBB315_150:
	s_or_saveexec_b32 s3, s3
	v_mov_b32_e32 v17, 1
	s_xor_b32 exec_lo, exec_lo, s3
	s_cbranch_execz .LBB315_152
; %bb.151:
	v_and_b32_e32 v8, 1, v8
	v_cmp_eq_u32_e32 vcc_lo, 1, v8
	v_and_b32_e32 v8, 0xff, v9
	s_waitcnt lgkmcnt(0)
	v_cndmask_b32_e32 v2, v4, v2, vcc_lo
	v_cndmask_b32_e32 v1, v3, v1, vcc_lo
	v_cndmask_b32_e64 v17, v8, 1, vcc_lo
.LBB315_152:
	s_or_b32 exec_lo, exec_lo, s3
.LBB315_153:
	s_or_b32 exec_lo, exec_lo, s2
	v_cmp_gt_u32_e32 vcc_lo, 6, v6
	v_add_nc_u32_e32 v8, 2, v6
	s_mov_b32 s2, exec_lo
	s_waitcnt lgkmcnt(2)
	v_cndmask_b32_e64 v3, 0, 2, vcc_lo
	s_waitcnt lgkmcnt(0)
	v_add_lshl_u32 v4, v3, v5, 2
	ds_bpermute_b32 v5, v4, v17
	ds_bpermute_b32 v3, v4, v1
	;; [unrolled: 1-line block ×3, first 2 shown]
	v_cmpx_gt_u32_e64 s0, v8
	s_cbranch_execz .LBB315_159
; %bb.154:
	s_waitcnt lgkmcnt(2)
	v_and_b32_e32 v8, v17, v5
	s_mov_b32 s3, exec_lo
	v_and_b32_e32 v8, 1, v8
	v_cmpx_eq_u32_e32 1, v8
	s_xor_b32 s3, exec_lo, s3
	s_cbranch_execz .LBB315_156
; %bb.155:
	s_waitcnt lgkmcnt(0)
	v_cmp_lt_i64_e32 vcc_lo, v[3:4], v[1:2]
                                        ; implicit-def: $vgpr17
                                        ; implicit-def: $vgpr5
	v_cndmask_b32_e32 v2, v2, v4, vcc_lo
	v_cndmask_b32_e32 v1, v1, v3, vcc_lo
                                        ; implicit-def: $vgpr3_vgpr4
.LBB315_156:
	s_or_saveexec_b32 s3, s3
	v_mov_b32_e32 v8, 1
	s_xor_b32 exec_lo, exec_lo, s3
	s_cbranch_execz .LBB315_158
; %bb.157:
	v_and_b32_e32 v8, 1, v17
	v_and_b32_e32 v5, 0xff, v5
	v_cmp_eq_u32_e32 vcc_lo, 1, v8
	s_waitcnt lgkmcnt(0)
	v_cndmask_b32_e32 v2, v4, v2, vcc_lo
	v_cndmask_b32_e32 v1, v3, v1, vcc_lo
	v_cndmask_b32_e64 v8, v5, 1, vcc_lo
.LBB315_158:
	s_or_b32 exec_lo, exec_lo, s3
	v_mov_b32_e32 v17, v8
.LBB315_159:
	s_or_b32 exec_lo, exec_lo, s2
	s_waitcnt lgkmcnt(0)
	v_or_b32_e32 v4, 16, v7
	v_add_nc_u32_e32 v6, 4, v6
	ds_bpermute_b32 v5, v4, v17
	ds_bpermute_b32 v3, v4, v1
	;; [unrolled: 1-line block ×3, first 2 shown]
	v_cmp_gt_u32_e32 vcc_lo, s0, v6
	s_and_saveexec_b32 s0, vcc_lo
	s_cbranch_execz .LBB315_165
; %bb.160:
	s_waitcnt lgkmcnt(2)
	v_and_b32_e32 v6, v17, v5
	s_mov_b32 s2, exec_lo
	v_and_b32_e32 v6, 1, v6
	v_cmpx_eq_u32_e32 1, v6
	s_xor_b32 s2, exec_lo, s2
	s_cbranch_execz .LBB315_162
; %bb.161:
	s_waitcnt lgkmcnt(0)
	v_cmp_lt_i64_e32 vcc_lo, v[3:4], v[1:2]
                                        ; implicit-def: $vgpr17
                                        ; implicit-def: $vgpr5
	v_cndmask_b32_e32 v2, v2, v4, vcc_lo
	v_cndmask_b32_e32 v1, v1, v3, vcc_lo
                                        ; implicit-def: $vgpr3_vgpr4
.LBB315_162:
	s_or_saveexec_b32 s2, s2
	v_mov_b32_e32 v6, 1
	s_xor_b32 exec_lo, exec_lo, s2
	s_cbranch_execz .LBB315_164
; %bb.163:
	v_and_b32_e32 v6, 1, v17
	v_cmp_eq_u32_e32 vcc_lo, 1, v6
	s_waitcnt lgkmcnt(0)
	v_cndmask_b32_e32 v2, v4, v2, vcc_lo
	v_cndmask_b32_e32 v1, v3, v1, vcc_lo
	v_cndmask_b32_e64 v6, v5, 1, vcc_lo
.LBB315_164:
	s_or_b32 exec_lo, exec_lo, s2
	v_mov_b32_e32 v17, v6
.LBB315_165:
	s_or_b32 exec_lo, exec_lo, s0
.LBB315_166:
	s_or_b32 exec_lo, exec_lo, s1
.LBB315_167:
	s_mov_b32 s22, 0
                                        ; implicit-def: $vgpr3_vgpr4
                                        ; implicit-def: $vgpr5
	s_mov_b32 s0, exec_lo
	v_cmpx_eq_u32_e32 0, v0
	s_xor_b32 s2, exec_lo, s0
	s_cbranch_execz .LBB315_171
; %bb.168:
	s_waitcnt lgkmcnt(0)
	v_mov_b32_e32 v3, s20
	v_mov_b32_e32 v4, s21
	;; [unrolled: 1-line block ×3, first 2 shown]
	s_cmp_eq_u64 s[14:15], 0
	s_cbranch_scc1 .LBB315_170
; %bb.169:
	v_and_b32_e32 v3, 1, v17
	v_cmp_gt_i64_e32 vcc_lo, s[20:21], v[1:2]
	s_bitcmp1_b32 s24, 0
	s_cselect_b32 s1, -1, 0
	v_cmp_eq_u32_e64 s0, 1, v3
	v_cndmask_b32_e64 v5, v17, 1, s1
	s_and_b32 vcc_lo, s0, vcc_lo
	v_cndmask_b32_e32 v3, s20, v1, vcc_lo
	v_cndmask_b32_e32 v4, s21, v2, vcc_lo
	v_cndmask_b32_e64 v3, v1, v3, s1
	v_cndmask_b32_e64 v4, v2, v4, s1
.LBB315_170:
	s_mov_b32 s22, exec_lo
.LBB315_171:
	s_or_b32 exec_lo, exec_lo, s2
	v_mov_b32_e32 v1, s6
	v_mov_b32_e32 v2, s7
	s_and_b32 vcc_lo, exec_lo, s26
	s_cbranch_vccnz .LBB315_24
.LBB315_172:
	s_branch .LBB315_356
.LBB315_173:
	v_lshlrev_b32_e32 v3, 1, v0
	s_clause 0x1
	global_load_ushort v10, v3, s[2:3] offset:1536
	global_load_ushort v14, v3, s[8:9] offset:1536
	v_add_co_u32 v3, s2, s11, v13
	v_add_co_ci_u32_e64 v4, null, s23, 0, s2
	s_waitcnt vmcnt(0)
	v_cmp_ne_u16_e64 s2, v10, v14
	v_cndmask_b32_e64 v10, 0, 1, s2
	s_or_b32 exec_lo, exec_lo, s26
	s_and_saveexec_b32 s3, s1
	s_cbranch_execz .LBB315_76
.LBB315_174:
	v_and_b32_e32 v9, 1, v9
	v_and_b32_e32 v13, 1, v12
	v_cmp_eq_u32_e64 s1, 1, v9
	v_cmp_eq_u32_e64 s2, 1, v13
                                        ; implicit-def: $vgpr9
	s_and_b32 s2, s1, s2
	s_xor_b32 s2, s2, -1
	s_and_saveexec_b32 s8, s2
	s_xor_b32 s2, exec_lo, s8
; %bb.175:
	v_and_b32_e32 v9, 0xffff, v12
	v_cndmask_b32_e64 v2, v8, v2, s1
	v_cndmask_b32_e64 v1, v7, v1, s1
                                        ; implicit-def: $vgpr7_vgpr8
	v_cndmask_b32_e64 v9, v9, 1, s1
; %bb.176:
	s_andn2_saveexec_b32 s2, s2
; %bb.177:
	v_cmp_lt_i64_e64 s1, v[7:8], v[1:2]
	v_mov_b32_e32 v9, 1
	v_cndmask_b32_e64 v2, v2, v8, s1
	v_cndmask_b32_e64 v1, v1, v7, s1
; %bb.178:
	s_or_b32 exec_lo, exec_lo, s2
	s_or_b32 exec_lo, exec_lo, s3
	s_and_saveexec_b32 s2, s0
	s_cbranch_execz .LBB315_77
.LBB315_179:
	v_and_b32_e32 v7, 1, v9
	v_and_b32_e32 v8, 1, v11
                                        ; implicit-def: $vgpr9
	v_cmp_eq_u32_e64 s0, 1, v7
	v_cmp_eq_u32_e64 s1, 1, v8
	s_and_b32 s1, s0, s1
	s_xor_b32 s1, s1, -1
	s_and_saveexec_b32 s3, s1
	s_xor_b32 s1, exec_lo, s3
; %bb.180:
	v_and_b32_e32 v7, 0xffff, v11
	v_cndmask_b32_e64 v2, v6, v2, s0
	v_cndmask_b32_e64 v1, v5, v1, s0
                                        ; implicit-def: $vgpr5_vgpr6
	v_cndmask_b32_e64 v9, v7, 1, s0
; %bb.181:
	s_andn2_saveexec_b32 s1, s1
; %bb.182:
	v_cmp_lt_i64_e64 s0, v[5:6], v[1:2]
	v_mov_b32_e32 v9, 1
	v_cndmask_b32_e64 v2, v2, v6, s0
	v_cndmask_b32_e64 v1, v1, v5, s0
; %bb.183:
	s_or_b32 exec_lo, exec_lo, s1
	s_or_b32 exec_lo, exec_lo, s2
	s_and_saveexec_b32 s1, vcc_lo
	s_cbranch_execz .LBB315_189
.LBB315_184:
	v_and_b32_e32 v5, 1, v9
	v_and_b32_e32 v6, 1, v10
                                        ; implicit-def: $vgpr9
	v_cmp_eq_u32_e32 vcc_lo, 1, v5
	v_cmp_eq_u32_e64 s0, 1, v6
	s_and_b32 s0, vcc_lo, s0
	s_xor_b32 s0, s0, -1
	s_and_saveexec_b32 s2, s0
	s_xor_b32 s0, exec_lo, s2
; %bb.185:
	v_and_b32_e32 v5, 0xffff, v10
	v_cndmask_b32_e32 v2, v4, v2, vcc_lo
	v_cndmask_b32_e32 v1, v3, v1, vcc_lo
                                        ; implicit-def: $vgpr3_vgpr4
	v_cndmask_b32_e64 v9, v5, 1, vcc_lo
; %bb.186:
	s_andn2_saveexec_b32 s0, s0
; %bb.187:
	v_cmp_lt_i64_e32 vcc_lo, v[3:4], v[1:2]
	v_mov_b32_e32 v9, 1
	v_cndmask_b32_e32 v2, v2, v4, vcc_lo
	v_cndmask_b32_e32 v1, v1, v3, vcc_lo
; %bb.188:
	s_or_b32 exec_lo, exec_lo, s0
.LBB315_189:
	s_or_b32 exec_lo, exec_lo, s1
	v_mbcnt_lo_u32_b32 v5, -1, 0
	v_and_b32_e32 v6, 0xe0, v0
	s_min_u32 s0, s10, 0x100
	s_mov_b32 s1, exec_lo
	v_cmp_ne_u32_e32 vcc_lo, 31, v5
	v_sub_nc_u32_e64 v6, s0, v6 clamp
	v_add_nc_u32_e32 v8, 1, v5
	v_add_co_ci_u32_e64 v3, null, 0, v5, vcc_lo
	v_lshlrev_b32_e32 v4, 2, v3
	ds_bpermute_b32 v7, v4, v9
	ds_bpermute_b32 v3, v4, v1
	;; [unrolled: 1-line block ×3, first 2 shown]
	v_cmpx_lt_u32_e64 v8, v6
	s_xor_b32 s1, exec_lo, s1
	s_cbranch_execz .LBB315_195
; %bb.190:
	s_waitcnt lgkmcnt(2)
	v_and_b32_e32 v8, v7, v9
	s_mov_b32 s2, exec_lo
	v_cmpx_ne_u32_e32 0, v8
	s_xor_b32 s2, exec_lo, s2
	s_cbranch_execz .LBB315_192
; %bb.191:
	s_waitcnt lgkmcnt(0)
	v_cmp_lt_i64_e32 vcc_lo, v[3:4], v[1:2]
                                        ; implicit-def: $vgpr9
                                        ; implicit-def: $vgpr7
	v_cndmask_b32_e32 v2, v2, v4, vcc_lo
	v_cndmask_b32_e32 v1, v1, v3, vcc_lo
                                        ; implicit-def: $vgpr3_vgpr4
.LBB315_192:
	s_or_saveexec_b32 s2, s2
	v_mov_b32_e32 v8, 1
	s_xor_b32 exec_lo, exec_lo, s2
	s_cbranch_execz .LBB315_194
; %bb.193:
	v_and_b32_e32 v8, 1, v9
	v_and_b32_e32 v7, 0xff, v7
	v_cmp_eq_u32_e32 vcc_lo, 1, v8
	s_waitcnt lgkmcnt(0)
	v_cndmask_b32_e32 v2, v4, v2, vcc_lo
	v_cndmask_b32_e32 v1, v3, v1, vcc_lo
	v_cndmask_b32_e64 v8, v7, 1, vcc_lo
.LBB315_194:
	s_or_b32 exec_lo, exec_lo, s2
	v_mov_b32_e32 v9, v8
.LBB315_195:
	s_or_b32 exec_lo, exec_lo, s1
	v_cmp_gt_u32_e32 vcc_lo, 30, v5
	v_add_nc_u32_e32 v8, 2, v5
	s_mov_b32 s1, exec_lo
	s_waitcnt lgkmcnt(1)
	v_cndmask_b32_e64 v3, 0, 2, vcc_lo
	s_waitcnt lgkmcnt(0)
	v_add_lshl_u32 v4, v3, v5, 2
	ds_bpermute_b32 v7, v4, v9
	ds_bpermute_b32 v3, v4, v1
	ds_bpermute_b32 v4, v4, v2
	v_cmpx_lt_u32_e64 v8, v6
	s_cbranch_execz .LBB315_201
; %bb.196:
	s_waitcnt lgkmcnt(2)
	v_and_b32_e32 v8, v9, v7
	s_mov_b32 s2, exec_lo
	v_and_b32_e32 v8, 1, v8
	v_cmpx_eq_u32_e32 1, v8
	s_xor_b32 s2, exec_lo, s2
	s_cbranch_execz .LBB315_198
; %bb.197:
	s_waitcnt lgkmcnt(0)
	v_cmp_lt_i64_e32 vcc_lo, v[3:4], v[1:2]
                                        ; implicit-def: $vgpr9
                                        ; implicit-def: $vgpr7
	v_cndmask_b32_e32 v2, v2, v4, vcc_lo
	v_cndmask_b32_e32 v1, v1, v3, vcc_lo
                                        ; implicit-def: $vgpr3_vgpr4
.LBB315_198:
	s_or_saveexec_b32 s2, s2
	v_mov_b32_e32 v8, 1
	s_xor_b32 exec_lo, exec_lo, s2
	s_cbranch_execz .LBB315_200
; %bb.199:
	v_and_b32_e32 v8, 1, v9
	v_and_b32_e32 v7, 0xff, v7
	v_cmp_eq_u32_e32 vcc_lo, 1, v8
	s_waitcnt lgkmcnt(0)
	v_cndmask_b32_e32 v2, v4, v2, vcc_lo
	v_cndmask_b32_e32 v1, v3, v1, vcc_lo
	v_cndmask_b32_e64 v8, v7, 1, vcc_lo
.LBB315_200:
	s_or_b32 exec_lo, exec_lo, s2
	v_mov_b32_e32 v9, v8
.LBB315_201:
	s_or_b32 exec_lo, exec_lo, s1
	v_cmp_gt_u32_e32 vcc_lo, 28, v5
	v_add_nc_u32_e32 v8, 4, v5
	s_mov_b32 s1, exec_lo
	s_waitcnt lgkmcnt(1)
	v_cndmask_b32_e64 v3, 0, 4, vcc_lo
	s_waitcnt lgkmcnt(0)
	v_add_lshl_u32 v4, v3, v5, 2
	ds_bpermute_b32 v7, v4, v9
	ds_bpermute_b32 v3, v4, v1
	ds_bpermute_b32 v4, v4, v2
	v_cmpx_lt_u32_e64 v8, v6
	s_cbranch_execz .LBB315_207
; %bb.202:
	s_waitcnt lgkmcnt(2)
	v_and_b32_e32 v8, v9, v7
	s_mov_b32 s2, exec_lo
	v_and_b32_e32 v8, 1, v8
	v_cmpx_eq_u32_e32 1, v8
	s_xor_b32 s2, exec_lo, s2
	s_cbranch_execz .LBB315_204
; %bb.203:
	s_waitcnt lgkmcnt(0)
	v_cmp_lt_i64_e32 vcc_lo, v[3:4], v[1:2]
                                        ; implicit-def: $vgpr9
                                        ; implicit-def: $vgpr7
	v_cndmask_b32_e32 v2, v2, v4, vcc_lo
	v_cndmask_b32_e32 v1, v1, v3, vcc_lo
                                        ; implicit-def: $vgpr3_vgpr4
.LBB315_204:
	s_or_saveexec_b32 s2, s2
	v_mov_b32_e32 v8, 1
	s_xor_b32 exec_lo, exec_lo, s2
	s_cbranch_execz .LBB315_206
; %bb.205:
	v_and_b32_e32 v8, 1, v9
	v_and_b32_e32 v7, 0xff, v7
	v_cmp_eq_u32_e32 vcc_lo, 1, v8
	s_waitcnt lgkmcnt(0)
	v_cndmask_b32_e32 v2, v4, v2, vcc_lo
	v_cndmask_b32_e32 v1, v3, v1, vcc_lo
	v_cndmask_b32_e64 v8, v7, 1, vcc_lo
.LBB315_206:
	s_or_b32 exec_lo, exec_lo, s2
	v_mov_b32_e32 v9, v8
.LBB315_207:
	s_or_b32 exec_lo, exec_lo, s1
	v_cmp_gt_u32_e32 vcc_lo, 24, v5
	v_add_nc_u32_e32 v8, 8, v5
	s_mov_b32 s1, exec_lo
	s_waitcnt lgkmcnt(1)
	v_cndmask_b32_e64 v3, 0, 8, vcc_lo
	s_waitcnt lgkmcnt(0)
	v_add_lshl_u32 v4, v3, v5, 2
	ds_bpermute_b32 v7, v4, v9
	ds_bpermute_b32 v3, v4, v1
	ds_bpermute_b32 v4, v4, v2
	v_cmpx_lt_u32_e64 v8, v6
	s_cbranch_execz .LBB315_213
; %bb.208:
	s_waitcnt lgkmcnt(2)
	v_and_b32_e32 v8, v9, v7
	s_mov_b32 s2, exec_lo
	v_and_b32_e32 v8, 1, v8
	v_cmpx_eq_u32_e32 1, v8
	s_xor_b32 s2, exec_lo, s2
	s_cbranch_execz .LBB315_210
; %bb.209:
	s_waitcnt lgkmcnt(0)
	v_cmp_lt_i64_e32 vcc_lo, v[3:4], v[1:2]
                                        ; implicit-def: $vgpr9
                                        ; implicit-def: $vgpr7
	v_cndmask_b32_e32 v2, v2, v4, vcc_lo
	v_cndmask_b32_e32 v1, v1, v3, vcc_lo
                                        ; implicit-def: $vgpr3_vgpr4
.LBB315_210:
	s_or_saveexec_b32 s2, s2
	v_mov_b32_e32 v8, 1
	s_xor_b32 exec_lo, exec_lo, s2
	s_cbranch_execz .LBB315_212
; %bb.211:
	v_and_b32_e32 v8, 1, v9
	v_and_b32_e32 v7, 0xff, v7
	v_cmp_eq_u32_e32 vcc_lo, 1, v8
	s_waitcnt lgkmcnt(0)
	v_cndmask_b32_e32 v2, v4, v2, vcc_lo
	v_cndmask_b32_e32 v1, v3, v1, vcc_lo
	v_cndmask_b32_e64 v8, v7, 1, vcc_lo
.LBB315_212:
	s_or_b32 exec_lo, exec_lo, s2
	v_mov_b32_e32 v9, v8
.LBB315_213:
	s_or_b32 exec_lo, exec_lo, s1
	s_waitcnt lgkmcnt(2)
	v_lshlrev_b32_e32 v7, 2, v5
	v_add_nc_u32_e32 v10, 16, v5
	s_waitcnt lgkmcnt(0)
	v_or_b32_e32 v4, 64, v7
	v_cmp_lt_u32_e32 vcc_lo, v10, v6
	v_mov_b32_e32 v6, v9
	ds_bpermute_b32 v8, v4, v9
	ds_bpermute_b32 v3, v4, v1
	;; [unrolled: 1-line block ×3, first 2 shown]
	s_and_saveexec_b32 s1, vcc_lo
	s_cbranch_execz .LBB315_219
; %bb.214:
	s_waitcnt lgkmcnt(2)
	v_and_b32_e32 v6, v9, v8
	s_mov_b32 s2, exec_lo
	v_and_b32_e32 v6, 1, v6
	v_cmpx_eq_u32_e32 1, v6
	s_xor_b32 s2, exec_lo, s2
	s_cbranch_execz .LBB315_216
; %bb.215:
	s_waitcnt lgkmcnt(0)
	v_cmp_lt_i64_e32 vcc_lo, v[3:4], v[1:2]
                                        ; implicit-def: $vgpr9
                                        ; implicit-def: $vgpr8
	v_cndmask_b32_e32 v2, v2, v4, vcc_lo
	v_cndmask_b32_e32 v1, v1, v3, vcc_lo
                                        ; implicit-def: $vgpr3_vgpr4
.LBB315_216:
	s_or_saveexec_b32 s2, s2
	v_mov_b32_e32 v6, 1
	s_xor_b32 exec_lo, exec_lo, s2
	s_cbranch_execz .LBB315_218
; %bb.217:
	v_and_b32_e32 v6, 1, v9
	v_cmp_eq_u32_e32 vcc_lo, 1, v6
	v_cndmask_b32_e64 v6, v8, 1, vcc_lo
	s_waitcnt lgkmcnt(0)
	v_cndmask_b32_e32 v2, v4, v2, vcc_lo
	v_cndmask_b32_e32 v1, v3, v1, vcc_lo
.LBB315_218:
	s_or_b32 exec_lo, exec_lo, s2
	v_and_b32_e32 v9, 0xff, v6
.LBB315_219:
	s_or_b32 exec_lo, exec_lo, s1
	s_mov_b32 s1, exec_lo
	v_cmpx_eq_u32_e32 0, v5
	s_cbranch_execz .LBB315_221
; %bb.220:
	s_waitcnt lgkmcnt(1)
	v_lshrrev_b32_e32 v3, 1, v0
	v_and_b32_e32 v3, 0x70, v3
	ds_write_b8 v3, v6 offset:512
	ds_write_b64 v3, v[1:2] offset:520
.LBB315_221:
	s_or_b32 exec_lo, exec_lo, s1
	s_mov_b32 s1, exec_lo
	s_waitcnt lgkmcnt(0)
	s_barrier
	buffer_gl0_inv
	v_cmpx_gt_u32_e32 8, v0
	s_cbranch_execz .LBB315_241
; %bb.222:
	v_lshlrev_b32_e32 v1, 4, v5
	v_and_b32_e32 v6, 7, v5
	s_add_i32 s0, s0, 31
	s_mov_b32 s2, exec_lo
	s_lshr_b32 s0, s0, 5
	ds_read_u8 v8, v1 offset:512
	ds_read_b64 v[1:2], v1 offset:520
	v_cmp_ne_u32_e32 vcc_lo, 7, v6
	v_add_nc_u32_e32 v11, 1, v6
	v_add_co_ci_u32_e64 v3, null, 0, v5, vcc_lo
	v_lshlrev_b32_e32 v4, 2, v3
	s_waitcnt lgkmcnt(1)
	v_and_b32_e32 v9, 0xff, v8
	s_waitcnt lgkmcnt(0)
	ds_bpermute_b32 v3, v4, v1
	ds_bpermute_b32 v10, v4, v9
	;; [unrolled: 1-line block ×3, first 2 shown]
	v_cmpx_gt_u32_e64 s0, v11
	s_cbranch_execz .LBB315_228
; %bb.223:
	s_waitcnt lgkmcnt(1)
	v_and_b32_e32 v9, v9, v10
	s_mov_b32 s3, exec_lo
	v_and_b32_e32 v9, 1, v9
	v_cmpx_eq_u32_e32 1, v9
	s_xor_b32 s3, exec_lo, s3
	s_cbranch_execz .LBB315_225
; %bb.224:
	s_waitcnt lgkmcnt(0)
	v_cmp_lt_i64_e32 vcc_lo, v[3:4], v[1:2]
                                        ; implicit-def: $vgpr8
                                        ; implicit-def: $vgpr10
	v_cndmask_b32_e32 v2, v2, v4, vcc_lo
	v_cndmask_b32_e32 v1, v1, v3, vcc_lo
                                        ; implicit-def: $vgpr3_vgpr4
.LBB315_225:
	s_or_saveexec_b32 s3, s3
	v_mov_b32_e32 v9, 1
	s_xor_b32 exec_lo, exec_lo, s3
	s_cbranch_execz .LBB315_227
; %bb.226:
	v_and_b32_e32 v8, 1, v8
	v_cmp_eq_u32_e32 vcc_lo, 1, v8
	v_and_b32_e32 v8, 0xff, v10
	s_waitcnt lgkmcnt(0)
	v_cndmask_b32_e32 v2, v4, v2, vcc_lo
	v_cndmask_b32_e32 v1, v3, v1, vcc_lo
	v_cndmask_b32_e64 v9, v8, 1, vcc_lo
.LBB315_227:
	s_or_b32 exec_lo, exec_lo, s3
.LBB315_228:
	s_or_b32 exec_lo, exec_lo, s2
	v_cmp_gt_u32_e32 vcc_lo, 6, v6
	v_add_nc_u32_e32 v8, 2, v6
	s_mov_b32 s2, exec_lo
	s_waitcnt lgkmcnt(2)
	v_cndmask_b32_e64 v3, 0, 2, vcc_lo
	s_waitcnt lgkmcnt(0)
	v_add_lshl_u32 v4, v3, v5, 2
	ds_bpermute_b32 v5, v4, v9
	ds_bpermute_b32 v3, v4, v1
	;; [unrolled: 1-line block ×3, first 2 shown]
	v_cmpx_gt_u32_e64 s0, v8
	s_cbranch_execz .LBB315_234
; %bb.229:
	s_waitcnt lgkmcnt(2)
	v_and_b32_e32 v8, v9, v5
	s_mov_b32 s3, exec_lo
	v_and_b32_e32 v8, 1, v8
	v_cmpx_eq_u32_e32 1, v8
	s_xor_b32 s3, exec_lo, s3
	s_cbranch_execz .LBB315_231
; %bb.230:
	s_waitcnt lgkmcnt(0)
	v_cmp_lt_i64_e32 vcc_lo, v[3:4], v[1:2]
                                        ; implicit-def: $vgpr9
                                        ; implicit-def: $vgpr5
	v_cndmask_b32_e32 v2, v2, v4, vcc_lo
	v_cndmask_b32_e32 v1, v1, v3, vcc_lo
                                        ; implicit-def: $vgpr3_vgpr4
.LBB315_231:
	s_or_saveexec_b32 s3, s3
	v_mov_b32_e32 v8, 1
	s_xor_b32 exec_lo, exec_lo, s3
	s_cbranch_execz .LBB315_233
; %bb.232:
	v_and_b32_e32 v8, 1, v9
	v_and_b32_e32 v5, 0xff, v5
	v_cmp_eq_u32_e32 vcc_lo, 1, v8
	s_waitcnt lgkmcnt(0)
	v_cndmask_b32_e32 v2, v4, v2, vcc_lo
	v_cndmask_b32_e32 v1, v3, v1, vcc_lo
	v_cndmask_b32_e64 v8, v5, 1, vcc_lo
.LBB315_233:
	s_or_b32 exec_lo, exec_lo, s3
	v_mov_b32_e32 v9, v8
.LBB315_234:
	s_or_b32 exec_lo, exec_lo, s2
	s_waitcnt lgkmcnt(0)
	v_or_b32_e32 v4, 16, v7
	v_add_nc_u32_e32 v6, 4, v6
	ds_bpermute_b32 v5, v4, v9
	ds_bpermute_b32 v3, v4, v1
	;; [unrolled: 1-line block ×3, first 2 shown]
	v_cmp_gt_u32_e32 vcc_lo, s0, v6
	s_and_saveexec_b32 s0, vcc_lo
	s_cbranch_execz .LBB315_240
; %bb.235:
	s_waitcnt lgkmcnt(2)
	v_and_b32_e32 v6, v9, v5
	s_mov_b32 s2, exec_lo
	v_and_b32_e32 v6, 1, v6
	v_cmpx_eq_u32_e32 1, v6
	s_xor_b32 s2, exec_lo, s2
	s_cbranch_execz .LBB315_237
; %bb.236:
	s_waitcnt lgkmcnt(0)
	v_cmp_lt_i64_e32 vcc_lo, v[3:4], v[1:2]
                                        ; implicit-def: $vgpr9
                                        ; implicit-def: $vgpr5
	v_cndmask_b32_e32 v2, v2, v4, vcc_lo
	v_cndmask_b32_e32 v1, v1, v3, vcc_lo
                                        ; implicit-def: $vgpr3_vgpr4
.LBB315_237:
	s_or_saveexec_b32 s2, s2
	v_mov_b32_e32 v6, 1
	s_xor_b32 exec_lo, exec_lo, s2
	s_cbranch_execz .LBB315_239
; %bb.238:
	v_and_b32_e32 v6, 1, v9
	v_cmp_eq_u32_e32 vcc_lo, 1, v6
	s_waitcnt lgkmcnt(0)
	v_cndmask_b32_e32 v2, v4, v2, vcc_lo
	v_cndmask_b32_e32 v1, v3, v1, vcc_lo
	v_cndmask_b32_e64 v6, v5, 1, vcc_lo
.LBB315_239:
	s_or_b32 exec_lo, exec_lo, s2
	v_mov_b32_e32 v9, v6
.LBB315_240:
	s_or_b32 exec_lo, exec_lo, s0
.LBB315_241:
	s_or_b32 exec_lo, exec_lo, s1
.LBB315_242:
                                        ; implicit-def: $vgpr3_vgpr4
                                        ; implicit-def: $vgpr5
	s_mov_b32 s0, exec_lo
	v_cmpx_eq_u32_e32 0, v0
	s_xor_b32 s2, exec_lo, s0
	s_cbranch_execz .LBB315_246
; %bb.243:
	s_waitcnt lgkmcnt(0)
	v_mov_b32_e32 v3, s20
	v_mov_b32_e32 v4, s21
	;; [unrolled: 1-line block ×3, first 2 shown]
	s_cmp_eq_u64 s[14:15], 0
	s_cbranch_scc1 .LBB315_245
; %bb.244:
	v_and_b32_e32 v3, 1, v9
	v_cmp_gt_i64_e32 vcc_lo, s[20:21], v[1:2]
	s_bitcmp1_b32 s24, 0
	s_cselect_b32 s1, -1, 0
	v_cmp_eq_u32_e64 s0, 1, v3
	v_cndmask_b32_e64 v5, v9, 1, s1
	s_and_b32 vcc_lo, s0, vcc_lo
	v_cndmask_b32_e32 v3, s20, v1, vcc_lo
	v_cndmask_b32_e32 v4, s21, v2, vcc_lo
	v_cndmask_b32_e64 v3, v1, v3, s1
	v_cndmask_b32_e64 v4, v2, v4, s1
.LBB315_245:
	s_or_b32 s22, s22, exec_lo
.LBB315_246:
	s_or_b32 exec_lo, exec_lo, s2
	v_mov_b32_e32 v1, s6
	v_mov_b32_e32 v2, s7
	s_branch .LBB315_356
.LBB315_247:
	s_cmp_gt_i32 s25, 1
	s_cbranch_scc0 .LBB315_267
; %bb.248:
	s_cmp_eq_u32 s25, 2
	s_cbranch_scc0 .LBB315_268
; %bb.249:
	s_mov_b32 s7, 0
	s_lshl_b32 s10, s6, 9
	s_mov_b32 s11, s7
	s_lshr_b64 s[26:27], s[14:15], 9
	s_lshl_b64 s[0:1], s[10:11], 1
	s_add_u32 s2, s16, s0
	s_addc_u32 s3, s17, s1
	s_add_u32 s8, s18, s0
	s_addc_u32 s9, s19, s1
	;; [unrolled: 2-line block ×3, first 2 shown]
	s_cmp_lg_u64 s[26:27], s[6:7]
	s_cbranch_scc0 .LBB315_269
; %bb.250:
	v_lshlrev_b32_e32 v1, 1, v0
	s_waitcnt lgkmcnt(1)
	v_add_co_u32 v5, s0, s11, v0
	s_waitcnt lgkmcnt(0)
	v_add_co_ci_u32_e64 v6, null, s23, 0, s0
	s_clause 0x3
	global_load_ushort v2, v1, s[2:3]
	global_load_ushort v3, v1, s[8:9]
	global_load_ushort v4, v1, s[8:9] offset:512
	global_load_ushort v1, v1, s[2:3] offset:512
	v_add_co_u32 v7, vcc_lo, 0x100, v5
	v_add_co_ci_u32_e64 v8, null, 0, v6, vcc_lo
	s_waitcnt vmcnt(2)
	v_cmp_ne_u16_e32 vcc_lo, v2, v3
	s_waitcnt vmcnt(0)
	v_cmp_ne_u16_e64 s0, v1, v4
	v_cndmask_b32_e32 v2, v8, v6, vcc_lo
	v_cndmask_b32_e32 v1, v7, v5, vcc_lo
	s_or_b32 s0, vcc_lo, s0
	v_mbcnt_lo_u32_b32 v8, -1, 0
	v_cndmask_b32_e64 v5, 0, 1, s0
	v_mov_b32_dpp v4, v2 quad_perm:[1,0,3,2] row_mask:0xf bank_mask:0xf
	v_mov_b32_dpp v3, v1 quad_perm:[1,0,3,2] row_mask:0xf bank_mask:0xf
	;; [unrolled: 1-line block ×3, first 2 shown]
	v_cmp_lt_i64_e32 vcc_lo, v[1:2], v[3:4]
	v_and_b32_e32 v6, 1, v6
	s_and_b32 vcc_lo, s0, vcc_lo
	v_cndmask_b32_e32 v3, v3, v1, vcc_lo
	v_cndmask_b32_e32 v4, v4, v2, vcc_lo
	v_cmp_eq_u32_e32 vcc_lo, 1, v6
	v_cndmask_b32_e32 v2, v2, v4, vcc_lo
	v_cndmask_b32_e32 v1, v1, v3, vcc_lo
	v_cndmask_b32_e64 v5, v5, 1, vcc_lo
	v_mov_b32_dpp v4, v2 quad_perm:[2,3,0,1] row_mask:0xf bank_mask:0xf
	v_mov_b32_dpp v3, v1 quad_perm:[2,3,0,1] row_mask:0xf bank_mask:0xf
	v_and_b32_e32 v7, 1, v5
	v_mov_b32_dpp v6, v5 quad_perm:[2,3,0,1] row_mask:0xf bank_mask:0xf
	v_cmp_lt_i64_e32 vcc_lo, v[1:2], v[3:4]
	v_cmp_eq_u32_e64 s0, 1, v7
	v_and_b32_e32 v6, 1, v6
	s_and_b32 vcc_lo, s0, vcc_lo
	v_cmp_eq_u32_e64 s1, 1, v6
	v_cndmask_b32_e32 v3, v3, v1, vcc_lo
	v_cndmask_b32_e32 v4, v4, v2, vcc_lo
	v_cndmask_b32_e64 v5, v5, 1, s1
	v_cndmask_b32_e64 v1, v1, v3, s1
	;; [unrolled: 1-line block ×3, first 2 shown]
	v_and_b32_e32 v7, 1, v5
	v_mov_b32_dpp v3, v1 row_ror:4 row_mask:0xf bank_mask:0xf
	v_mov_b32_dpp v4, v2 row_ror:4 row_mask:0xf bank_mask:0xf
	;; [unrolled: 1-line block ×3, first 2 shown]
	v_cmp_eq_u32_e64 s0, 1, v7
	v_cmp_lt_i64_e32 vcc_lo, v[1:2], v[3:4]
	v_and_b32_e32 v6, 1, v6
	s_and_b32 vcc_lo, s0, vcc_lo
	v_cmp_eq_u32_e64 s1, 1, v6
	v_cndmask_b32_e32 v3, v3, v1, vcc_lo
	v_cndmask_b32_e32 v4, v4, v2, vcc_lo
	v_cndmask_b32_e64 v5, v5, 1, s1
	v_cndmask_b32_e64 v1, v1, v3, s1
	v_cndmask_b32_e64 v2, v2, v4, s1
	v_and_b32_e32 v7, 1, v5
	v_mov_b32_dpp v3, v1 row_ror:8 row_mask:0xf bank_mask:0xf
	v_mov_b32_dpp v4, v2 row_ror:8 row_mask:0xf bank_mask:0xf
	;; [unrolled: 1-line block ×3, first 2 shown]
	v_cmp_eq_u32_e64 s0, 1, v7
	v_cmp_lt_i64_e32 vcc_lo, v[1:2], v[3:4]
	v_and_b32_e32 v6, 1, v6
	s_and_b32 vcc_lo, s0, vcc_lo
	v_cmp_eq_u32_e64 s1, 1, v6
	v_cndmask_b32_e32 v3, v3, v1, vcc_lo
	v_cndmask_b32_e32 v4, v4, v2, vcc_lo
	v_cndmask_b32_e64 v5, v5, 1, s1
	v_cndmask_b32_e64 v1, v1, v3, s1
	;; [unrolled: 1-line block ×3, first 2 shown]
	ds_swizzle_b32 v6, v5 offset:swizzle(BROADCAST,32,15)
	ds_swizzle_b32 v3, v1 offset:swizzle(BROADCAST,32,15)
	;; [unrolled: 1-line block ×3, first 2 shown]
	v_and_b32_e32 v7, 1, v5
	v_cmp_eq_u32_e64 s0, 1, v7
	s_waitcnt lgkmcnt(2)
	v_and_b32_e32 v6, 1, v6
	s_waitcnt lgkmcnt(0)
	v_cmp_lt_i64_e32 vcc_lo, v[1:2], v[3:4]
	v_cmp_eq_u32_e64 s1, 1, v6
	v_mov_b32_e32 v6, 0
	s_and_b32 vcc_lo, s0, vcc_lo
	s_mov_b32 s0, exec_lo
	v_cndmask_b32_e32 v3, v3, v1, vcc_lo
	v_cndmask_b32_e32 v4, v4, v2, vcc_lo
	v_cndmask_b32_e64 v5, v5, 1, s1
	v_cndmask_b32_e64 v1, v1, v3, s1
	;; [unrolled: 1-line block ×3, first 2 shown]
	ds_bpermute_b32 v7, v6, v5 offset:124
	ds_bpermute_b32 v1, v6, v1 offset:124
	;; [unrolled: 1-line block ×3, first 2 shown]
	v_cmpx_eq_u32_e32 0, v8
	s_cbranch_execz .LBB315_252
; %bb.251:
	v_lshrrev_b32_e32 v3, 1, v0
	v_and_b32_e32 v3, 0x70, v3
	s_waitcnt lgkmcnt(2)
	ds_write_b8 v3, v7 offset:128
	s_waitcnt lgkmcnt(1)
	ds_write_b64 v3, v[1:2] offset:136
.LBB315_252:
	s_or_b32 exec_lo, exec_lo, s0
	s_mov_b32 s0, exec_lo
	s_waitcnt lgkmcnt(0)
	s_barrier
	buffer_gl0_inv
	v_cmpx_gt_u32_e32 32, v0
	s_cbranch_execz .LBB315_266
; %bb.253:
	v_and_b32_e32 v7, 7, v8
	v_lshlrev_b32_e32 v1, 4, v7
	v_cmp_ne_u32_e32 vcc_lo, 7, v7
	ds_read_u8 v10, v1 offset:128
	ds_read_b64 v[3:4], v1 offset:136
	v_add_co_ci_u32_e64 v2, null, 0, v8, vcc_lo
	v_lshlrev_b32_e32 v2, 2, v2
	s_waitcnt lgkmcnt(1)
	v_and_b32_e32 v1, 0xff, v10
	s_waitcnt lgkmcnt(0)
	ds_bpermute_b32 v5, v2, v3
	ds_bpermute_b32 v6, v2, v4
	;; [unrolled: 1-line block ×3, first 2 shown]
	s_waitcnt lgkmcnt(0)
	v_and_b32_e32 v1, v10, v11
	v_and_b32_e32 v1, 1, v1
	v_cmp_eq_u32_e32 vcc_lo, 1, v1
                                        ; implicit-def: $vgpr1_vgpr2
	s_and_saveexec_b32 s1, vcc_lo
	s_xor_b32 s1, exec_lo, s1
; %bb.254:
	v_cmp_lt_i64_e32 vcc_lo, v[5:6], v[3:4]
                                        ; implicit-def: $vgpr10
                                        ; implicit-def: $vgpr11
	v_cndmask_b32_e32 v2, v4, v6, vcc_lo
	v_cndmask_b32_e32 v1, v3, v5, vcc_lo
                                        ; implicit-def: $vgpr5_vgpr6
                                        ; implicit-def: $vgpr3_vgpr4
; %bb.255:
	s_or_saveexec_b32 s1, s1
	v_mov_b32_e32 v9, 1
	s_xor_b32 exec_lo, exec_lo, s1
; %bb.256:
	v_and_b32_e32 v1, 1, v10
	v_and_b32_e32 v9, 0xff, v11
	v_cmp_eq_u32_e32 vcc_lo, 1, v1
	v_cndmask_b32_e32 v2, v6, v4, vcc_lo
	v_cndmask_b32_e32 v1, v5, v3, vcc_lo
	v_cndmask_b32_e64 v9, v9, 1, vcc_lo
; %bb.257:
	s_or_b32 exec_lo, exec_lo, s1
	v_cmp_gt_u32_e32 vcc_lo, 6, v7
	v_cndmask_b32_e64 v3, 0, 2, vcc_lo
	v_add_lshl_u32 v3, v3, v8, 2
	ds_bpermute_b32 v7, v3, v9
	ds_bpermute_b32 v5, v3, v1
	;; [unrolled: 1-line block ×3, first 2 shown]
	s_waitcnt lgkmcnt(2)
	v_and_b32_e32 v3, v9, v7
	v_and_b32_e32 v3, 1, v3
	v_cmp_eq_u32_e32 vcc_lo, 1, v3
                                        ; implicit-def: $vgpr3_vgpr4
	s_and_saveexec_b32 s1, vcc_lo
	s_xor_b32 s1, exec_lo, s1
	s_cbranch_execz .LBB315_259
; %bb.258:
	s_waitcnt lgkmcnt(0)
	v_cmp_lt_i64_e32 vcc_lo, v[5:6], v[1:2]
                                        ; implicit-def: $vgpr9
                                        ; implicit-def: $vgpr7
	v_cndmask_b32_e32 v4, v2, v6, vcc_lo
	v_cndmask_b32_e32 v3, v1, v5, vcc_lo
                                        ; implicit-def: $vgpr5_vgpr6
                                        ; implicit-def: $vgpr1_vgpr2
.LBB315_259:
	s_or_saveexec_b32 s1, s1
	v_lshlrev_b32_e32 v10, 2, v8
	v_mov_b32_e32 v8, 1
	s_xor_b32 exec_lo, exec_lo, s1
	s_cbranch_execz .LBB315_261
; %bb.260:
	v_and_b32_e32 v3, 1, v9
	v_and_b32_e32 v7, 0xff, v7
	v_cmp_eq_u32_e32 vcc_lo, 1, v3
	s_waitcnt lgkmcnt(0)
	v_cndmask_b32_e32 v4, v6, v2, vcc_lo
	v_cndmask_b32_e32 v3, v5, v1, vcc_lo
	v_cndmask_b32_e64 v8, v7, 1, vcc_lo
.LBB315_261:
	s_or_b32 exec_lo, exec_lo, s1
	v_or_b32_e32 v1, 16, v10
	ds_bpermute_b32 v9, v1, v8
	s_waitcnt lgkmcnt(2)
	ds_bpermute_b32 v5, v1, v3
	s_waitcnt lgkmcnt(2)
	;; [unrolled: 2-line block ×3, first 2 shown]
	v_and_b32_e32 v1, v8, v9
	v_and_b32_e32 v1, 1, v1
	v_cmp_eq_u32_e32 vcc_lo, 1, v1
                                        ; implicit-def: $vgpr1_vgpr2
	s_and_saveexec_b32 s1, vcc_lo
	s_xor_b32 s1, exec_lo, s1
	s_cbranch_execz .LBB315_263
; %bb.262:
	s_waitcnt lgkmcnt(0)
	v_cmp_lt_i64_e32 vcc_lo, v[5:6], v[3:4]
                                        ; implicit-def: $vgpr8
                                        ; implicit-def: $vgpr9
	v_cndmask_b32_e32 v2, v4, v6, vcc_lo
	v_cndmask_b32_e32 v1, v3, v5, vcc_lo
                                        ; implicit-def: $vgpr5_vgpr6
                                        ; implicit-def: $vgpr3_vgpr4
.LBB315_263:
	s_or_saveexec_b32 s1, s1
	v_mov_b32_e32 v7, 1
	s_xor_b32 exec_lo, exec_lo, s1
	s_cbranch_execz .LBB315_265
; %bb.264:
	v_and_b32_e32 v1, 1, v8
	v_cmp_eq_u32_e32 vcc_lo, 1, v1
	s_waitcnt lgkmcnt(0)
	v_cndmask_b32_e32 v2, v6, v4, vcc_lo
	v_cndmask_b32_e32 v1, v5, v3, vcc_lo
	v_cndmask_b32_e64 v7, v9, 1, vcc_lo
.LBB315_265:
	s_or_b32 exec_lo, exec_lo, s1
.LBB315_266:
	s_or_b32 exec_lo, exec_lo, s0
	s_branch .LBB315_327
.LBB315_267:
                                        ; implicit-def: $vgpr3_vgpr4
                                        ; implicit-def: $vgpr5
                                        ; implicit-def: $vgpr1_vgpr2
	s_cbranch_execnz .LBB315_332
	s_branch .LBB315_356
.LBB315_268:
                                        ; implicit-def: $vgpr3_vgpr4
                                        ; implicit-def: $vgpr5
                                        ; implicit-def: $vgpr1_vgpr2
	s_branch .LBB315_356
.LBB315_269:
                                        ; implicit-def: $vgpr1_vgpr2
                                        ; implicit-def: $vgpr7
	s_cbranch_execz .LBB315_327
; %bb.270:
	s_waitcnt lgkmcnt(0)
	v_mov_b32_e32 v3, 0
	v_mov_b32_e32 v1, 0
	;; [unrolled: 1-line block ×6, first 2 shown]
	s_sub_i32 s10, s14, s10
	s_mov_b32 s0, exec_lo
	v_cmpx_gt_u32_e64 s10, v0
	s_cbranch_execz .LBB315_272
; %bb.271:
	v_lshlrev_b32_e32 v1, 1, v0
	s_clause 0x1
	global_load_ushort v6, v1, s[2:3]
	global_load_ushort v7, v1, s[8:9]
	v_add_co_u32 v1, s1, s11, v0
	v_add_co_ci_u32_e64 v2, null, s23, 0, s1
	s_waitcnt vmcnt(0)
	v_cmp_ne_u16_e32 vcc_lo, v6, v7
	v_cndmask_b32_e64 v6, 0, 1, vcc_lo
.LBB315_272:
	s_or_b32 exec_lo, exec_lo, s0
	v_or_b32_e32 v7, 0x100, v0
	v_cmp_gt_u32_e32 vcc_lo, s10, v7
	s_and_saveexec_b32 s1, vcc_lo
	s_cbranch_execz .LBB315_274
; %bb.273:
	v_lshlrev_b32_e32 v3, 1, v0
	s_clause 0x1
	global_load_ushort v5, v3, s[2:3] offset:512
	global_load_ushort v8, v3, s[8:9] offset:512
	v_add_co_u32 v3, s0, s11, v7
	v_add_co_ci_u32_e64 v4, null, s23, 0, s0
	s_waitcnt vmcnt(0)
	v_cmp_ne_u16_e64 s0, v5, v8
	v_cndmask_b32_e64 v5, 0, 1, s0
.LBB315_274:
	s_or_b32 exec_lo, exec_lo, s1
	v_and_b32_e32 v7, 1, v5
	v_cmp_lt_i64_e64 s0, v[3:4], v[1:2]
	v_and_b32_e32 v8, 0xffff, v5
	v_mbcnt_lo_u32_b32 v5, -1, 0
	v_cmp_eq_u32_e64 s1, 1, v7
	v_and_b32_e32 v7, 0xffff, v6
	v_and_b32_e32 v6, 1, v6
	s_and_b32 s0, s1, s0
	v_cmp_ne_u32_e64 s1, 31, v5
	v_cndmask_b32_e64 v9, v2, v4, s0
	v_cndmask_b32_e64 v10, v1, v3, s0
	v_cmp_eq_u32_e64 s0, 1, v6
	v_cndmask_b32_e64 v6, v8, 1, s0
	v_add_co_ci_u32_e64 v8, null, 0, v5, s1
	v_cndmask_b32_e64 v3, v3, v10, s0
	v_cndmask_b32_e64 v4, v4, v9, s0
	v_cndmask_b32_e32 v7, v7, v6, vcc_lo
	v_lshlrev_b32_e32 v6, 2, v8
	s_min_u32 s0, s10, 0x100
	v_cndmask_b32_e32 v1, v1, v3, vcc_lo
	v_cndmask_b32_e32 v2, v2, v4, vcc_lo
	v_add_nc_u32_e32 v9, 1, v5
	ds_bpermute_b32 v8, v6, v7
	s_mov_b32 s1, exec_lo
	ds_bpermute_b32 v3, v6, v1
	ds_bpermute_b32 v4, v6, v2
	v_and_b32_e32 v6, 0xe0, v0
	v_sub_nc_u32_e64 v6, s0, v6 clamp
	v_cmpx_lt_u32_e64 v9, v6
	s_cbranch_execz .LBB315_280
; %bb.275:
	s_waitcnt lgkmcnt(2)
	v_and_b32_e32 v9, v7, v8
	s_mov_b32 s2, exec_lo
	v_cmpx_ne_u32_e32 0, v9
	s_xor_b32 s2, exec_lo, s2
	s_cbranch_execz .LBB315_277
; %bb.276:
	s_waitcnt lgkmcnt(0)
	v_cmp_lt_i64_e32 vcc_lo, v[3:4], v[1:2]
                                        ; implicit-def: $vgpr7
                                        ; implicit-def: $vgpr8
	v_cndmask_b32_e32 v2, v2, v4, vcc_lo
	v_cndmask_b32_e32 v1, v1, v3, vcc_lo
                                        ; implicit-def: $vgpr3_vgpr4
.LBB315_277:
	s_or_saveexec_b32 s2, s2
	v_mov_b32_e32 v9, 1
	s_xor_b32 exec_lo, exec_lo, s2
	s_cbranch_execz .LBB315_279
; %bb.278:
	v_and_b32_e32 v7, 1, v7
	v_cmp_eq_u32_e32 vcc_lo, 1, v7
	v_and_b32_e32 v7, 0xff, v8
	s_waitcnt lgkmcnt(0)
	v_cndmask_b32_e32 v2, v4, v2, vcc_lo
	v_cndmask_b32_e32 v1, v3, v1, vcc_lo
	v_cndmask_b32_e64 v9, v7, 1, vcc_lo
.LBB315_279:
	s_or_b32 exec_lo, exec_lo, s2
	v_mov_b32_e32 v7, v9
.LBB315_280:
	s_or_b32 exec_lo, exec_lo, s1
	v_cmp_gt_u32_e32 vcc_lo, 30, v5
	v_add_nc_u32_e32 v9, 2, v5
	s_mov_b32 s1, exec_lo
	s_waitcnt lgkmcnt(1)
	v_cndmask_b32_e64 v3, 0, 2, vcc_lo
	s_waitcnt lgkmcnt(0)
	v_add_lshl_u32 v4, v3, v5, 2
	ds_bpermute_b32 v8, v4, v7
	ds_bpermute_b32 v3, v4, v1
	ds_bpermute_b32 v4, v4, v2
	v_cmpx_lt_u32_e64 v9, v6
	s_cbranch_execz .LBB315_286
; %bb.281:
	s_waitcnt lgkmcnt(2)
	v_and_b32_e32 v9, v7, v8
	s_mov_b32 s2, exec_lo
	v_and_b32_e32 v9, 1, v9
	v_cmpx_eq_u32_e32 1, v9
	s_xor_b32 s2, exec_lo, s2
	s_cbranch_execz .LBB315_283
; %bb.282:
	s_waitcnt lgkmcnt(0)
	v_cmp_lt_i64_e32 vcc_lo, v[3:4], v[1:2]
                                        ; implicit-def: $vgpr7
                                        ; implicit-def: $vgpr8
	v_cndmask_b32_e32 v2, v2, v4, vcc_lo
	v_cndmask_b32_e32 v1, v1, v3, vcc_lo
                                        ; implicit-def: $vgpr3_vgpr4
.LBB315_283:
	s_or_saveexec_b32 s2, s2
	v_mov_b32_e32 v9, 1
	s_xor_b32 exec_lo, exec_lo, s2
	s_cbranch_execz .LBB315_285
; %bb.284:
	v_and_b32_e32 v7, 1, v7
	v_cmp_eq_u32_e32 vcc_lo, 1, v7
	v_and_b32_e32 v7, 0xff, v8
	s_waitcnt lgkmcnt(0)
	v_cndmask_b32_e32 v2, v4, v2, vcc_lo
	v_cndmask_b32_e32 v1, v3, v1, vcc_lo
	v_cndmask_b32_e64 v9, v7, 1, vcc_lo
.LBB315_285:
	s_or_b32 exec_lo, exec_lo, s2
	v_mov_b32_e32 v7, v9
.LBB315_286:
	s_or_b32 exec_lo, exec_lo, s1
	v_cmp_gt_u32_e32 vcc_lo, 28, v5
	v_add_nc_u32_e32 v9, 4, v5
	s_mov_b32 s1, exec_lo
	s_waitcnt lgkmcnt(1)
	v_cndmask_b32_e64 v3, 0, 4, vcc_lo
	s_waitcnt lgkmcnt(0)
	v_add_lshl_u32 v4, v3, v5, 2
	ds_bpermute_b32 v8, v4, v7
	ds_bpermute_b32 v3, v4, v1
	ds_bpermute_b32 v4, v4, v2
	v_cmpx_lt_u32_e64 v9, v6
	s_cbranch_execz .LBB315_292
; %bb.287:
	s_waitcnt lgkmcnt(2)
	v_and_b32_e32 v9, v7, v8
	s_mov_b32 s2, exec_lo
	v_and_b32_e32 v9, 1, v9
	v_cmpx_eq_u32_e32 1, v9
	s_xor_b32 s2, exec_lo, s2
	s_cbranch_execz .LBB315_289
; %bb.288:
	s_waitcnt lgkmcnt(0)
	v_cmp_lt_i64_e32 vcc_lo, v[3:4], v[1:2]
                                        ; implicit-def: $vgpr7
                                        ; implicit-def: $vgpr8
	v_cndmask_b32_e32 v2, v2, v4, vcc_lo
	v_cndmask_b32_e32 v1, v1, v3, vcc_lo
                                        ; implicit-def: $vgpr3_vgpr4
.LBB315_289:
	s_or_saveexec_b32 s2, s2
	v_mov_b32_e32 v9, 1
	s_xor_b32 exec_lo, exec_lo, s2
	s_cbranch_execz .LBB315_291
; %bb.290:
	v_and_b32_e32 v7, 1, v7
	v_cmp_eq_u32_e32 vcc_lo, 1, v7
	v_and_b32_e32 v7, 0xff, v8
	s_waitcnt lgkmcnt(0)
	v_cndmask_b32_e32 v2, v4, v2, vcc_lo
	v_cndmask_b32_e32 v1, v3, v1, vcc_lo
	v_cndmask_b32_e64 v9, v7, 1, vcc_lo
.LBB315_291:
	s_or_b32 exec_lo, exec_lo, s2
	v_mov_b32_e32 v7, v9
.LBB315_292:
	;; [unrolled: 46-line block ×3, first 2 shown]
	s_or_b32 exec_lo, exec_lo, s1
	s_waitcnt lgkmcnt(2)
	v_lshlrev_b32_e32 v8, 2, v5
	v_add_nc_u32_e32 v10, 16, v5
	s_waitcnt lgkmcnt(0)
	v_or_b32_e32 v4, 64, v8
	v_cmp_lt_u32_e32 vcc_lo, v10, v6
	v_mov_b32_e32 v6, v7
	ds_bpermute_b32 v9, v4, v7
	ds_bpermute_b32 v3, v4, v1
	;; [unrolled: 1-line block ×3, first 2 shown]
	s_and_saveexec_b32 s1, vcc_lo
	s_cbranch_execz .LBB315_304
; %bb.299:
	s_waitcnt lgkmcnt(2)
	v_and_b32_e32 v6, v7, v9
	s_mov_b32 s2, exec_lo
	v_and_b32_e32 v6, 1, v6
	v_cmpx_eq_u32_e32 1, v6
	s_xor_b32 s2, exec_lo, s2
	s_cbranch_execz .LBB315_301
; %bb.300:
	s_waitcnt lgkmcnt(0)
	v_cmp_lt_i64_e32 vcc_lo, v[3:4], v[1:2]
                                        ; implicit-def: $vgpr7
                                        ; implicit-def: $vgpr9
	v_cndmask_b32_e32 v2, v2, v4, vcc_lo
	v_cndmask_b32_e32 v1, v1, v3, vcc_lo
                                        ; implicit-def: $vgpr3_vgpr4
.LBB315_301:
	s_or_saveexec_b32 s2, s2
	v_mov_b32_e32 v6, 1
	s_xor_b32 exec_lo, exec_lo, s2
	s_cbranch_execz .LBB315_303
; %bb.302:
	v_and_b32_e32 v6, 1, v7
	v_cmp_eq_u32_e32 vcc_lo, 1, v6
	v_cndmask_b32_e64 v6, v9, 1, vcc_lo
	s_waitcnt lgkmcnt(0)
	v_cndmask_b32_e32 v2, v4, v2, vcc_lo
	v_cndmask_b32_e32 v1, v3, v1, vcc_lo
.LBB315_303:
	s_or_b32 exec_lo, exec_lo, s2
	v_and_b32_e32 v7, 0xff, v6
.LBB315_304:
	s_or_b32 exec_lo, exec_lo, s1
	s_mov_b32 s1, exec_lo
	v_cmpx_eq_u32_e32 0, v5
	s_cbranch_execz .LBB315_306
; %bb.305:
	s_waitcnt lgkmcnt(1)
	v_lshrrev_b32_e32 v3, 1, v0
	v_and_b32_e32 v3, 0x70, v3
	ds_write_b8 v3, v6 offset:512
	ds_write_b64 v3, v[1:2] offset:520
.LBB315_306:
	s_or_b32 exec_lo, exec_lo, s1
	s_mov_b32 s1, exec_lo
	s_waitcnt lgkmcnt(0)
	s_barrier
	buffer_gl0_inv
	v_cmpx_gt_u32_e32 8, v0
	s_cbranch_execz .LBB315_326
; %bb.307:
	v_lshlrev_b32_e32 v1, 4, v5
	v_and_b32_e32 v6, 7, v5
	s_add_i32 s0, s0, 31
	s_mov_b32 s2, exec_lo
	s_lshr_b32 s0, s0, 5
	ds_read_u8 v9, v1 offset:512
	ds_read_b64 v[1:2], v1 offset:520
	v_cmp_ne_u32_e32 vcc_lo, 7, v6
	v_add_nc_u32_e32 v11, 1, v6
	v_add_co_ci_u32_e64 v3, null, 0, v5, vcc_lo
	v_lshlrev_b32_e32 v4, 2, v3
	s_waitcnt lgkmcnt(1)
	v_and_b32_e32 v7, 0xff, v9
	s_waitcnt lgkmcnt(0)
	ds_bpermute_b32 v3, v4, v1
	ds_bpermute_b32 v10, v4, v7
	;; [unrolled: 1-line block ×3, first 2 shown]
	v_cmpx_gt_u32_e64 s0, v11
	s_cbranch_execz .LBB315_313
; %bb.308:
	s_waitcnt lgkmcnt(1)
	v_and_b32_e32 v7, v7, v10
	s_mov_b32 s3, exec_lo
	v_and_b32_e32 v7, 1, v7
	v_cmpx_eq_u32_e32 1, v7
	s_xor_b32 s3, exec_lo, s3
	s_cbranch_execz .LBB315_310
; %bb.309:
	s_waitcnt lgkmcnt(0)
	v_cmp_lt_i64_e32 vcc_lo, v[3:4], v[1:2]
                                        ; implicit-def: $vgpr9
                                        ; implicit-def: $vgpr10
	v_cndmask_b32_e32 v2, v2, v4, vcc_lo
	v_cndmask_b32_e32 v1, v1, v3, vcc_lo
                                        ; implicit-def: $vgpr3_vgpr4
.LBB315_310:
	s_or_saveexec_b32 s3, s3
	v_mov_b32_e32 v7, 1
	s_xor_b32 exec_lo, exec_lo, s3
	s_cbranch_execz .LBB315_312
; %bb.311:
	v_and_b32_e32 v7, 1, v9
	v_cmp_eq_u32_e32 vcc_lo, 1, v7
	v_and_b32_e32 v7, 0xff, v10
	s_waitcnt lgkmcnt(0)
	v_cndmask_b32_e32 v2, v4, v2, vcc_lo
	v_cndmask_b32_e32 v1, v3, v1, vcc_lo
	v_cndmask_b32_e64 v7, v7, 1, vcc_lo
.LBB315_312:
	s_or_b32 exec_lo, exec_lo, s3
.LBB315_313:
	s_or_b32 exec_lo, exec_lo, s2
	v_cmp_gt_u32_e32 vcc_lo, 6, v6
	v_add_nc_u32_e32 v9, 2, v6
	s_mov_b32 s2, exec_lo
	s_waitcnt lgkmcnt(2)
	v_cndmask_b32_e64 v3, 0, 2, vcc_lo
	s_waitcnt lgkmcnt(0)
	v_add_lshl_u32 v4, v3, v5, 2
	ds_bpermute_b32 v5, v4, v7
	ds_bpermute_b32 v3, v4, v1
	;; [unrolled: 1-line block ×3, first 2 shown]
	v_cmpx_gt_u32_e64 s0, v9
	s_cbranch_execz .LBB315_319
; %bb.314:
	s_waitcnt lgkmcnt(2)
	v_and_b32_e32 v9, v7, v5
	s_mov_b32 s3, exec_lo
	v_and_b32_e32 v9, 1, v9
	v_cmpx_eq_u32_e32 1, v9
	s_xor_b32 s3, exec_lo, s3
	s_cbranch_execz .LBB315_316
; %bb.315:
	s_waitcnt lgkmcnt(0)
	v_cmp_lt_i64_e32 vcc_lo, v[3:4], v[1:2]
                                        ; implicit-def: $vgpr7
                                        ; implicit-def: $vgpr5
	v_cndmask_b32_e32 v2, v2, v4, vcc_lo
	v_cndmask_b32_e32 v1, v1, v3, vcc_lo
                                        ; implicit-def: $vgpr3_vgpr4
.LBB315_316:
	s_or_saveexec_b32 s3, s3
	v_mov_b32_e32 v9, 1
	s_xor_b32 exec_lo, exec_lo, s3
	s_cbranch_execz .LBB315_318
; %bb.317:
	v_and_b32_e32 v7, 1, v7
	v_and_b32_e32 v5, 0xff, v5
	v_cmp_eq_u32_e32 vcc_lo, 1, v7
	s_waitcnt lgkmcnt(0)
	v_cndmask_b32_e32 v2, v4, v2, vcc_lo
	v_cndmask_b32_e32 v1, v3, v1, vcc_lo
	v_cndmask_b32_e64 v9, v5, 1, vcc_lo
.LBB315_318:
	s_or_b32 exec_lo, exec_lo, s3
	v_mov_b32_e32 v7, v9
.LBB315_319:
	s_or_b32 exec_lo, exec_lo, s2
	s_waitcnt lgkmcnt(0)
	v_or_b32_e32 v4, 16, v8
	v_add_nc_u32_e32 v6, 4, v6
	ds_bpermute_b32 v5, v4, v7
	ds_bpermute_b32 v3, v4, v1
	ds_bpermute_b32 v4, v4, v2
	v_cmp_gt_u32_e32 vcc_lo, s0, v6
	s_and_saveexec_b32 s0, vcc_lo
	s_cbranch_execz .LBB315_325
; %bb.320:
	s_waitcnt lgkmcnt(2)
	v_and_b32_e32 v6, v7, v5
	s_mov_b32 s2, exec_lo
	v_and_b32_e32 v6, 1, v6
	v_cmpx_eq_u32_e32 1, v6
	s_xor_b32 s2, exec_lo, s2
	s_cbranch_execz .LBB315_322
; %bb.321:
	s_waitcnt lgkmcnt(0)
	v_cmp_lt_i64_e32 vcc_lo, v[3:4], v[1:2]
                                        ; implicit-def: $vgpr7
                                        ; implicit-def: $vgpr5
	v_cndmask_b32_e32 v2, v2, v4, vcc_lo
	v_cndmask_b32_e32 v1, v1, v3, vcc_lo
                                        ; implicit-def: $vgpr3_vgpr4
.LBB315_322:
	s_or_saveexec_b32 s2, s2
	v_mov_b32_e32 v6, 1
	s_xor_b32 exec_lo, exec_lo, s2
	s_cbranch_execz .LBB315_324
; %bb.323:
	v_and_b32_e32 v6, 1, v7
	v_cmp_eq_u32_e32 vcc_lo, 1, v6
	s_waitcnt lgkmcnt(0)
	v_cndmask_b32_e32 v2, v4, v2, vcc_lo
	v_cndmask_b32_e32 v1, v3, v1, vcc_lo
	v_cndmask_b32_e64 v6, v5, 1, vcc_lo
.LBB315_324:
	s_or_b32 exec_lo, exec_lo, s2
	v_mov_b32_e32 v7, v6
.LBB315_325:
	s_or_b32 exec_lo, exec_lo, s0
.LBB315_326:
	s_or_b32 exec_lo, exec_lo, s1
.LBB315_327:
                                        ; implicit-def: $vgpr3_vgpr4
                                        ; implicit-def: $vgpr5
	s_mov_b32 s0, exec_lo
	v_cmpx_eq_u32_e32 0, v0
	s_xor_b32 s2, exec_lo, s0
	s_cbranch_execz .LBB315_331
; %bb.328:
	s_waitcnt lgkmcnt(0)
	v_mov_b32_e32 v3, s20
	v_mov_b32_e32 v4, s21
	;; [unrolled: 1-line block ×3, first 2 shown]
	s_cmp_eq_u64 s[14:15], 0
	s_cbranch_scc1 .LBB315_330
; %bb.329:
	v_and_b32_e32 v3, 1, v7
	v_cmp_gt_i64_e32 vcc_lo, s[20:21], v[1:2]
	s_bitcmp1_b32 s24, 0
	s_cselect_b32 s1, -1, 0
	v_cmp_eq_u32_e64 s0, 1, v3
	v_cndmask_b32_e64 v5, v7, 1, s1
	s_and_b32 vcc_lo, s0, vcc_lo
	v_cndmask_b32_e32 v3, s20, v1, vcc_lo
	v_cndmask_b32_e32 v4, s21, v2, vcc_lo
	v_cndmask_b32_e64 v3, v1, v3, s1
	v_cndmask_b32_e64 v4, v2, v4, s1
.LBB315_330:
	s_or_b32 s22, s22, exec_lo
.LBB315_331:
	s_or_b32 exec_lo, exec_lo, s2
	v_mov_b32_e32 v1, s6
	v_mov_b32_e32 v2, s7
	s_branch .LBB315_356
.LBB315_332:
	s_cmp_eq_u32 s25, 1
	s_cbranch_scc0 .LBB315_355
; %bb.333:
	s_mov_b32 s3, 0
	s_lshr_b64 s[0:1], s[14:15], 8
	s_mov_b32 s7, s3
	s_lshl_b32 s2, s6, 8
	s_cmp_lg_u64 s[0:1], s[6:7]
	s_cbranch_scc0 .LBB315_359
; %bb.334:
	s_lshl_b64 s[0:1], s[2:3], 1
	v_lshlrev_b32_e32 v1, 1, v0
	s_add_u32 s8, s16, s0
	s_addc_u32 s9, s17, s1
	s_add_u32 s0, s18, s0
	s_addc_u32 s1, s19, s1
	s_waitcnt lgkmcnt(0)
	s_clause 0x1
	global_load_ushort v4, v1, s[8:9]
	global_load_ushort v5, v1, s[0:1]
	s_add_u32 s0, s12, s2
	s_addc_u32 s1, s13, 0
	v_add_co_u32 v1, s0, s0, v0
	v_add_co_ci_u32_e64 v2, null, s1, 0, s0
                                        ; implicit-def: $vgpr7
	v_mov_b32_dpp v3, v1 quad_perm:[1,0,3,2] row_mask:0xf bank_mask:0xf
	s_waitcnt vmcnt(0)
	v_cmp_ne_u16_e32 vcc_lo, v4, v5
	v_mov_b32_dpp v4, v2 quad_perm:[1,0,3,2] row_mask:0xf bank_mask:0xf
	v_cndmask_b32_e64 v5, 0, 1, vcc_lo
	v_cmp_lt_i64_e64 s0, v[1:2], v[3:4]
	v_mov_b32_dpp v5, v5 quad_perm:[1,0,3,2] row_mask:0xf bank_mask:0xf
	s_and_b32 s0, vcc_lo, s0
	v_cndmask_b32_e64 v3, v3, v1, s0
	v_and_b32_e32 v5, 1, v5
	v_cndmask_b32_e64 v4, v4, v2, s0
	v_cmp_eq_u32_e64 s0, 1, v5
	s_or_b32 s1, s0, vcc_lo
	v_cndmask_b32_e64 v4, v2, v4, s0
	v_cndmask_b32_e64 v2, 0, 1, s1
	;; [unrolled: 1-line block ×3, first 2 shown]
	v_mov_b32_dpp v6, v4 quad_perm:[2,3,0,1] row_mask:0xf bank_mask:0xf
	v_mov_b32_dpp v2, v2 quad_perm:[2,3,0,1] row_mask:0xf bank_mask:0xf
	;; [unrolled: 1-line block ×3, first 2 shown]
	v_and_b32_e32 v2, 1, v2
	v_cmp_eq_u32_e32 vcc_lo, 1, v2
                                        ; implicit-def: $vgpr1_vgpr2
	s_and_b32 s0, vcc_lo, s1
	s_xor_b32 s0, s0, -1
	s_and_saveexec_b32 s8, s0
	s_xor_b32 s0, exec_lo, s8
; %bb.335:
	s_or_b32 s1, vcc_lo, s1
	v_cndmask_b32_e32 v2, v4, v6, vcc_lo
	v_cndmask_b32_e32 v1, v3, v5, vcc_lo
	v_cndmask_b32_e64 v7, 0, 1, s1
                                        ; implicit-def: $vgpr3_vgpr4
                                        ; implicit-def: $vgpr5_vgpr6
; %bb.336:
	s_andn2_saveexec_b32 s0, s0
; %bb.337:
	v_cmp_lt_i64_e32 vcc_lo, v[3:4], v[5:6]
	v_mov_b32_e32 v7, 1
	v_cndmask_b32_e32 v2, v6, v4, vcc_lo
	v_cndmask_b32_e32 v1, v5, v3, vcc_lo
; %bb.338:
	s_or_b32 exec_lo, exec_lo, s0
	v_mov_b32_dpp v3, v1 row_ror:4 row_mask:0xf bank_mask:0xf
	v_mov_b32_dpp v4, v2 row_ror:4 row_mask:0xf bank_mask:0xf
	v_and_b32_e32 v6, 1, v7
	v_mov_b32_dpp v5, v7 row_ror:4 row_mask:0xf bank_mask:0xf
	v_mbcnt_lo_u32_b32 v8, -1, 0
	v_cmp_lt_i64_e32 vcc_lo, v[1:2], v[3:4]
	v_cmp_eq_u32_e64 s0, 1, v6
	v_and_b32_e32 v5, 1, v5
	s_and_b32 vcc_lo, s0, vcc_lo
	v_cmp_eq_u32_e64 s1, 1, v5
	v_cndmask_b32_e32 v3, v3, v1, vcc_lo
	v_cndmask_b32_e32 v4, v4, v2, vcc_lo
	v_cndmask_b32_e64 v5, v7, 1, s1
	v_cndmask_b32_e64 v1, v1, v3, s1
	;; [unrolled: 1-line block ×3, first 2 shown]
	v_and_b32_e32 v7, 1, v5
	v_mov_b32_dpp v3, v1 row_ror:8 row_mask:0xf bank_mask:0xf
	v_mov_b32_dpp v4, v2 row_ror:8 row_mask:0xf bank_mask:0xf
	;; [unrolled: 1-line block ×3, first 2 shown]
	v_cmp_eq_u32_e64 s0, 1, v7
	v_cmp_lt_i64_e32 vcc_lo, v[1:2], v[3:4]
	v_and_b32_e32 v6, 1, v6
	v_cmp_eq_u32_e64 s1, 1, v6
	s_and_b32 vcc_lo, s0, vcc_lo
	v_cndmask_b32_e32 v3, v3, v1, vcc_lo
	v_cndmask_b32_e32 v4, v4, v2, vcc_lo
	v_cndmask_b32_e64 v5, v5, 1, s1
	v_cndmask_b32_e64 v1, v1, v3, s1
	;; [unrolled: 1-line block ×3, first 2 shown]
	ds_swizzle_b32 v6, v5 offset:swizzle(BROADCAST,32,15)
	v_and_b32_e32 v7, 1, v5
	ds_swizzle_b32 v3, v1 offset:swizzle(BROADCAST,32,15)
	ds_swizzle_b32 v4, v2 offset:swizzle(BROADCAST,32,15)
	v_cmp_eq_u32_e64 s0, 1, v7
	s_waitcnt lgkmcnt(2)
	v_and_b32_e32 v6, 1, v6
	s_waitcnt lgkmcnt(0)
	v_cmp_lt_i64_e32 vcc_lo, v[1:2], v[3:4]
	v_cmp_eq_u32_e64 s1, 1, v6
	v_mov_b32_e32 v6, 0
	s_and_b32 vcc_lo, s0, vcc_lo
	v_cndmask_b32_e64 v5, v5, 1, s1
	v_cndmask_b32_e32 v3, v3, v1, vcc_lo
	v_cndmask_b32_e32 v4, v4, v2, vcc_lo
	s_mov_b32 s0, exec_lo
	ds_bpermute_b32 v7, v6, v5 offset:124
	v_cndmask_b32_e64 v1, v1, v3, s1
	v_cndmask_b32_e64 v2, v2, v4, s1
	ds_bpermute_b32 v1, v6, v1 offset:124
	ds_bpermute_b32 v2, v6, v2 offset:124
	v_cmpx_eq_u32_e32 0, v8
	s_cbranch_execz .LBB315_340
; %bb.339:
	v_lshrrev_b32_e32 v3, 1, v0
	v_and_b32_e32 v3, 0x70, v3
	s_waitcnt lgkmcnt(2)
	ds_write_b8 v3, v7
	s_waitcnt lgkmcnt(1)
	ds_write_b64 v3, v[1:2] offset:8
.LBB315_340:
	s_or_b32 exec_lo, exec_lo, s0
	s_mov_b32 s0, exec_lo
	s_waitcnt lgkmcnt(0)
	s_barrier
	buffer_gl0_inv
	v_cmpx_gt_u32_e32 32, v0
	s_cbranch_execz .LBB315_354
; %bb.341:
	v_and_b32_e32 v7, 7, v8
	v_lshlrev_b32_e32 v1, 4, v7
	v_cmp_ne_u32_e32 vcc_lo, 7, v7
	ds_read_u8 v10, v1
	ds_read_b64 v[3:4], v1 offset:8
	v_add_co_ci_u32_e64 v2, null, 0, v8, vcc_lo
	v_lshlrev_b32_e32 v2, 2, v2
	s_waitcnt lgkmcnt(1)
	v_and_b32_e32 v1, 0xff, v10
	s_waitcnt lgkmcnt(0)
	ds_bpermute_b32 v5, v2, v3
	ds_bpermute_b32 v6, v2, v4
	;; [unrolled: 1-line block ×3, first 2 shown]
	s_waitcnt lgkmcnt(0)
	v_and_b32_e32 v1, v10, v11
	v_and_b32_e32 v1, 1, v1
	v_cmp_eq_u32_e32 vcc_lo, 1, v1
                                        ; implicit-def: $vgpr1_vgpr2
	s_and_saveexec_b32 s1, vcc_lo
	s_xor_b32 s1, exec_lo, s1
; %bb.342:
	v_cmp_lt_i64_e32 vcc_lo, v[5:6], v[3:4]
                                        ; implicit-def: $vgpr10
                                        ; implicit-def: $vgpr11
	v_cndmask_b32_e32 v2, v4, v6, vcc_lo
	v_cndmask_b32_e32 v1, v3, v5, vcc_lo
                                        ; implicit-def: $vgpr5_vgpr6
                                        ; implicit-def: $vgpr3_vgpr4
; %bb.343:
	s_or_saveexec_b32 s1, s1
	v_mov_b32_e32 v9, 1
	s_xor_b32 exec_lo, exec_lo, s1
; %bb.344:
	v_and_b32_e32 v1, 1, v10
	v_and_b32_e32 v9, 0xff, v11
	v_cmp_eq_u32_e32 vcc_lo, 1, v1
	v_cndmask_b32_e32 v2, v6, v4, vcc_lo
	v_cndmask_b32_e32 v1, v5, v3, vcc_lo
	v_cndmask_b32_e64 v9, v9, 1, vcc_lo
; %bb.345:
	s_or_b32 exec_lo, exec_lo, s1
	v_cmp_gt_u32_e32 vcc_lo, 6, v7
	v_cndmask_b32_e64 v3, 0, 2, vcc_lo
	v_add_lshl_u32 v3, v3, v8, 2
	ds_bpermute_b32 v7, v3, v9
	ds_bpermute_b32 v5, v3, v1
	;; [unrolled: 1-line block ×3, first 2 shown]
	s_waitcnt lgkmcnt(2)
	v_and_b32_e32 v3, v9, v7
	v_and_b32_e32 v3, 1, v3
	v_cmp_eq_u32_e32 vcc_lo, 1, v3
                                        ; implicit-def: $vgpr3_vgpr4
	s_and_saveexec_b32 s1, vcc_lo
	s_xor_b32 s1, exec_lo, s1
	s_cbranch_execz .LBB315_347
; %bb.346:
	s_waitcnt lgkmcnt(0)
	v_cmp_lt_i64_e32 vcc_lo, v[5:6], v[1:2]
                                        ; implicit-def: $vgpr9
                                        ; implicit-def: $vgpr7
	v_cndmask_b32_e32 v4, v2, v6, vcc_lo
	v_cndmask_b32_e32 v3, v1, v5, vcc_lo
                                        ; implicit-def: $vgpr5_vgpr6
                                        ; implicit-def: $vgpr1_vgpr2
.LBB315_347:
	s_or_saveexec_b32 s1, s1
	v_lshlrev_b32_e32 v10, 2, v8
	v_mov_b32_e32 v8, 1
	s_xor_b32 exec_lo, exec_lo, s1
	s_cbranch_execz .LBB315_349
; %bb.348:
	v_and_b32_e32 v3, 1, v9
	v_and_b32_e32 v7, 0xff, v7
	v_cmp_eq_u32_e32 vcc_lo, 1, v3
	s_waitcnt lgkmcnt(0)
	v_cndmask_b32_e32 v4, v6, v2, vcc_lo
	v_cndmask_b32_e32 v3, v5, v1, vcc_lo
	v_cndmask_b32_e64 v8, v7, 1, vcc_lo
.LBB315_349:
	s_or_b32 exec_lo, exec_lo, s1
	v_or_b32_e32 v1, 16, v10
	ds_bpermute_b32 v9, v1, v8
	s_waitcnt lgkmcnt(2)
	ds_bpermute_b32 v5, v1, v3
	s_waitcnt lgkmcnt(2)
	;; [unrolled: 2-line block ×3, first 2 shown]
	v_and_b32_e32 v1, v8, v9
	v_and_b32_e32 v1, 1, v1
	v_cmp_eq_u32_e32 vcc_lo, 1, v1
                                        ; implicit-def: $vgpr1_vgpr2
	s_and_saveexec_b32 s1, vcc_lo
	s_xor_b32 s1, exec_lo, s1
	s_cbranch_execz .LBB315_351
; %bb.350:
	s_waitcnt lgkmcnt(0)
	v_cmp_lt_i64_e32 vcc_lo, v[5:6], v[3:4]
                                        ; implicit-def: $vgpr8
                                        ; implicit-def: $vgpr9
	v_cndmask_b32_e32 v2, v4, v6, vcc_lo
	v_cndmask_b32_e32 v1, v3, v5, vcc_lo
                                        ; implicit-def: $vgpr5_vgpr6
                                        ; implicit-def: $vgpr3_vgpr4
.LBB315_351:
	s_or_saveexec_b32 s1, s1
	v_mov_b32_e32 v7, 1
	s_xor_b32 exec_lo, exec_lo, s1
	s_cbranch_execz .LBB315_353
; %bb.352:
	v_and_b32_e32 v1, 1, v8
	v_cmp_eq_u32_e32 vcc_lo, 1, v1
	s_waitcnt lgkmcnt(0)
	v_cndmask_b32_e32 v2, v6, v4, vcc_lo
	v_cndmask_b32_e32 v1, v5, v3, vcc_lo
	v_cndmask_b32_e64 v7, v9, 1, vcc_lo
.LBB315_353:
	s_or_b32 exec_lo, exec_lo, s1
.LBB315_354:
	s_or_b32 exec_lo, exec_lo, s0
	s_branch .LBB315_415
.LBB315_355:
                                        ; implicit-def: $vgpr3_vgpr4
                                        ; implicit-def: $vgpr5
                                        ; implicit-def: $vgpr1_vgpr2
.LBB315_356:
	s_and_saveexec_b32 s0, s22
	s_cbranch_execz .LBB315_358
.LBB315_357:
	s_load_dwordx2 s[0:1], s[4:5], 0x38
	v_lshlrev_b64 v[0:1], 4, v[1:2]
	s_waitcnt lgkmcnt(0)
	v_add_co_u32 v0, vcc_lo, s0, v0
	v_add_co_ci_u32_e64 v1, null, s1, v1, vcc_lo
	global_store_byte v[0:1], v5, off
	global_store_dwordx2 v[0:1], v[3:4], off offset:8
.LBB315_358:
	s_endpgm
.LBB315_359:
                                        ; implicit-def: $vgpr1_vgpr2
                                        ; implicit-def: $vgpr7
	s_cbranch_execz .LBB315_415
; %bb.360:
	v_mov_b32_e32 v1, 0
	v_mov_b32_e32 v2, 0
	;; [unrolled: 1-line block ×3, first 2 shown]
	s_sub_i32 s0, s14, s2
	s_mov_b32 s1, exec_lo
	v_cmpx_gt_u32_e64 s0, v0
	s_cbranch_execz .LBB315_362
; %bb.361:
	s_lshl_b64 s[8:9], s[2:3], 1
	v_lshlrev_b32_e32 v1, 1, v0
	s_add_u32 s10, s18, s8
	s_addc_u32 s11, s19, s9
	s_add_u32 s8, s16, s8
	s_addc_u32 s9, s17, s9
	s_add_u32 s2, s12, s2
	s_waitcnt lgkmcnt(1)
	global_load_ushort v3, v1, s[8:9]
	s_waitcnt lgkmcnt(0)
	global_load_ushort v4, v1, s[10:11]
	s_addc_u32 s3, s13, 0
	v_add_co_u32 v1, s2, s2, v0
	v_add_co_ci_u32_e64 v2, null, s3, 0, s2
	s_waitcnt vmcnt(0)
	v_cmp_ne_u16_e32 vcc_lo, v3, v4
	v_cndmask_b32_e64 v8, 0, 1, vcc_lo
.LBB315_362:
	s_or_b32 exec_lo, exec_lo, s1
	s_waitcnt lgkmcnt(1)
	v_mbcnt_lo_u32_b32 v5, -1, 0
	v_and_b32_e32 v7, 0xffff, v8
	s_waitcnt lgkmcnt(0)
	v_and_b32_e32 v6, 0xe0, v0
	s_min_u32 s0, s0, 0x100
	s_mov_b32 s1, exec_lo
	v_cmp_ne_u32_e32 vcc_lo, 31, v5
	v_add_nc_u32_e32 v10, 1, v5
	v_sub_nc_u32_e64 v6, s0, v6 clamp
	v_add_co_ci_u32_e64 v3, null, 0, v5, vcc_lo
	v_lshlrev_b32_e32 v4, 2, v3
	ds_bpermute_b32 v9, v4, v7
	ds_bpermute_b32 v3, v4, v1
	;; [unrolled: 1-line block ×3, first 2 shown]
	v_cmpx_lt_u32_e64 v10, v6
	s_cbranch_execz .LBB315_368
; %bb.363:
	s_waitcnt lgkmcnt(2)
	v_and_b32_e32 v7, v9, v7
	s_mov_b32 s2, exec_lo
	v_and_b32_e32 v7, 1, v7
	v_cmpx_eq_u32_e32 1, v7
	s_xor_b32 s2, exec_lo, s2
	s_cbranch_execz .LBB315_365
; %bb.364:
	s_waitcnt lgkmcnt(0)
	v_cmp_lt_i64_e32 vcc_lo, v[3:4], v[1:2]
                                        ; implicit-def: $vgpr8
                                        ; implicit-def: $vgpr9
	v_cndmask_b32_e32 v2, v2, v4, vcc_lo
	v_cndmask_b32_e32 v1, v1, v3, vcc_lo
                                        ; implicit-def: $vgpr3_vgpr4
.LBB315_365:
	s_or_saveexec_b32 s2, s2
	v_mov_b32_e32 v7, 1
	s_xor_b32 exec_lo, exec_lo, s2
	s_cbranch_execz .LBB315_367
; %bb.366:
	v_and_b32_e32 v7, 1, v8
	v_cmp_eq_u32_e32 vcc_lo, 1, v7
	v_and_b32_e32 v7, 0xff, v9
	s_waitcnt lgkmcnt(0)
	v_cndmask_b32_e32 v2, v4, v2, vcc_lo
	v_cndmask_b32_e32 v1, v3, v1, vcc_lo
	v_cndmask_b32_e64 v7, v7, 1, vcc_lo
.LBB315_367:
	s_or_b32 exec_lo, exec_lo, s2
.LBB315_368:
	s_or_b32 exec_lo, exec_lo, s1
	v_cmp_gt_u32_e32 vcc_lo, 30, v5
	s_waitcnt lgkmcnt(2)
	v_add_nc_u32_e32 v9, 2, v5
	s_mov_b32 s1, exec_lo
	s_waitcnt lgkmcnt(1)
	v_cndmask_b32_e64 v3, 0, 2, vcc_lo
	s_waitcnt lgkmcnt(0)
	v_add_lshl_u32 v4, v3, v5, 2
	ds_bpermute_b32 v8, v4, v7
	ds_bpermute_b32 v3, v4, v1
	;; [unrolled: 1-line block ×3, first 2 shown]
	v_cmpx_lt_u32_e64 v9, v6
	s_cbranch_execz .LBB315_374
; %bb.369:
	s_waitcnt lgkmcnt(2)
	v_and_b32_e32 v9, v7, v8
	s_mov_b32 s2, exec_lo
	v_and_b32_e32 v9, 1, v9
	v_cmpx_eq_u32_e32 1, v9
	s_xor_b32 s2, exec_lo, s2
	s_cbranch_execz .LBB315_371
; %bb.370:
	s_waitcnt lgkmcnt(0)
	v_cmp_lt_i64_e32 vcc_lo, v[3:4], v[1:2]
                                        ; implicit-def: $vgpr7
                                        ; implicit-def: $vgpr8
	v_cndmask_b32_e32 v2, v2, v4, vcc_lo
	v_cndmask_b32_e32 v1, v1, v3, vcc_lo
                                        ; implicit-def: $vgpr3_vgpr4
.LBB315_371:
	s_or_saveexec_b32 s2, s2
	v_mov_b32_e32 v9, 1
	s_xor_b32 exec_lo, exec_lo, s2
	s_cbranch_execz .LBB315_373
; %bb.372:
	v_and_b32_e32 v7, 1, v7
	v_cmp_eq_u32_e32 vcc_lo, 1, v7
	v_and_b32_e32 v7, 0xff, v8
	s_waitcnt lgkmcnt(0)
	v_cndmask_b32_e32 v2, v4, v2, vcc_lo
	v_cndmask_b32_e32 v1, v3, v1, vcc_lo
	v_cndmask_b32_e64 v9, v7, 1, vcc_lo
.LBB315_373:
	s_or_b32 exec_lo, exec_lo, s2
	v_mov_b32_e32 v7, v9
.LBB315_374:
	s_or_b32 exec_lo, exec_lo, s1
	v_cmp_gt_u32_e32 vcc_lo, 28, v5
	v_add_nc_u32_e32 v9, 4, v5
	s_mov_b32 s1, exec_lo
	s_waitcnt lgkmcnt(1)
	v_cndmask_b32_e64 v3, 0, 4, vcc_lo
	s_waitcnt lgkmcnt(0)
	v_add_lshl_u32 v4, v3, v5, 2
	ds_bpermute_b32 v8, v4, v7
	ds_bpermute_b32 v3, v4, v1
	;; [unrolled: 1-line block ×3, first 2 shown]
	v_cmpx_lt_u32_e64 v9, v6
	s_cbranch_execz .LBB315_380
; %bb.375:
	s_waitcnt lgkmcnt(2)
	v_and_b32_e32 v9, v7, v8
	s_mov_b32 s2, exec_lo
	v_and_b32_e32 v9, 1, v9
	v_cmpx_eq_u32_e32 1, v9
	s_xor_b32 s2, exec_lo, s2
	s_cbranch_execz .LBB315_377
; %bb.376:
	s_waitcnt lgkmcnt(0)
	v_cmp_lt_i64_e32 vcc_lo, v[3:4], v[1:2]
                                        ; implicit-def: $vgpr7
                                        ; implicit-def: $vgpr8
	v_cndmask_b32_e32 v2, v2, v4, vcc_lo
	v_cndmask_b32_e32 v1, v1, v3, vcc_lo
                                        ; implicit-def: $vgpr3_vgpr4
.LBB315_377:
	s_or_saveexec_b32 s2, s2
	v_mov_b32_e32 v9, 1
	s_xor_b32 exec_lo, exec_lo, s2
	s_cbranch_execz .LBB315_379
; %bb.378:
	v_and_b32_e32 v7, 1, v7
	v_cmp_eq_u32_e32 vcc_lo, 1, v7
	v_and_b32_e32 v7, 0xff, v8
	s_waitcnt lgkmcnt(0)
	v_cndmask_b32_e32 v2, v4, v2, vcc_lo
	v_cndmask_b32_e32 v1, v3, v1, vcc_lo
	v_cndmask_b32_e64 v9, v7, 1, vcc_lo
.LBB315_379:
	s_or_b32 exec_lo, exec_lo, s2
	v_mov_b32_e32 v7, v9
.LBB315_380:
	s_or_b32 exec_lo, exec_lo, s1
	v_cmp_gt_u32_e32 vcc_lo, 24, v5
	v_add_nc_u32_e32 v9, 8, v5
	s_mov_b32 s1, exec_lo
	s_waitcnt lgkmcnt(1)
	v_cndmask_b32_e64 v3, 0, 8, vcc_lo
	s_waitcnt lgkmcnt(0)
	v_add_lshl_u32 v4, v3, v5, 2
	ds_bpermute_b32 v8, v4, v7
	ds_bpermute_b32 v3, v4, v1
	;; [unrolled: 1-line block ×3, first 2 shown]
	v_cmpx_lt_u32_e64 v9, v6
	s_cbranch_execz .LBB315_386
; %bb.381:
	s_waitcnt lgkmcnt(2)
	v_and_b32_e32 v9, v7, v8
	s_mov_b32 s2, exec_lo
	v_and_b32_e32 v9, 1, v9
	v_cmpx_eq_u32_e32 1, v9
	s_xor_b32 s2, exec_lo, s2
	s_cbranch_execz .LBB315_383
; %bb.382:
	s_waitcnt lgkmcnt(0)
	v_cmp_lt_i64_e32 vcc_lo, v[3:4], v[1:2]
                                        ; implicit-def: $vgpr7
                                        ; implicit-def: $vgpr8
	v_cndmask_b32_e32 v2, v2, v4, vcc_lo
	v_cndmask_b32_e32 v1, v1, v3, vcc_lo
                                        ; implicit-def: $vgpr3_vgpr4
.LBB315_383:
	s_or_saveexec_b32 s2, s2
	v_mov_b32_e32 v9, 1
	s_xor_b32 exec_lo, exec_lo, s2
	s_cbranch_execz .LBB315_385
; %bb.384:
	v_and_b32_e32 v7, 1, v7
	v_cmp_eq_u32_e32 vcc_lo, 1, v7
	v_and_b32_e32 v7, 0xff, v8
	s_waitcnt lgkmcnt(0)
	v_cndmask_b32_e32 v2, v4, v2, vcc_lo
	v_cndmask_b32_e32 v1, v3, v1, vcc_lo
	v_cndmask_b32_e64 v9, v7, 1, vcc_lo
.LBB315_385:
	s_or_b32 exec_lo, exec_lo, s2
	v_mov_b32_e32 v7, v9
.LBB315_386:
	s_or_b32 exec_lo, exec_lo, s1
	s_waitcnt lgkmcnt(2)
	v_lshlrev_b32_e32 v8, 2, v5
	v_add_nc_u32_e32 v10, 16, v5
	s_waitcnt lgkmcnt(0)
	v_or_b32_e32 v4, 64, v8
	v_cmp_lt_u32_e32 vcc_lo, v10, v6
	v_mov_b32_e32 v6, v7
	ds_bpermute_b32 v9, v4, v7
	ds_bpermute_b32 v3, v4, v1
	;; [unrolled: 1-line block ×3, first 2 shown]
	s_and_saveexec_b32 s1, vcc_lo
	s_cbranch_execz .LBB315_392
; %bb.387:
	s_waitcnt lgkmcnt(2)
	v_and_b32_e32 v6, v7, v9
	s_mov_b32 s2, exec_lo
	v_and_b32_e32 v6, 1, v6
	v_cmpx_eq_u32_e32 1, v6
	s_xor_b32 s2, exec_lo, s2
	s_cbranch_execz .LBB315_389
; %bb.388:
	s_waitcnt lgkmcnt(0)
	v_cmp_lt_i64_e32 vcc_lo, v[3:4], v[1:2]
                                        ; implicit-def: $vgpr7
                                        ; implicit-def: $vgpr9
	v_cndmask_b32_e32 v2, v2, v4, vcc_lo
	v_cndmask_b32_e32 v1, v1, v3, vcc_lo
                                        ; implicit-def: $vgpr3_vgpr4
.LBB315_389:
	s_or_saveexec_b32 s2, s2
	v_mov_b32_e32 v6, 1
	s_xor_b32 exec_lo, exec_lo, s2
	s_cbranch_execz .LBB315_391
; %bb.390:
	v_and_b32_e32 v6, 1, v7
	v_cmp_eq_u32_e32 vcc_lo, 1, v6
	v_cndmask_b32_e64 v6, v9, 1, vcc_lo
	s_waitcnt lgkmcnt(0)
	v_cndmask_b32_e32 v2, v4, v2, vcc_lo
	v_cndmask_b32_e32 v1, v3, v1, vcc_lo
.LBB315_391:
	s_or_b32 exec_lo, exec_lo, s2
	v_and_b32_e32 v7, 0xff, v6
.LBB315_392:
	s_or_b32 exec_lo, exec_lo, s1
	s_mov_b32 s1, exec_lo
	v_cmpx_eq_u32_e32 0, v5
	s_cbranch_execz .LBB315_394
; %bb.393:
	s_waitcnt lgkmcnt(1)
	v_lshrrev_b32_e32 v3, 1, v0
	v_and_b32_e32 v3, 0x70, v3
	ds_write_b8 v3, v6 offset:512
	ds_write_b64 v3, v[1:2] offset:520
.LBB315_394:
	s_or_b32 exec_lo, exec_lo, s1
	s_mov_b32 s1, exec_lo
	s_waitcnt lgkmcnt(0)
	s_barrier
	buffer_gl0_inv
	v_cmpx_gt_u32_e32 8, v0
	s_cbranch_execz .LBB315_414
; %bb.395:
	v_lshlrev_b32_e32 v1, 4, v5
	v_and_b32_e32 v6, 7, v5
	s_add_i32 s0, s0, 31
	s_mov_b32 s2, exec_lo
	s_lshr_b32 s0, s0, 5
	ds_read_u8 v9, v1 offset:512
	ds_read_b64 v[1:2], v1 offset:520
	v_cmp_ne_u32_e32 vcc_lo, 7, v6
	v_add_nc_u32_e32 v11, 1, v6
	v_add_co_ci_u32_e64 v3, null, 0, v5, vcc_lo
	v_lshlrev_b32_e32 v4, 2, v3
	s_waitcnt lgkmcnt(1)
	v_and_b32_e32 v7, 0xff, v9
	s_waitcnt lgkmcnt(0)
	ds_bpermute_b32 v3, v4, v1
	ds_bpermute_b32 v10, v4, v7
	;; [unrolled: 1-line block ×3, first 2 shown]
	v_cmpx_gt_u32_e64 s0, v11
	s_cbranch_execz .LBB315_401
; %bb.396:
	s_waitcnt lgkmcnt(1)
	v_and_b32_e32 v7, v7, v10
	s_mov_b32 s3, exec_lo
	v_and_b32_e32 v7, 1, v7
	v_cmpx_eq_u32_e32 1, v7
	s_xor_b32 s3, exec_lo, s3
	s_cbranch_execz .LBB315_398
; %bb.397:
	s_waitcnt lgkmcnt(0)
	v_cmp_lt_i64_e32 vcc_lo, v[3:4], v[1:2]
                                        ; implicit-def: $vgpr9
                                        ; implicit-def: $vgpr10
	v_cndmask_b32_e32 v2, v2, v4, vcc_lo
	v_cndmask_b32_e32 v1, v1, v3, vcc_lo
                                        ; implicit-def: $vgpr3_vgpr4
.LBB315_398:
	s_or_saveexec_b32 s3, s3
	v_mov_b32_e32 v7, 1
	s_xor_b32 exec_lo, exec_lo, s3
	s_cbranch_execz .LBB315_400
; %bb.399:
	v_and_b32_e32 v7, 1, v9
	v_cmp_eq_u32_e32 vcc_lo, 1, v7
	v_and_b32_e32 v7, 0xff, v10
	s_waitcnt lgkmcnt(0)
	v_cndmask_b32_e32 v2, v4, v2, vcc_lo
	v_cndmask_b32_e32 v1, v3, v1, vcc_lo
	v_cndmask_b32_e64 v7, v7, 1, vcc_lo
.LBB315_400:
	s_or_b32 exec_lo, exec_lo, s3
.LBB315_401:
	s_or_b32 exec_lo, exec_lo, s2
	v_cmp_gt_u32_e32 vcc_lo, 6, v6
	v_add_nc_u32_e32 v9, 2, v6
	s_mov_b32 s2, exec_lo
	s_waitcnt lgkmcnt(2)
	v_cndmask_b32_e64 v3, 0, 2, vcc_lo
	s_waitcnt lgkmcnt(0)
	v_add_lshl_u32 v4, v3, v5, 2
	ds_bpermute_b32 v5, v4, v7
	ds_bpermute_b32 v3, v4, v1
	;; [unrolled: 1-line block ×3, first 2 shown]
	v_cmpx_gt_u32_e64 s0, v9
	s_cbranch_execz .LBB315_407
; %bb.402:
	s_waitcnt lgkmcnt(2)
	v_and_b32_e32 v9, v7, v5
	s_mov_b32 s3, exec_lo
	v_and_b32_e32 v9, 1, v9
	v_cmpx_eq_u32_e32 1, v9
	s_xor_b32 s3, exec_lo, s3
	s_cbranch_execz .LBB315_404
; %bb.403:
	s_waitcnt lgkmcnt(0)
	v_cmp_lt_i64_e32 vcc_lo, v[3:4], v[1:2]
                                        ; implicit-def: $vgpr7
                                        ; implicit-def: $vgpr5
	v_cndmask_b32_e32 v2, v2, v4, vcc_lo
	v_cndmask_b32_e32 v1, v1, v3, vcc_lo
                                        ; implicit-def: $vgpr3_vgpr4
.LBB315_404:
	s_or_saveexec_b32 s3, s3
	v_mov_b32_e32 v9, 1
	s_xor_b32 exec_lo, exec_lo, s3
	s_cbranch_execz .LBB315_406
; %bb.405:
	v_and_b32_e32 v7, 1, v7
	v_and_b32_e32 v5, 0xff, v5
	v_cmp_eq_u32_e32 vcc_lo, 1, v7
	s_waitcnt lgkmcnt(0)
	v_cndmask_b32_e32 v2, v4, v2, vcc_lo
	v_cndmask_b32_e32 v1, v3, v1, vcc_lo
	v_cndmask_b32_e64 v9, v5, 1, vcc_lo
.LBB315_406:
	s_or_b32 exec_lo, exec_lo, s3
	v_mov_b32_e32 v7, v9
.LBB315_407:
	s_or_b32 exec_lo, exec_lo, s2
	s_waitcnt lgkmcnt(0)
	v_or_b32_e32 v4, 16, v8
	v_add_nc_u32_e32 v6, 4, v6
	ds_bpermute_b32 v5, v4, v7
	ds_bpermute_b32 v3, v4, v1
	;; [unrolled: 1-line block ×3, first 2 shown]
	v_cmp_gt_u32_e32 vcc_lo, s0, v6
	s_and_saveexec_b32 s0, vcc_lo
	s_cbranch_execz .LBB315_413
; %bb.408:
	s_waitcnt lgkmcnt(2)
	v_and_b32_e32 v6, v7, v5
	s_mov_b32 s2, exec_lo
	v_and_b32_e32 v6, 1, v6
	v_cmpx_eq_u32_e32 1, v6
	s_xor_b32 s2, exec_lo, s2
	s_cbranch_execz .LBB315_410
; %bb.409:
	s_waitcnt lgkmcnt(0)
	v_cmp_lt_i64_e32 vcc_lo, v[3:4], v[1:2]
                                        ; implicit-def: $vgpr7
                                        ; implicit-def: $vgpr5
	v_cndmask_b32_e32 v2, v2, v4, vcc_lo
	v_cndmask_b32_e32 v1, v1, v3, vcc_lo
                                        ; implicit-def: $vgpr3_vgpr4
.LBB315_410:
	s_or_saveexec_b32 s2, s2
	v_mov_b32_e32 v6, 1
	s_xor_b32 exec_lo, exec_lo, s2
	s_cbranch_execz .LBB315_412
; %bb.411:
	v_and_b32_e32 v6, 1, v7
	v_cmp_eq_u32_e32 vcc_lo, 1, v6
	s_waitcnt lgkmcnt(0)
	v_cndmask_b32_e32 v2, v4, v2, vcc_lo
	v_cndmask_b32_e32 v1, v3, v1, vcc_lo
	v_cndmask_b32_e64 v6, v5, 1, vcc_lo
.LBB315_412:
	s_or_b32 exec_lo, exec_lo, s2
	v_mov_b32_e32 v7, v6
.LBB315_413:
	s_or_b32 exec_lo, exec_lo, s0
.LBB315_414:
	s_or_b32 exec_lo, exec_lo, s1
.LBB315_415:
	s_mov_b32 s2, exec_lo
                                        ; implicit-def: $vgpr3_vgpr4
                                        ; implicit-def: $vgpr5
	v_cmpx_eq_u32_e32 0, v0
	s_cbranch_execz .LBB315_419
; %bb.416:
	s_waitcnt lgkmcnt(0)
	v_mov_b32_e32 v3, s20
	v_mov_b32_e32 v4, s21
	;; [unrolled: 1-line block ×3, first 2 shown]
	s_cmp_eq_u64 s[14:15], 0
	s_cbranch_scc1 .LBB315_418
; %bb.417:
	v_and_b32_e32 v0, 1, v7
	v_cmp_gt_i64_e32 vcc_lo, s[20:21], v[1:2]
	s_bitcmp1_b32 s24, 0
	s_cselect_b32 s1, -1, 0
	v_cmp_eq_u32_e64 s0, 1, v0
	v_cndmask_b32_e64 v5, v7, 1, s1
	s_and_b32 vcc_lo, s0, vcc_lo
	v_cndmask_b32_e32 v0, s20, v1, vcc_lo
	v_cndmask_b32_e32 v3, s21, v2, vcc_lo
	v_cndmask_b32_e64 v4, v2, v3, s1
	v_cndmask_b32_e64 v3, v1, v0, s1
.LBB315_418:
	s_or_b32 s22, s22, exec_lo
.LBB315_419:
	s_or_b32 exec_lo, exec_lo, s2
	v_mov_b32_e32 v1, s6
	v_mov_b32_e32 v2, s7
	s_and_saveexec_b32 s0, s22
	s_cbranch_execnz .LBB315_357
	s_branch .LBB315_358
	.section	.rodata,"a",@progbits
	.p2align	6, 0x0
	.amdhsa_kernel _ZN7rocprim17ROCPRIM_400000_NS6detail17trampoline_kernelINS0_14default_configENS1_22reduce_config_selectorIN6thrust23THRUST_200600_302600_NS5tupleIblNS6_9null_typeES8_S8_S8_S8_S8_S8_S8_EEEEZNS1_11reduce_implILb1ES3_NS6_12zip_iteratorINS7_INS6_11hip_rocprim26transform_input_iterator_tIbNSD_35transform_pair_of_input_iterators_tIbNS6_6detail15normal_iteratorINS6_10device_ptrIKsEEEESL_NS6_8equal_toIsEEEENSG_9not_fun_tINSD_8identityEEEEENSD_19counting_iterator_tIlEES8_S8_S8_S8_S8_S8_S8_S8_EEEEPS9_S9_NSD_9__find_if7functorIS9_EEEE10hipError_tPvRmT1_T2_T3_mT4_P12ihipStream_tbEUlT_E1_NS1_11comp_targetILNS1_3genE8ELNS1_11target_archE1030ELNS1_3gpuE2ELNS1_3repE0EEENS1_30default_config_static_selectorELNS0_4arch9wavefront6targetE0EEEvS14_
		.amdhsa_group_segment_fixed_size 640
		.amdhsa_private_segment_fixed_size 0
		.amdhsa_kernarg_size 88
		.amdhsa_user_sgpr_count 6
		.amdhsa_user_sgpr_private_segment_buffer 1
		.amdhsa_user_sgpr_dispatch_ptr 0
		.amdhsa_user_sgpr_queue_ptr 0
		.amdhsa_user_sgpr_kernarg_segment_ptr 1
		.amdhsa_user_sgpr_dispatch_id 0
		.amdhsa_user_sgpr_flat_scratch_init 0
		.amdhsa_user_sgpr_private_segment_size 0
		.amdhsa_wavefront_size32 1
		.amdhsa_uses_dynamic_stack 0
		.amdhsa_system_sgpr_private_segment_wavefront_offset 0
		.amdhsa_system_sgpr_workgroup_id_x 1
		.amdhsa_system_sgpr_workgroup_id_y 0
		.amdhsa_system_sgpr_workgroup_id_z 0
		.amdhsa_system_sgpr_workgroup_info 0
		.amdhsa_system_vgpr_workitem_id 0
		.amdhsa_next_free_vgpr 27
		.amdhsa_next_free_sgpr 32
		.amdhsa_reserve_vcc 1
		.amdhsa_reserve_flat_scratch 0
		.amdhsa_float_round_mode_32 0
		.amdhsa_float_round_mode_16_64 0
		.amdhsa_float_denorm_mode_32 3
		.amdhsa_float_denorm_mode_16_64 3
		.amdhsa_dx10_clamp 1
		.amdhsa_ieee_mode 1
		.amdhsa_fp16_overflow 0
		.amdhsa_workgroup_processor_mode 1
		.amdhsa_memory_ordered 1
		.amdhsa_forward_progress 1
		.amdhsa_shared_vgpr_count 0
		.amdhsa_exception_fp_ieee_invalid_op 0
		.amdhsa_exception_fp_denorm_src 0
		.amdhsa_exception_fp_ieee_div_zero 0
		.amdhsa_exception_fp_ieee_overflow 0
		.amdhsa_exception_fp_ieee_underflow 0
		.amdhsa_exception_fp_ieee_inexact 0
		.amdhsa_exception_int_div_zero 0
	.end_amdhsa_kernel
	.section	.text._ZN7rocprim17ROCPRIM_400000_NS6detail17trampoline_kernelINS0_14default_configENS1_22reduce_config_selectorIN6thrust23THRUST_200600_302600_NS5tupleIblNS6_9null_typeES8_S8_S8_S8_S8_S8_S8_EEEEZNS1_11reduce_implILb1ES3_NS6_12zip_iteratorINS7_INS6_11hip_rocprim26transform_input_iterator_tIbNSD_35transform_pair_of_input_iterators_tIbNS6_6detail15normal_iteratorINS6_10device_ptrIKsEEEESL_NS6_8equal_toIsEEEENSG_9not_fun_tINSD_8identityEEEEENSD_19counting_iterator_tIlEES8_S8_S8_S8_S8_S8_S8_S8_EEEEPS9_S9_NSD_9__find_if7functorIS9_EEEE10hipError_tPvRmT1_T2_T3_mT4_P12ihipStream_tbEUlT_E1_NS1_11comp_targetILNS1_3genE8ELNS1_11target_archE1030ELNS1_3gpuE2ELNS1_3repE0EEENS1_30default_config_static_selectorELNS0_4arch9wavefront6targetE0EEEvS14_,"axG",@progbits,_ZN7rocprim17ROCPRIM_400000_NS6detail17trampoline_kernelINS0_14default_configENS1_22reduce_config_selectorIN6thrust23THRUST_200600_302600_NS5tupleIblNS6_9null_typeES8_S8_S8_S8_S8_S8_S8_EEEEZNS1_11reduce_implILb1ES3_NS6_12zip_iteratorINS7_INS6_11hip_rocprim26transform_input_iterator_tIbNSD_35transform_pair_of_input_iterators_tIbNS6_6detail15normal_iteratorINS6_10device_ptrIKsEEEESL_NS6_8equal_toIsEEEENSG_9not_fun_tINSD_8identityEEEEENSD_19counting_iterator_tIlEES8_S8_S8_S8_S8_S8_S8_S8_EEEEPS9_S9_NSD_9__find_if7functorIS9_EEEE10hipError_tPvRmT1_T2_T3_mT4_P12ihipStream_tbEUlT_E1_NS1_11comp_targetILNS1_3genE8ELNS1_11target_archE1030ELNS1_3gpuE2ELNS1_3repE0EEENS1_30default_config_static_selectorELNS0_4arch9wavefront6targetE0EEEvS14_,comdat
.Lfunc_end315:
	.size	_ZN7rocprim17ROCPRIM_400000_NS6detail17trampoline_kernelINS0_14default_configENS1_22reduce_config_selectorIN6thrust23THRUST_200600_302600_NS5tupleIblNS6_9null_typeES8_S8_S8_S8_S8_S8_S8_EEEEZNS1_11reduce_implILb1ES3_NS6_12zip_iteratorINS7_INS6_11hip_rocprim26transform_input_iterator_tIbNSD_35transform_pair_of_input_iterators_tIbNS6_6detail15normal_iteratorINS6_10device_ptrIKsEEEESL_NS6_8equal_toIsEEEENSG_9not_fun_tINSD_8identityEEEEENSD_19counting_iterator_tIlEES8_S8_S8_S8_S8_S8_S8_S8_EEEEPS9_S9_NSD_9__find_if7functorIS9_EEEE10hipError_tPvRmT1_T2_T3_mT4_P12ihipStream_tbEUlT_E1_NS1_11comp_targetILNS1_3genE8ELNS1_11target_archE1030ELNS1_3gpuE2ELNS1_3repE0EEENS1_30default_config_static_selectorELNS0_4arch9wavefront6targetE0EEEvS14_, .Lfunc_end315-_ZN7rocprim17ROCPRIM_400000_NS6detail17trampoline_kernelINS0_14default_configENS1_22reduce_config_selectorIN6thrust23THRUST_200600_302600_NS5tupleIblNS6_9null_typeES8_S8_S8_S8_S8_S8_S8_EEEEZNS1_11reduce_implILb1ES3_NS6_12zip_iteratorINS7_INS6_11hip_rocprim26transform_input_iterator_tIbNSD_35transform_pair_of_input_iterators_tIbNS6_6detail15normal_iteratorINS6_10device_ptrIKsEEEESL_NS6_8equal_toIsEEEENSG_9not_fun_tINSD_8identityEEEEENSD_19counting_iterator_tIlEES8_S8_S8_S8_S8_S8_S8_S8_EEEEPS9_S9_NSD_9__find_if7functorIS9_EEEE10hipError_tPvRmT1_T2_T3_mT4_P12ihipStream_tbEUlT_E1_NS1_11comp_targetILNS1_3genE8ELNS1_11target_archE1030ELNS1_3gpuE2ELNS1_3repE0EEENS1_30default_config_static_selectorELNS0_4arch9wavefront6targetE0EEEvS14_
                                        ; -- End function
	.set _ZN7rocprim17ROCPRIM_400000_NS6detail17trampoline_kernelINS0_14default_configENS1_22reduce_config_selectorIN6thrust23THRUST_200600_302600_NS5tupleIblNS6_9null_typeES8_S8_S8_S8_S8_S8_S8_EEEEZNS1_11reduce_implILb1ES3_NS6_12zip_iteratorINS7_INS6_11hip_rocprim26transform_input_iterator_tIbNSD_35transform_pair_of_input_iterators_tIbNS6_6detail15normal_iteratorINS6_10device_ptrIKsEEEESL_NS6_8equal_toIsEEEENSG_9not_fun_tINSD_8identityEEEEENSD_19counting_iterator_tIlEES8_S8_S8_S8_S8_S8_S8_S8_EEEEPS9_S9_NSD_9__find_if7functorIS9_EEEE10hipError_tPvRmT1_T2_T3_mT4_P12ihipStream_tbEUlT_E1_NS1_11comp_targetILNS1_3genE8ELNS1_11target_archE1030ELNS1_3gpuE2ELNS1_3repE0EEENS1_30default_config_static_selectorELNS0_4arch9wavefront6targetE0EEEvS14_.num_vgpr, 27
	.set _ZN7rocprim17ROCPRIM_400000_NS6detail17trampoline_kernelINS0_14default_configENS1_22reduce_config_selectorIN6thrust23THRUST_200600_302600_NS5tupleIblNS6_9null_typeES8_S8_S8_S8_S8_S8_S8_EEEEZNS1_11reduce_implILb1ES3_NS6_12zip_iteratorINS7_INS6_11hip_rocprim26transform_input_iterator_tIbNSD_35transform_pair_of_input_iterators_tIbNS6_6detail15normal_iteratorINS6_10device_ptrIKsEEEESL_NS6_8equal_toIsEEEENSG_9not_fun_tINSD_8identityEEEEENSD_19counting_iterator_tIlEES8_S8_S8_S8_S8_S8_S8_S8_EEEEPS9_S9_NSD_9__find_if7functorIS9_EEEE10hipError_tPvRmT1_T2_T3_mT4_P12ihipStream_tbEUlT_E1_NS1_11comp_targetILNS1_3genE8ELNS1_11target_archE1030ELNS1_3gpuE2ELNS1_3repE0EEENS1_30default_config_static_selectorELNS0_4arch9wavefront6targetE0EEEvS14_.num_agpr, 0
	.set _ZN7rocprim17ROCPRIM_400000_NS6detail17trampoline_kernelINS0_14default_configENS1_22reduce_config_selectorIN6thrust23THRUST_200600_302600_NS5tupleIblNS6_9null_typeES8_S8_S8_S8_S8_S8_S8_EEEEZNS1_11reduce_implILb1ES3_NS6_12zip_iteratorINS7_INS6_11hip_rocprim26transform_input_iterator_tIbNSD_35transform_pair_of_input_iterators_tIbNS6_6detail15normal_iteratorINS6_10device_ptrIKsEEEESL_NS6_8equal_toIsEEEENSG_9not_fun_tINSD_8identityEEEEENSD_19counting_iterator_tIlEES8_S8_S8_S8_S8_S8_S8_S8_EEEEPS9_S9_NSD_9__find_if7functorIS9_EEEE10hipError_tPvRmT1_T2_T3_mT4_P12ihipStream_tbEUlT_E1_NS1_11comp_targetILNS1_3genE8ELNS1_11target_archE1030ELNS1_3gpuE2ELNS1_3repE0EEENS1_30default_config_static_selectorELNS0_4arch9wavefront6targetE0EEEvS14_.numbered_sgpr, 32
	.set _ZN7rocprim17ROCPRIM_400000_NS6detail17trampoline_kernelINS0_14default_configENS1_22reduce_config_selectorIN6thrust23THRUST_200600_302600_NS5tupleIblNS6_9null_typeES8_S8_S8_S8_S8_S8_S8_EEEEZNS1_11reduce_implILb1ES3_NS6_12zip_iteratorINS7_INS6_11hip_rocprim26transform_input_iterator_tIbNSD_35transform_pair_of_input_iterators_tIbNS6_6detail15normal_iteratorINS6_10device_ptrIKsEEEESL_NS6_8equal_toIsEEEENSG_9not_fun_tINSD_8identityEEEEENSD_19counting_iterator_tIlEES8_S8_S8_S8_S8_S8_S8_S8_EEEEPS9_S9_NSD_9__find_if7functorIS9_EEEE10hipError_tPvRmT1_T2_T3_mT4_P12ihipStream_tbEUlT_E1_NS1_11comp_targetILNS1_3genE8ELNS1_11target_archE1030ELNS1_3gpuE2ELNS1_3repE0EEENS1_30default_config_static_selectorELNS0_4arch9wavefront6targetE0EEEvS14_.num_named_barrier, 0
	.set _ZN7rocprim17ROCPRIM_400000_NS6detail17trampoline_kernelINS0_14default_configENS1_22reduce_config_selectorIN6thrust23THRUST_200600_302600_NS5tupleIblNS6_9null_typeES8_S8_S8_S8_S8_S8_S8_EEEEZNS1_11reduce_implILb1ES3_NS6_12zip_iteratorINS7_INS6_11hip_rocprim26transform_input_iterator_tIbNSD_35transform_pair_of_input_iterators_tIbNS6_6detail15normal_iteratorINS6_10device_ptrIKsEEEESL_NS6_8equal_toIsEEEENSG_9not_fun_tINSD_8identityEEEEENSD_19counting_iterator_tIlEES8_S8_S8_S8_S8_S8_S8_S8_EEEEPS9_S9_NSD_9__find_if7functorIS9_EEEE10hipError_tPvRmT1_T2_T3_mT4_P12ihipStream_tbEUlT_E1_NS1_11comp_targetILNS1_3genE8ELNS1_11target_archE1030ELNS1_3gpuE2ELNS1_3repE0EEENS1_30default_config_static_selectorELNS0_4arch9wavefront6targetE0EEEvS14_.private_seg_size, 0
	.set _ZN7rocprim17ROCPRIM_400000_NS6detail17trampoline_kernelINS0_14default_configENS1_22reduce_config_selectorIN6thrust23THRUST_200600_302600_NS5tupleIblNS6_9null_typeES8_S8_S8_S8_S8_S8_S8_EEEEZNS1_11reduce_implILb1ES3_NS6_12zip_iteratorINS7_INS6_11hip_rocprim26transform_input_iterator_tIbNSD_35transform_pair_of_input_iterators_tIbNS6_6detail15normal_iteratorINS6_10device_ptrIKsEEEESL_NS6_8equal_toIsEEEENSG_9not_fun_tINSD_8identityEEEEENSD_19counting_iterator_tIlEES8_S8_S8_S8_S8_S8_S8_S8_EEEEPS9_S9_NSD_9__find_if7functorIS9_EEEE10hipError_tPvRmT1_T2_T3_mT4_P12ihipStream_tbEUlT_E1_NS1_11comp_targetILNS1_3genE8ELNS1_11target_archE1030ELNS1_3gpuE2ELNS1_3repE0EEENS1_30default_config_static_selectorELNS0_4arch9wavefront6targetE0EEEvS14_.uses_vcc, 1
	.set _ZN7rocprim17ROCPRIM_400000_NS6detail17trampoline_kernelINS0_14default_configENS1_22reduce_config_selectorIN6thrust23THRUST_200600_302600_NS5tupleIblNS6_9null_typeES8_S8_S8_S8_S8_S8_S8_EEEEZNS1_11reduce_implILb1ES3_NS6_12zip_iteratorINS7_INS6_11hip_rocprim26transform_input_iterator_tIbNSD_35transform_pair_of_input_iterators_tIbNS6_6detail15normal_iteratorINS6_10device_ptrIKsEEEESL_NS6_8equal_toIsEEEENSG_9not_fun_tINSD_8identityEEEEENSD_19counting_iterator_tIlEES8_S8_S8_S8_S8_S8_S8_S8_EEEEPS9_S9_NSD_9__find_if7functorIS9_EEEE10hipError_tPvRmT1_T2_T3_mT4_P12ihipStream_tbEUlT_E1_NS1_11comp_targetILNS1_3genE8ELNS1_11target_archE1030ELNS1_3gpuE2ELNS1_3repE0EEENS1_30default_config_static_selectorELNS0_4arch9wavefront6targetE0EEEvS14_.uses_flat_scratch, 0
	.set _ZN7rocprim17ROCPRIM_400000_NS6detail17trampoline_kernelINS0_14default_configENS1_22reduce_config_selectorIN6thrust23THRUST_200600_302600_NS5tupleIblNS6_9null_typeES8_S8_S8_S8_S8_S8_S8_EEEEZNS1_11reduce_implILb1ES3_NS6_12zip_iteratorINS7_INS6_11hip_rocprim26transform_input_iterator_tIbNSD_35transform_pair_of_input_iterators_tIbNS6_6detail15normal_iteratorINS6_10device_ptrIKsEEEESL_NS6_8equal_toIsEEEENSG_9not_fun_tINSD_8identityEEEEENSD_19counting_iterator_tIlEES8_S8_S8_S8_S8_S8_S8_S8_EEEEPS9_S9_NSD_9__find_if7functorIS9_EEEE10hipError_tPvRmT1_T2_T3_mT4_P12ihipStream_tbEUlT_E1_NS1_11comp_targetILNS1_3genE8ELNS1_11target_archE1030ELNS1_3gpuE2ELNS1_3repE0EEENS1_30default_config_static_selectorELNS0_4arch9wavefront6targetE0EEEvS14_.has_dyn_sized_stack, 0
	.set _ZN7rocprim17ROCPRIM_400000_NS6detail17trampoline_kernelINS0_14default_configENS1_22reduce_config_selectorIN6thrust23THRUST_200600_302600_NS5tupleIblNS6_9null_typeES8_S8_S8_S8_S8_S8_S8_EEEEZNS1_11reduce_implILb1ES3_NS6_12zip_iteratorINS7_INS6_11hip_rocprim26transform_input_iterator_tIbNSD_35transform_pair_of_input_iterators_tIbNS6_6detail15normal_iteratorINS6_10device_ptrIKsEEEESL_NS6_8equal_toIsEEEENSG_9not_fun_tINSD_8identityEEEEENSD_19counting_iterator_tIlEES8_S8_S8_S8_S8_S8_S8_S8_EEEEPS9_S9_NSD_9__find_if7functorIS9_EEEE10hipError_tPvRmT1_T2_T3_mT4_P12ihipStream_tbEUlT_E1_NS1_11comp_targetILNS1_3genE8ELNS1_11target_archE1030ELNS1_3gpuE2ELNS1_3repE0EEENS1_30default_config_static_selectorELNS0_4arch9wavefront6targetE0EEEvS14_.has_recursion, 0
	.set _ZN7rocprim17ROCPRIM_400000_NS6detail17trampoline_kernelINS0_14default_configENS1_22reduce_config_selectorIN6thrust23THRUST_200600_302600_NS5tupleIblNS6_9null_typeES8_S8_S8_S8_S8_S8_S8_EEEEZNS1_11reduce_implILb1ES3_NS6_12zip_iteratorINS7_INS6_11hip_rocprim26transform_input_iterator_tIbNSD_35transform_pair_of_input_iterators_tIbNS6_6detail15normal_iteratorINS6_10device_ptrIKsEEEESL_NS6_8equal_toIsEEEENSG_9not_fun_tINSD_8identityEEEEENSD_19counting_iterator_tIlEES8_S8_S8_S8_S8_S8_S8_S8_EEEEPS9_S9_NSD_9__find_if7functorIS9_EEEE10hipError_tPvRmT1_T2_T3_mT4_P12ihipStream_tbEUlT_E1_NS1_11comp_targetILNS1_3genE8ELNS1_11target_archE1030ELNS1_3gpuE2ELNS1_3repE0EEENS1_30default_config_static_selectorELNS0_4arch9wavefront6targetE0EEEvS14_.has_indirect_call, 0
	.section	.AMDGPU.csdata,"",@progbits
; Kernel info:
; codeLenInByte = 14768
; TotalNumSgprs: 34
; NumVgprs: 27
; ScratchSize: 0
; MemoryBound: 0
; FloatMode: 240
; IeeeMode: 1
; LDSByteSize: 640 bytes/workgroup (compile time only)
; SGPRBlocks: 0
; VGPRBlocks: 3
; NumSGPRsForWavesPerEU: 34
; NumVGPRsForWavesPerEU: 27
; Occupancy: 16
; WaveLimiterHint : 0
; COMPUTE_PGM_RSRC2:SCRATCH_EN: 0
; COMPUTE_PGM_RSRC2:USER_SGPR: 6
; COMPUTE_PGM_RSRC2:TRAP_HANDLER: 0
; COMPUTE_PGM_RSRC2:TGID_X_EN: 1
; COMPUTE_PGM_RSRC2:TGID_Y_EN: 0
; COMPUTE_PGM_RSRC2:TGID_Z_EN: 0
; COMPUTE_PGM_RSRC2:TIDIG_COMP_CNT: 0
	.section	.text._ZN6thrust23THRUST_200600_302600_NS11hip_rocprim14__parallel_for6kernelILj256ENS1_20__uninitialized_fill7functorINS0_10device_ptrIiEEiEEmLj1EEEvT0_T1_SA_,"axG",@progbits,_ZN6thrust23THRUST_200600_302600_NS11hip_rocprim14__parallel_for6kernelILj256ENS1_20__uninitialized_fill7functorINS0_10device_ptrIiEEiEEmLj1EEEvT0_T1_SA_,comdat
	.protected	_ZN6thrust23THRUST_200600_302600_NS11hip_rocprim14__parallel_for6kernelILj256ENS1_20__uninitialized_fill7functorINS0_10device_ptrIiEEiEEmLj1EEEvT0_T1_SA_ ; -- Begin function _ZN6thrust23THRUST_200600_302600_NS11hip_rocprim14__parallel_for6kernelILj256ENS1_20__uninitialized_fill7functorINS0_10device_ptrIiEEiEEmLj1EEEvT0_T1_SA_
	.globl	_ZN6thrust23THRUST_200600_302600_NS11hip_rocprim14__parallel_for6kernelILj256ENS1_20__uninitialized_fill7functorINS0_10device_ptrIiEEiEEmLj1EEEvT0_T1_SA_
	.p2align	8
	.type	_ZN6thrust23THRUST_200600_302600_NS11hip_rocprim14__parallel_for6kernelILj256ENS1_20__uninitialized_fill7functorINS0_10device_ptrIiEEiEEmLj1EEEvT0_T1_SA_,@function
_ZN6thrust23THRUST_200600_302600_NS11hip_rocprim14__parallel_for6kernelILj256ENS1_20__uninitialized_fill7functorINS0_10device_ptrIiEEiEEmLj1EEEvT0_T1_SA_: ; @_ZN6thrust23THRUST_200600_302600_NS11hip_rocprim14__parallel_for6kernelILj256ENS1_20__uninitialized_fill7functorINS0_10device_ptrIiEEiEEmLj1EEEvT0_T1_SA_
; %bb.0:
	s_clause 0x2
	s_load_dwordx4 s[8:11], s[4:5], 0x10
	s_load_dwordx2 s[0:1], s[4:5], 0x0
	s_load_dword s7, s[4:5], 0x8
	s_lshl_b32 s2, s6, 8
	s_waitcnt lgkmcnt(0)
	s_add_u32 s2, s10, s2
	s_addc_u32 s3, s11, 0
	s_sub_u32 s4, s8, s2
	s_subb_u32 s5, s9, s3
	v_cmp_lt_u64_e64 s5, 0xff, s[4:5]
	s_and_b32 vcc_lo, exec_lo, s5
	s_mov_b32 s5, -1
	s_cbranch_vccz .LBB316_3
; %bb.1:
	s_andn2_b32 vcc_lo, exec_lo, s5
	s_cbranch_vccz .LBB316_6
.LBB316_2:
	s_endpgm
.LBB316_3:
	v_cmp_gt_u32_e32 vcc_lo, s4, v0
	s_and_saveexec_b32 s4, vcc_lo
	s_cbranch_execz .LBB316_5
; %bb.4:
	v_lshlrev_b32_e32 v1, 2, v0
	s_lshl_b64 s[8:9], s[2:3], 2
	v_mov_b32_e32 v3, s7
	s_add_u32 s5, s0, s8
	s_addc_u32 s6, s1, s9
	v_add_co_u32 v1, s5, s5, v1
	v_add_co_ci_u32_e64 v2, null, s6, 0, s5
	flat_store_dword v[1:2], v3
.LBB316_5:
	s_or_b32 exec_lo, exec_lo, s4
	s_cbranch_execnz .LBB316_2
.LBB316_6:
	v_lshlrev_b32_e32 v0, 2, v0
	s_lshl_b64 s[2:3], s[2:3], 2
	v_mov_b32_e32 v2, s7
	s_add_u32 s0, s0, s2
	s_addc_u32 s1, s1, s3
	v_add_co_u32 v0, s0, s0, v0
	v_add_co_ci_u32_e64 v1, null, s1, 0, s0
	flat_store_dword v[0:1], v2
	s_endpgm
	.section	.rodata,"a",@progbits
	.p2align	6, 0x0
	.amdhsa_kernel _ZN6thrust23THRUST_200600_302600_NS11hip_rocprim14__parallel_for6kernelILj256ENS1_20__uninitialized_fill7functorINS0_10device_ptrIiEEiEEmLj1EEEvT0_T1_SA_
		.amdhsa_group_segment_fixed_size 0
		.amdhsa_private_segment_fixed_size 0
		.amdhsa_kernarg_size 32
		.amdhsa_user_sgpr_count 6
		.amdhsa_user_sgpr_private_segment_buffer 1
		.amdhsa_user_sgpr_dispatch_ptr 0
		.amdhsa_user_sgpr_queue_ptr 0
		.amdhsa_user_sgpr_kernarg_segment_ptr 1
		.amdhsa_user_sgpr_dispatch_id 0
		.amdhsa_user_sgpr_flat_scratch_init 0
		.amdhsa_user_sgpr_private_segment_size 0
		.amdhsa_wavefront_size32 1
		.amdhsa_uses_dynamic_stack 0
		.amdhsa_system_sgpr_private_segment_wavefront_offset 0
		.amdhsa_system_sgpr_workgroup_id_x 1
		.amdhsa_system_sgpr_workgroup_id_y 0
		.amdhsa_system_sgpr_workgroup_id_z 0
		.amdhsa_system_sgpr_workgroup_info 0
		.amdhsa_system_vgpr_workitem_id 0
		.amdhsa_next_free_vgpr 4
		.amdhsa_next_free_sgpr 12
		.amdhsa_reserve_vcc 1
		.amdhsa_reserve_flat_scratch 0
		.amdhsa_float_round_mode_32 0
		.amdhsa_float_round_mode_16_64 0
		.amdhsa_float_denorm_mode_32 3
		.amdhsa_float_denorm_mode_16_64 3
		.amdhsa_dx10_clamp 1
		.amdhsa_ieee_mode 1
		.amdhsa_fp16_overflow 0
		.amdhsa_workgroup_processor_mode 1
		.amdhsa_memory_ordered 1
		.amdhsa_forward_progress 1
		.amdhsa_shared_vgpr_count 0
		.amdhsa_exception_fp_ieee_invalid_op 0
		.amdhsa_exception_fp_denorm_src 0
		.amdhsa_exception_fp_ieee_div_zero 0
		.amdhsa_exception_fp_ieee_overflow 0
		.amdhsa_exception_fp_ieee_underflow 0
		.amdhsa_exception_fp_ieee_inexact 0
		.amdhsa_exception_int_div_zero 0
	.end_amdhsa_kernel
	.section	.text._ZN6thrust23THRUST_200600_302600_NS11hip_rocprim14__parallel_for6kernelILj256ENS1_20__uninitialized_fill7functorINS0_10device_ptrIiEEiEEmLj1EEEvT0_T1_SA_,"axG",@progbits,_ZN6thrust23THRUST_200600_302600_NS11hip_rocprim14__parallel_for6kernelILj256ENS1_20__uninitialized_fill7functorINS0_10device_ptrIiEEiEEmLj1EEEvT0_T1_SA_,comdat
.Lfunc_end316:
	.size	_ZN6thrust23THRUST_200600_302600_NS11hip_rocprim14__parallel_for6kernelILj256ENS1_20__uninitialized_fill7functorINS0_10device_ptrIiEEiEEmLj1EEEvT0_T1_SA_, .Lfunc_end316-_ZN6thrust23THRUST_200600_302600_NS11hip_rocprim14__parallel_for6kernelILj256ENS1_20__uninitialized_fill7functorINS0_10device_ptrIiEEiEEmLj1EEEvT0_T1_SA_
                                        ; -- End function
	.set _ZN6thrust23THRUST_200600_302600_NS11hip_rocprim14__parallel_for6kernelILj256ENS1_20__uninitialized_fill7functorINS0_10device_ptrIiEEiEEmLj1EEEvT0_T1_SA_.num_vgpr, 4
	.set _ZN6thrust23THRUST_200600_302600_NS11hip_rocprim14__parallel_for6kernelILj256ENS1_20__uninitialized_fill7functorINS0_10device_ptrIiEEiEEmLj1EEEvT0_T1_SA_.num_agpr, 0
	.set _ZN6thrust23THRUST_200600_302600_NS11hip_rocprim14__parallel_for6kernelILj256ENS1_20__uninitialized_fill7functorINS0_10device_ptrIiEEiEEmLj1EEEvT0_T1_SA_.numbered_sgpr, 12
	.set _ZN6thrust23THRUST_200600_302600_NS11hip_rocprim14__parallel_for6kernelILj256ENS1_20__uninitialized_fill7functorINS0_10device_ptrIiEEiEEmLj1EEEvT0_T1_SA_.num_named_barrier, 0
	.set _ZN6thrust23THRUST_200600_302600_NS11hip_rocprim14__parallel_for6kernelILj256ENS1_20__uninitialized_fill7functorINS0_10device_ptrIiEEiEEmLj1EEEvT0_T1_SA_.private_seg_size, 0
	.set _ZN6thrust23THRUST_200600_302600_NS11hip_rocprim14__parallel_for6kernelILj256ENS1_20__uninitialized_fill7functorINS0_10device_ptrIiEEiEEmLj1EEEvT0_T1_SA_.uses_vcc, 1
	.set _ZN6thrust23THRUST_200600_302600_NS11hip_rocprim14__parallel_for6kernelILj256ENS1_20__uninitialized_fill7functorINS0_10device_ptrIiEEiEEmLj1EEEvT0_T1_SA_.uses_flat_scratch, 0
	.set _ZN6thrust23THRUST_200600_302600_NS11hip_rocprim14__parallel_for6kernelILj256ENS1_20__uninitialized_fill7functorINS0_10device_ptrIiEEiEEmLj1EEEvT0_T1_SA_.has_dyn_sized_stack, 0
	.set _ZN6thrust23THRUST_200600_302600_NS11hip_rocprim14__parallel_for6kernelILj256ENS1_20__uninitialized_fill7functorINS0_10device_ptrIiEEiEEmLj1EEEvT0_T1_SA_.has_recursion, 0
	.set _ZN6thrust23THRUST_200600_302600_NS11hip_rocprim14__parallel_for6kernelILj256ENS1_20__uninitialized_fill7functorINS0_10device_ptrIiEEiEEmLj1EEEvT0_T1_SA_.has_indirect_call, 0
	.section	.AMDGPU.csdata,"",@progbits
; Kernel info:
; codeLenInByte = 200
; TotalNumSgprs: 14
; NumVgprs: 4
; ScratchSize: 0
; MemoryBound: 0
; FloatMode: 240
; IeeeMode: 1
; LDSByteSize: 0 bytes/workgroup (compile time only)
; SGPRBlocks: 0
; VGPRBlocks: 0
; NumSGPRsForWavesPerEU: 14
; NumVGPRsForWavesPerEU: 4
; Occupancy: 16
; WaveLimiterHint : 0
; COMPUTE_PGM_RSRC2:SCRATCH_EN: 0
; COMPUTE_PGM_RSRC2:USER_SGPR: 6
; COMPUTE_PGM_RSRC2:TRAP_HANDLER: 0
; COMPUTE_PGM_RSRC2:TGID_X_EN: 1
; COMPUTE_PGM_RSRC2:TGID_Y_EN: 0
; COMPUTE_PGM_RSRC2:TGID_Z_EN: 0
; COMPUTE_PGM_RSRC2:TIDIG_COMP_CNT: 0
	.section	.text._ZN7rocprim17ROCPRIM_400000_NS6detail17trampoline_kernelINS0_14default_configENS1_21merge_config_selectorINS0_5tupleIJddEEENS0_10empty_typeEEEZNS1_10merge_implIS3_NS0_12zip_iteratorINS5_IJN6thrust23THRUST_200600_302600_NS6detail15normal_iteratorINSC_10device_ptrIKdEEEESI_EEEEESK_NSA_INS5_IJNSE_INSF_IdEEEESM_EEEEEPS7_SP_SP_NSC_11hip_rocprim7__merge17predicate_wrapperIddNSC_7greaterIdEEEEEE10hipError_tPvRmT0_T1_T2_T3_T4_T5_mmT6_P12ihipStream_tbEUlT_E_NS1_11comp_targetILNS1_3genE0ELNS1_11target_archE4294967295ELNS1_3gpuE0ELNS1_3repE0EEENS1_30default_config_static_selectorELNS0_4arch9wavefront6targetE0EEEvS10_,"axG",@progbits,_ZN7rocprim17ROCPRIM_400000_NS6detail17trampoline_kernelINS0_14default_configENS1_21merge_config_selectorINS0_5tupleIJddEEENS0_10empty_typeEEEZNS1_10merge_implIS3_NS0_12zip_iteratorINS5_IJN6thrust23THRUST_200600_302600_NS6detail15normal_iteratorINSC_10device_ptrIKdEEEESI_EEEEESK_NSA_INS5_IJNSE_INSF_IdEEEESM_EEEEEPS7_SP_SP_NSC_11hip_rocprim7__merge17predicate_wrapperIddNSC_7greaterIdEEEEEE10hipError_tPvRmT0_T1_T2_T3_T4_T5_mmT6_P12ihipStream_tbEUlT_E_NS1_11comp_targetILNS1_3genE0ELNS1_11target_archE4294967295ELNS1_3gpuE0ELNS1_3repE0EEENS1_30default_config_static_selectorELNS0_4arch9wavefront6targetE0EEEvS10_,comdat
	.protected	_ZN7rocprim17ROCPRIM_400000_NS6detail17trampoline_kernelINS0_14default_configENS1_21merge_config_selectorINS0_5tupleIJddEEENS0_10empty_typeEEEZNS1_10merge_implIS3_NS0_12zip_iteratorINS5_IJN6thrust23THRUST_200600_302600_NS6detail15normal_iteratorINSC_10device_ptrIKdEEEESI_EEEEESK_NSA_INS5_IJNSE_INSF_IdEEEESM_EEEEEPS7_SP_SP_NSC_11hip_rocprim7__merge17predicate_wrapperIddNSC_7greaterIdEEEEEE10hipError_tPvRmT0_T1_T2_T3_T4_T5_mmT6_P12ihipStream_tbEUlT_E_NS1_11comp_targetILNS1_3genE0ELNS1_11target_archE4294967295ELNS1_3gpuE0ELNS1_3repE0EEENS1_30default_config_static_selectorELNS0_4arch9wavefront6targetE0EEEvS10_ ; -- Begin function _ZN7rocprim17ROCPRIM_400000_NS6detail17trampoline_kernelINS0_14default_configENS1_21merge_config_selectorINS0_5tupleIJddEEENS0_10empty_typeEEEZNS1_10merge_implIS3_NS0_12zip_iteratorINS5_IJN6thrust23THRUST_200600_302600_NS6detail15normal_iteratorINSC_10device_ptrIKdEEEESI_EEEEESK_NSA_INS5_IJNSE_INSF_IdEEEESM_EEEEEPS7_SP_SP_NSC_11hip_rocprim7__merge17predicate_wrapperIddNSC_7greaterIdEEEEEE10hipError_tPvRmT0_T1_T2_T3_T4_T5_mmT6_P12ihipStream_tbEUlT_E_NS1_11comp_targetILNS1_3genE0ELNS1_11target_archE4294967295ELNS1_3gpuE0ELNS1_3repE0EEENS1_30default_config_static_selectorELNS0_4arch9wavefront6targetE0EEEvS10_
	.globl	_ZN7rocprim17ROCPRIM_400000_NS6detail17trampoline_kernelINS0_14default_configENS1_21merge_config_selectorINS0_5tupleIJddEEENS0_10empty_typeEEEZNS1_10merge_implIS3_NS0_12zip_iteratorINS5_IJN6thrust23THRUST_200600_302600_NS6detail15normal_iteratorINSC_10device_ptrIKdEEEESI_EEEEESK_NSA_INS5_IJNSE_INSF_IdEEEESM_EEEEEPS7_SP_SP_NSC_11hip_rocprim7__merge17predicate_wrapperIddNSC_7greaterIdEEEEEE10hipError_tPvRmT0_T1_T2_T3_T4_T5_mmT6_P12ihipStream_tbEUlT_E_NS1_11comp_targetILNS1_3genE0ELNS1_11target_archE4294967295ELNS1_3gpuE0ELNS1_3repE0EEENS1_30default_config_static_selectorELNS0_4arch9wavefront6targetE0EEEvS10_
	.p2align	8
	.type	_ZN7rocprim17ROCPRIM_400000_NS6detail17trampoline_kernelINS0_14default_configENS1_21merge_config_selectorINS0_5tupleIJddEEENS0_10empty_typeEEEZNS1_10merge_implIS3_NS0_12zip_iteratorINS5_IJN6thrust23THRUST_200600_302600_NS6detail15normal_iteratorINSC_10device_ptrIKdEEEESI_EEEEESK_NSA_INS5_IJNSE_INSF_IdEEEESM_EEEEEPS7_SP_SP_NSC_11hip_rocprim7__merge17predicate_wrapperIddNSC_7greaterIdEEEEEE10hipError_tPvRmT0_T1_T2_T3_T4_T5_mmT6_P12ihipStream_tbEUlT_E_NS1_11comp_targetILNS1_3genE0ELNS1_11target_archE4294967295ELNS1_3gpuE0ELNS1_3repE0EEENS1_30default_config_static_selectorELNS0_4arch9wavefront6targetE0EEEvS10_,@function
_ZN7rocprim17ROCPRIM_400000_NS6detail17trampoline_kernelINS0_14default_configENS1_21merge_config_selectorINS0_5tupleIJddEEENS0_10empty_typeEEEZNS1_10merge_implIS3_NS0_12zip_iteratorINS5_IJN6thrust23THRUST_200600_302600_NS6detail15normal_iteratorINSC_10device_ptrIKdEEEESI_EEEEESK_NSA_INS5_IJNSE_INSF_IdEEEESM_EEEEEPS7_SP_SP_NSC_11hip_rocprim7__merge17predicate_wrapperIddNSC_7greaterIdEEEEEE10hipError_tPvRmT0_T1_T2_T3_T4_T5_mmT6_P12ihipStream_tbEUlT_E_NS1_11comp_targetILNS1_3genE0ELNS1_11target_archE4294967295ELNS1_3gpuE0ELNS1_3repE0EEENS1_30default_config_static_selectorELNS0_4arch9wavefront6targetE0EEEvS10_: ; @_ZN7rocprim17ROCPRIM_400000_NS6detail17trampoline_kernelINS0_14default_configENS1_21merge_config_selectorINS0_5tupleIJddEEENS0_10empty_typeEEEZNS1_10merge_implIS3_NS0_12zip_iteratorINS5_IJN6thrust23THRUST_200600_302600_NS6detail15normal_iteratorINSC_10device_ptrIKdEEEESI_EEEEESK_NSA_INS5_IJNSE_INSF_IdEEEESM_EEEEEPS7_SP_SP_NSC_11hip_rocprim7__merge17predicate_wrapperIddNSC_7greaterIdEEEEEE10hipError_tPvRmT0_T1_T2_T3_T4_T5_mmT6_P12ihipStream_tbEUlT_E_NS1_11comp_targetILNS1_3genE0ELNS1_11target_archE4294967295ELNS1_3gpuE0ELNS1_3repE0EEENS1_30default_config_static_selectorELNS0_4arch9wavefront6targetE0EEEvS10_
; %bb.0:
	.section	.rodata,"a",@progbits
	.p2align	6, 0x0
	.amdhsa_kernel _ZN7rocprim17ROCPRIM_400000_NS6detail17trampoline_kernelINS0_14default_configENS1_21merge_config_selectorINS0_5tupleIJddEEENS0_10empty_typeEEEZNS1_10merge_implIS3_NS0_12zip_iteratorINS5_IJN6thrust23THRUST_200600_302600_NS6detail15normal_iteratorINSC_10device_ptrIKdEEEESI_EEEEESK_NSA_INS5_IJNSE_INSF_IdEEEESM_EEEEEPS7_SP_SP_NSC_11hip_rocprim7__merge17predicate_wrapperIddNSC_7greaterIdEEEEEE10hipError_tPvRmT0_T1_T2_T3_T4_T5_mmT6_P12ihipStream_tbEUlT_E_NS1_11comp_targetILNS1_3genE0ELNS1_11target_archE4294967295ELNS1_3gpuE0ELNS1_3repE0EEENS1_30default_config_static_selectorELNS0_4arch9wavefront6targetE0EEEvS10_
		.amdhsa_group_segment_fixed_size 0
		.amdhsa_private_segment_fixed_size 0
		.amdhsa_kernarg_size 64
		.amdhsa_user_sgpr_count 6
		.amdhsa_user_sgpr_private_segment_buffer 1
		.amdhsa_user_sgpr_dispatch_ptr 0
		.amdhsa_user_sgpr_queue_ptr 0
		.amdhsa_user_sgpr_kernarg_segment_ptr 1
		.amdhsa_user_sgpr_dispatch_id 0
		.amdhsa_user_sgpr_flat_scratch_init 0
		.amdhsa_user_sgpr_private_segment_size 0
		.amdhsa_wavefront_size32 1
		.amdhsa_uses_dynamic_stack 0
		.amdhsa_system_sgpr_private_segment_wavefront_offset 0
		.amdhsa_system_sgpr_workgroup_id_x 1
		.amdhsa_system_sgpr_workgroup_id_y 0
		.amdhsa_system_sgpr_workgroup_id_z 0
		.amdhsa_system_sgpr_workgroup_info 0
		.amdhsa_system_vgpr_workitem_id 0
		.amdhsa_next_free_vgpr 1
		.amdhsa_next_free_sgpr 1
		.amdhsa_reserve_vcc 0
		.amdhsa_reserve_flat_scratch 0
		.amdhsa_float_round_mode_32 0
		.amdhsa_float_round_mode_16_64 0
		.amdhsa_float_denorm_mode_32 3
		.amdhsa_float_denorm_mode_16_64 3
		.amdhsa_dx10_clamp 1
		.amdhsa_ieee_mode 1
		.amdhsa_fp16_overflow 0
		.amdhsa_workgroup_processor_mode 1
		.amdhsa_memory_ordered 1
		.amdhsa_forward_progress 1
		.amdhsa_shared_vgpr_count 0
		.amdhsa_exception_fp_ieee_invalid_op 0
		.amdhsa_exception_fp_denorm_src 0
		.amdhsa_exception_fp_ieee_div_zero 0
		.amdhsa_exception_fp_ieee_overflow 0
		.amdhsa_exception_fp_ieee_underflow 0
		.amdhsa_exception_fp_ieee_inexact 0
		.amdhsa_exception_int_div_zero 0
	.end_amdhsa_kernel
	.section	.text._ZN7rocprim17ROCPRIM_400000_NS6detail17trampoline_kernelINS0_14default_configENS1_21merge_config_selectorINS0_5tupleIJddEEENS0_10empty_typeEEEZNS1_10merge_implIS3_NS0_12zip_iteratorINS5_IJN6thrust23THRUST_200600_302600_NS6detail15normal_iteratorINSC_10device_ptrIKdEEEESI_EEEEESK_NSA_INS5_IJNSE_INSF_IdEEEESM_EEEEEPS7_SP_SP_NSC_11hip_rocprim7__merge17predicate_wrapperIddNSC_7greaterIdEEEEEE10hipError_tPvRmT0_T1_T2_T3_T4_T5_mmT6_P12ihipStream_tbEUlT_E_NS1_11comp_targetILNS1_3genE0ELNS1_11target_archE4294967295ELNS1_3gpuE0ELNS1_3repE0EEENS1_30default_config_static_selectorELNS0_4arch9wavefront6targetE0EEEvS10_,"axG",@progbits,_ZN7rocprim17ROCPRIM_400000_NS6detail17trampoline_kernelINS0_14default_configENS1_21merge_config_selectorINS0_5tupleIJddEEENS0_10empty_typeEEEZNS1_10merge_implIS3_NS0_12zip_iteratorINS5_IJN6thrust23THRUST_200600_302600_NS6detail15normal_iteratorINSC_10device_ptrIKdEEEESI_EEEEESK_NSA_INS5_IJNSE_INSF_IdEEEESM_EEEEEPS7_SP_SP_NSC_11hip_rocprim7__merge17predicate_wrapperIddNSC_7greaterIdEEEEEE10hipError_tPvRmT0_T1_T2_T3_T4_T5_mmT6_P12ihipStream_tbEUlT_E_NS1_11comp_targetILNS1_3genE0ELNS1_11target_archE4294967295ELNS1_3gpuE0ELNS1_3repE0EEENS1_30default_config_static_selectorELNS0_4arch9wavefront6targetE0EEEvS10_,comdat
.Lfunc_end317:
	.size	_ZN7rocprim17ROCPRIM_400000_NS6detail17trampoline_kernelINS0_14default_configENS1_21merge_config_selectorINS0_5tupleIJddEEENS0_10empty_typeEEEZNS1_10merge_implIS3_NS0_12zip_iteratorINS5_IJN6thrust23THRUST_200600_302600_NS6detail15normal_iteratorINSC_10device_ptrIKdEEEESI_EEEEESK_NSA_INS5_IJNSE_INSF_IdEEEESM_EEEEEPS7_SP_SP_NSC_11hip_rocprim7__merge17predicate_wrapperIddNSC_7greaterIdEEEEEE10hipError_tPvRmT0_T1_T2_T3_T4_T5_mmT6_P12ihipStream_tbEUlT_E_NS1_11comp_targetILNS1_3genE0ELNS1_11target_archE4294967295ELNS1_3gpuE0ELNS1_3repE0EEENS1_30default_config_static_selectorELNS0_4arch9wavefront6targetE0EEEvS10_, .Lfunc_end317-_ZN7rocprim17ROCPRIM_400000_NS6detail17trampoline_kernelINS0_14default_configENS1_21merge_config_selectorINS0_5tupleIJddEEENS0_10empty_typeEEEZNS1_10merge_implIS3_NS0_12zip_iteratorINS5_IJN6thrust23THRUST_200600_302600_NS6detail15normal_iteratorINSC_10device_ptrIKdEEEESI_EEEEESK_NSA_INS5_IJNSE_INSF_IdEEEESM_EEEEEPS7_SP_SP_NSC_11hip_rocprim7__merge17predicate_wrapperIddNSC_7greaterIdEEEEEE10hipError_tPvRmT0_T1_T2_T3_T4_T5_mmT6_P12ihipStream_tbEUlT_E_NS1_11comp_targetILNS1_3genE0ELNS1_11target_archE4294967295ELNS1_3gpuE0ELNS1_3repE0EEENS1_30default_config_static_selectorELNS0_4arch9wavefront6targetE0EEEvS10_
                                        ; -- End function
	.set _ZN7rocprim17ROCPRIM_400000_NS6detail17trampoline_kernelINS0_14default_configENS1_21merge_config_selectorINS0_5tupleIJddEEENS0_10empty_typeEEEZNS1_10merge_implIS3_NS0_12zip_iteratorINS5_IJN6thrust23THRUST_200600_302600_NS6detail15normal_iteratorINSC_10device_ptrIKdEEEESI_EEEEESK_NSA_INS5_IJNSE_INSF_IdEEEESM_EEEEEPS7_SP_SP_NSC_11hip_rocprim7__merge17predicate_wrapperIddNSC_7greaterIdEEEEEE10hipError_tPvRmT0_T1_T2_T3_T4_T5_mmT6_P12ihipStream_tbEUlT_E_NS1_11comp_targetILNS1_3genE0ELNS1_11target_archE4294967295ELNS1_3gpuE0ELNS1_3repE0EEENS1_30default_config_static_selectorELNS0_4arch9wavefront6targetE0EEEvS10_.num_vgpr, 0
	.set _ZN7rocprim17ROCPRIM_400000_NS6detail17trampoline_kernelINS0_14default_configENS1_21merge_config_selectorINS0_5tupleIJddEEENS0_10empty_typeEEEZNS1_10merge_implIS3_NS0_12zip_iteratorINS5_IJN6thrust23THRUST_200600_302600_NS6detail15normal_iteratorINSC_10device_ptrIKdEEEESI_EEEEESK_NSA_INS5_IJNSE_INSF_IdEEEESM_EEEEEPS7_SP_SP_NSC_11hip_rocprim7__merge17predicate_wrapperIddNSC_7greaterIdEEEEEE10hipError_tPvRmT0_T1_T2_T3_T4_T5_mmT6_P12ihipStream_tbEUlT_E_NS1_11comp_targetILNS1_3genE0ELNS1_11target_archE4294967295ELNS1_3gpuE0ELNS1_3repE0EEENS1_30default_config_static_selectorELNS0_4arch9wavefront6targetE0EEEvS10_.num_agpr, 0
	.set _ZN7rocprim17ROCPRIM_400000_NS6detail17trampoline_kernelINS0_14default_configENS1_21merge_config_selectorINS0_5tupleIJddEEENS0_10empty_typeEEEZNS1_10merge_implIS3_NS0_12zip_iteratorINS5_IJN6thrust23THRUST_200600_302600_NS6detail15normal_iteratorINSC_10device_ptrIKdEEEESI_EEEEESK_NSA_INS5_IJNSE_INSF_IdEEEESM_EEEEEPS7_SP_SP_NSC_11hip_rocprim7__merge17predicate_wrapperIddNSC_7greaterIdEEEEEE10hipError_tPvRmT0_T1_T2_T3_T4_T5_mmT6_P12ihipStream_tbEUlT_E_NS1_11comp_targetILNS1_3genE0ELNS1_11target_archE4294967295ELNS1_3gpuE0ELNS1_3repE0EEENS1_30default_config_static_selectorELNS0_4arch9wavefront6targetE0EEEvS10_.numbered_sgpr, 0
	.set _ZN7rocprim17ROCPRIM_400000_NS6detail17trampoline_kernelINS0_14default_configENS1_21merge_config_selectorINS0_5tupleIJddEEENS0_10empty_typeEEEZNS1_10merge_implIS3_NS0_12zip_iteratorINS5_IJN6thrust23THRUST_200600_302600_NS6detail15normal_iteratorINSC_10device_ptrIKdEEEESI_EEEEESK_NSA_INS5_IJNSE_INSF_IdEEEESM_EEEEEPS7_SP_SP_NSC_11hip_rocprim7__merge17predicate_wrapperIddNSC_7greaterIdEEEEEE10hipError_tPvRmT0_T1_T2_T3_T4_T5_mmT6_P12ihipStream_tbEUlT_E_NS1_11comp_targetILNS1_3genE0ELNS1_11target_archE4294967295ELNS1_3gpuE0ELNS1_3repE0EEENS1_30default_config_static_selectorELNS0_4arch9wavefront6targetE0EEEvS10_.num_named_barrier, 0
	.set _ZN7rocprim17ROCPRIM_400000_NS6detail17trampoline_kernelINS0_14default_configENS1_21merge_config_selectorINS0_5tupleIJddEEENS0_10empty_typeEEEZNS1_10merge_implIS3_NS0_12zip_iteratorINS5_IJN6thrust23THRUST_200600_302600_NS6detail15normal_iteratorINSC_10device_ptrIKdEEEESI_EEEEESK_NSA_INS5_IJNSE_INSF_IdEEEESM_EEEEEPS7_SP_SP_NSC_11hip_rocprim7__merge17predicate_wrapperIddNSC_7greaterIdEEEEEE10hipError_tPvRmT0_T1_T2_T3_T4_T5_mmT6_P12ihipStream_tbEUlT_E_NS1_11comp_targetILNS1_3genE0ELNS1_11target_archE4294967295ELNS1_3gpuE0ELNS1_3repE0EEENS1_30default_config_static_selectorELNS0_4arch9wavefront6targetE0EEEvS10_.private_seg_size, 0
	.set _ZN7rocprim17ROCPRIM_400000_NS6detail17trampoline_kernelINS0_14default_configENS1_21merge_config_selectorINS0_5tupleIJddEEENS0_10empty_typeEEEZNS1_10merge_implIS3_NS0_12zip_iteratorINS5_IJN6thrust23THRUST_200600_302600_NS6detail15normal_iteratorINSC_10device_ptrIKdEEEESI_EEEEESK_NSA_INS5_IJNSE_INSF_IdEEEESM_EEEEEPS7_SP_SP_NSC_11hip_rocprim7__merge17predicate_wrapperIddNSC_7greaterIdEEEEEE10hipError_tPvRmT0_T1_T2_T3_T4_T5_mmT6_P12ihipStream_tbEUlT_E_NS1_11comp_targetILNS1_3genE0ELNS1_11target_archE4294967295ELNS1_3gpuE0ELNS1_3repE0EEENS1_30default_config_static_selectorELNS0_4arch9wavefront6targetE0EEEvS10_.uses_vcc, 0
	.set _ZN7rocprim17ROCPRIM_400000_NS6detail17trampoline_kernelINS0_14default_configENS1_21merge_config_selectorINS0_5tupleIJddEEENS0_10empty_typeEEEZNS1_10merge_implIS3_NS0_12zip_iteratorINS5_IJN6thrust23THRUST_200600_302600_NS6detail15normal_iteratorINSC_10device_ptrIKdEEEESI_EEEEESK_NSA_INS5_IJNSE_INSF_IdEEEESM_EEEEEPS7_SP_SP_NSC_11hip_rocprim7__merge17predicate_wrapperIddNSC_7greaterIdEEEEEE10hipError_tPvRmT0_T1_T2_T3_T4_T5_mmT6_P12ihipStream_tbEUlT_E_NS1_11comp_targetILNS1_3genE0ELNS1_11target_archE4294967295ELNS1_3gpuE0ELNS1_3repE0EEENS1_30default_config_static_selectorELNS0_4arch9wavefront6targetE0EEEvS10_.uses_flat_scratch, 0
	.set _ZN7rocprim17ROCPRIM_400000_NS6detail17trampoline_kernelINS0_14default_configENS1_21merge_config_selectorINS0_5tupleIJddEEENS0_10empty_typeEEEZNS1_10merge_implIS3_NS0_12zip_iteratorINS5_IJN6thrust23THRUST_200600_302600_NS6detail15normal_iteratorINSC_10device_ptrIKdEEEESI_EEEEESK_NSA_INS5_IJNSE_INSF_IdEEEESM_EEEEEPS7_SP_SP_NSC_11hip_rocprim7__merge17predicate_wrapperIddNSC_7greaterIdEEEEEE10hipError_tPvRmT0_T1_T2_T3_T4_T5_mmT6_P12ihipStream_tbEUlT_E_NS1_11comp_targetILNS1_3genE0ELNS1_11target_archE4294967295ELNS1_3gpuE0ELNS1_3repE0EEENS1_30default_config_static_selectorELNS0_4arch9wavefront6targetE0EEEvS10_.has_dyn_sized_stack, 0
	.set _ZN7rocprim17ROCPRIM_400000_NS6detail17trampoline_kernelINS0_14default_configENS1_21merge_config_selectorINS0_5tupleIJddEEENS0_10empty_typeEEEZNS1_10merge_implIS3_NS0_12zip_iteratorINS5_IJN6thrust23THRUST_200600_302600_NS6detail15normal_iteratorINSC_10device_ptrIKdEEEESI_EEEEESK_NSA_INS5_IJNSE_INSF_IdEEEESM_EEEEEPS7_SP_SP_NSC_11hip_rocprim7__merge17predicate_wrapperIddNSC_7greaterIdEEEEEE10hipError_tPvRmT0_T1_T2_T3_T4_T5_mmT6_P12ihipStream_tbEUlT_E_NS1_11comp_targetILNS1_3genE0ELNS1_11target_archE4294967295ELNS1_3gpuE0ELNS1_3repE0EEENS1_30default_config_static_selectorELNS0_4arch9wavefront6targetE0EEEvS10_.has_recursion, 0
	.set _ZN7rocprim17ROCPRIM_400000_NS6detail17trampoline_kernelINS0_14default_configENS1_21merge_config_selectorINS0_5tupleIJddEEENS0_10empty_typeEEEZNS1_10merge_implIS3_NS0_12zip_iteratorINS5_IJN6thrust23THRUST_200600_302600_NS6detail15normal_iteratorINSC_10device_ptrIKdEEEESI_EEEEESK_NSA_INS5_IJNSE_INSF_IdEEEESM_EEEEEPS7_SP_SP_NSC_11hip_rocprim7__merge17predicate_wrapperIddNSC_7greaterIdEEEEEE10hipError_tPvRmT0_T1_T2_T3_T4_T5_mmT6_P12ihipStream_tbEUlT_E_NS1_11comp_targetILNS1_3genE0ELNS1_11target_archE4294967295ELNS1_3gpuE0ELNS1_3repE0EEENS1_30default_config_static_selectorELNS0_4arch9wavefront6targetE0EEEvS10_.has_indirect_call, 0
	.section	.AMDGPU.csdata,"",@progbits
; Kernel info:
; codeLenInByte = 0
; TotalNumSgprs: 0
; NumVgprs: 0
; ScratchSize: 0
; MemoryBound: 0
; FloatMode: 240
; IeeeMode: 1
; LDSByteSize: 0 bytes/workgroup (compile time only)
; SGPRBlocks: 0
; VGPRBlocks: 0
; NumSGPRsForWavesPerEU: 1
; NumVGPRsForWavesPerEU: 1
; Occupancy: 16
; WaveLimiterHint : 0
; COMPUTE_PGM_RSRC2:SCRATCH_EN: 0
; COMPUTE_PGM_RSRC2:USER_SGPR: 6
; COMPUTE_PGM_RSRC2:TRAP_HANDLER: 0
; COMPUTE_PGM_RSRC2:TGID_X_EN: 1
; COMPUTE_PGM_RSRC2:TGID_Y_EN: 0
; COMPUTE_PGM_RSRC2:TGID_Z_EN: 0
; COMPUTE_PGM_RSRC2:TIDIG_COMP_CNT: 0
	.section	.text._ZN7rocprim17ROCPRIM_400000_NS6detail17trampoline_kernelINS0_14default_configENS1_21merge_config_selectorINS0_5tupleIJddEEENS0_10empty_typeEEEZNS1_10merge_implIS3_NS0_12zip_iteratorINS5_IJN6thrust23THRUST_200600_302600_NS6detail15normal_iteratorINSC_10device_ptrIKdEEEESI_EEEEESK_NSA_INS5_IJNSE_INSF_IdEEEESM_EEEEEPS7_SP_SP_NSC_11hip_rocprim7__merge17predicate_wrapperIddNSC_7greaterIdEEEEEE10hipError_tPvRmT0_T1_T2_T3_T4_T5_mmT6_P12ihipStream_tbEUlT_E_NS1_11comp_targetILNS1_3genE5ELNS1_11target_archE942ELNS1_3gpuE9ELNS1_3repE0EEENS1_30default_config_static_selectorELNS0_4arch9wavefront6targetE0EEEvS10_,"axG",@progbits,_ZN7rocprim17ROCPRIM_400000_NS6detail17trampoline_kernelINS0_14default_configENS1_21merge_config_selectorINS0_5tupleIJddEEENS0_10empty_typeEEEZNS1_10merge_implIS3_NS0_12zip_iteratorINS5_IJN6thrust23THRUST_200600_302600_NS6detail15normal_iteratorINSC_10device_ptrIKdEEEESI_EEEEESK_NSA_INS5_IJNSE_INSF_IdEEEESM_EEEEEPS7_SP_SP_NSC_11hip_rocprim7__merge17predicate_wrapperIddNSC_7greaterIdEEEEEE10hipError_tPvRmT0_T1_T2_T3_T4_T5_mmT6_P12ihipStream_tbEUlT_E_NS1_11comp_targetILNS1_3genE5ELNS1_11target_archE942ELNS1_3gpuE9ELNS1_3repE0EEENS1_30default_config_static_selectorELNS0_4arch9wavefront6targetE0EEEvS10_,comdat
	.protected	_ZN7rocprim17ROCPRIM_400000_NS6detail17trampoline_kernelINS0_14default_configENS1_21merge_config_selectorINS0_5tupleIJddEEENS0_10empty_typeEEEZNS1_10merge_implIS3_NS0_12zip_iteratorINS5_IJN6thrust23THRUST_200600_302600_NS6detail15normal_iteratorINSC_10device_ptrIKdEEEESI_EEEEESK_NSA_INS5_IJNSE_INSF_IdEEEESM_EEEEEPS7_SP_SP_NSC_11hip_rocprim7__merge17predicate_wrapperIddNSC_7greaterIdEEEEEE10hipError_tPvRmT0_T1_T2_T3_T4_T5_mmT6_P12ihipStream_tbEUlT_E_NS1_11comp_targetILNS1_3genE5ELNS1_11target_archE942ELNS1_3gpuE9ELNS1_3repE0EEENS1_30default_config_static_selectorELNS0_4arch9wavefront6targetE0EEEvS10_ ; -- Begin function _ZN7rocprim17ROCPRIM_400000_NS6detail17trampoline_kernelINS0_14default_configENS1_21merge_config_selectorINS0_5tupleIJddEEENS0_10empty_typeEEEZNS1_10merge_implIS3_NS0_12zip_iteratorINS5_IJN6thrust23THRUST_200600_302600_NS6detail15normal_iteratorINSC_10device_ptrIKdEEEESI_EEEEESK_NSA_INS5_IJNSE_INSF_IdEEEESM_EEEEEPS7_SP_SP_NSC_11hip_rocprim7__merge17predicate_wrapperIddNSC_7greaterIdEEEEEE10hipError_tPvRmT0_T1_T2_T3_T4_T5_mmT6_P12ihipStream_tbEUlT_E_NS1_11comp_targetILNS1_3genE5ELNS1_11target_archE942ELNS1_3gpuE9ELNS1_3repE0EEENS1_30default_config_static_selectorELNS0_4arch9wavefront6targetE0EEEvS10_
	.globl	_ZN7rocprim17ROCPRIM_400000_NS6detail17trampoline_kernelINS0_14default_configENS1_21merge_config_selectorINS0_5tupleIJddEEENS0_10empty_typeEEEZNS1_10merge_implIS3_NS0_12zip_iteratorINS5_IJN6thrust23THRUST_200600_302600_NS6detail15normal_iteratorINSC_10device_ptrIKdEEEESI_EEEEESK_NSA_INS5_IJNSE_INSF_IdEEEESM_EEEEEPS7_SP_SP_NSC_11hip_rocprim7__merge17predicate_wrapperIddNSC_7greaterIdEEEEEE10hipError_tPvRmT0_T1_T2_T3_T4_T5_mmT6_P12ihipStream_tbEUlT_E_NS1_11comp_targetILNS1_3genE5ELNS1_11target_archE942ELNS1_3gpuE9ELNS1_3repE0EEENS1_30default_config_static_selectorELNS0_4arch9wavefront6targetE0EEEvS10_
	.p2align	8
	.type	_ZN7rocprim17ROCPRIM_400000_NS6detail17trampoline_kernelINS0_14default_configENS1_21merge_config_selectorINS0_5tupleIJddEEENS0_10empty_typeEEEZNS1_10merge_implIS3_NS0_12zip_iteratorINS5_IJN6thrust23THRUST_200600_302600_NS6detail15normal_iteratorINSC_10device_ptrIKdEEEESI_EEEEESK_NSA_INS5_IJNSE_INSF_IdEEEESM_EEEEEPS7_SP_SP_NSC_11hip_rocprim7__merge17predicate_wrapperIddNSC_7greaterIdEEEEEE10hipError_tPvRmT0_T1_T2_T3_T4_T5_mmT6_P12ihipStream_tbEUlT_E_NS1_11comp_targetILNS1_3genE5ELNS1_11target_archE942ELNS1_3gpuE9ELNS1_3repE0EEENS1_30default_config_static_selectorELNS0_4arch9wavefront6targetE0EEEvS10_,@function
_ZN7rocprim17ROCPRIM_400000_NS6detail17trampoline_kernelINS0_14default_configENS1_21merge_config_selectorINS0_5tupleIJddEEENS0_10empty_typeEEEZNS1_10merge_implIS3_NS0_12zip_iteratorINS5_IJN6thrust23THRUST_200600_302600_NS6detail15normal_iteratorINSC_10device_ptrIKdEEEESI_EEEEESK_NSA_INS5_IJNSE_INSF_IdEEEESM_EEEEEPS7_SP_SP_NSC_11hip_rocprim7__merge17predicate_wrapperIddNSC_7greaterIdEEEEEE10hipError_tPvRmT0_T1_T2_T3_T4_T5_mmT6_P12ihipStream_tbEUlT_E_NS1_11comp_targetILNS1_3genE5ELNS1_11target_archE942ELNS1_3gpuE9ELNS1_3repE0EEENS1_30default_config_static_selectorELNS0_4arch9wavefront6targetE0EEEvS10_: ; @_ZN7rocprim17ROCPRIM_400000_NS6detail17trampoline_kernelINS0_14default_configENS1_21merge_config_selectorINS0_5tupleIJddEEENS0_10empty_typeEEEZNS1_10merge_implIS3_NS0_12zip_iteratorINS5_IJN6thrust23THRUST_200600_302600_NS6detail15normal_iteratorINSC_10device_ptrIKdEEEESI_EEEEESK_NSA_INS5_IJNSE_INSF_IdEEEESM_EEEEEPS7_SP_SP_NSC_11hip_rocprim7__merge17predicate_wrapperIddNSC_7greaterIdEEEEEE10hipError_tPvRmT0_T1_T2_T3_T4_T5_mmT6_P12ihipStream_tbEUlT_E_NS1_11comp_targetILNS1_3genE5ELNS1_11target_archE942ELNS1_3gpuE9ELNS1_3repE0EEENS1_30default_config_static_selectorELNS0_4arch9wavefront6targetE0EEEvS10_
; %bb.0:
	.section	.rodata,"a",@progbits
	.p2align	6, 0x0
	.amdhsa_kernel _ZN7rocprim17ROCPRIM_400000_NS6detail17trampoline_kernelINS0_14default_configENS1_21merge_config_selectorINS0_5tupleIJddEEENS0_10empty_typeEEEZNS1_10merge_implIS3_NS0_12zip_iteratorINS5_IJN6thrust23THRUST_200600_302600_NS6detail15normal_iteratorINSC_10device_ptrIKdEEEESI_EEEEESK_NSA_INS5_IJNSE_INSF_IdEEEESM_EEEEEPS7_SP_SP_NSC_11hip_rocprim7__merge17predicate_wrapperIddNSC_7greaterIdEEEEEE10hipError_tPvRmT0_T1_T2_T3_T4_T5_mmT6_P12ihipStream_tbEUlT_E_NS1_11comp_targetILNS1_3genE5ELNS1_11target_archE942ELNS1_3gpuE9ELNS1_3repE0EEENS1_30default_config_static_selectorELNS0_4arch9wavefront6targetE0EEEvS10_
		.amdhsa_group_segment_fixed_size 0
		.amdhsa_private_segment_fixed_size 0
		.amdhsa_kernarg_size 64
		.amdhsa_user_sgpr_count 6
		.amdhsa_user_sgpr_private_segment_buffer 1
		.amdhsa_user_sgpr_dispatch_ptr 0
		.amdhsa_user_sgpr_queue_ptr 0
		.amdhsa_user_sgpr_kernarg_segment_ptr 1
		.amdhsa_user_sgpr_dispatch_id 0
		.amdhsa_user_sgpr_flat_scratch_init 0
		.amdhsa_user_sgpr_private_segment_size 0
		.amdhsa_wavefront_size32 1
		.amdhsa_uses_dynamic_stack 0
		.amdhsa_system_sgpr_private_segment_wavefront_offset 0
		.amdhsa_system_sgpr_workgroup_id_x 1
		.amdhsa_system_sgpr_workgroup_id_y 0
		.amdhsa_system_sgpr_workgroup_id_z 0
		.amdhsa_system_sgpr_workgroup_info 0
		.amdhsa_system_vgpr_workitem_id 0
		.amdhsa_next_free_vgpr 1
		.amdhsa_next_free_sgpr 1
		.amdhsa_reserve_vcc 0
		.amdhsa_reserve_flat_scratch 0
		.amdhsa_float_round_mode_32 0
		.amdhsa_float_round_mode_16_64 0
		.amdhsa_float_denorm_mode_32 3
		.amdhsa_float_denorm_mode_16_64 3
		.amdhsa_dx10_clamp 1
		.amdhsa_ieee_mode 1
		.amdhsa_fp16_overflow 0
		.amdhsa_workgroup_processor_mode 1
		.amdhsa_memory_ordered 1
		.amdhsa_forward_progress 1
		.amdhsa_shared_vgpr_count 0
		.amdhsa_exception_fp_ieee_invalid_op 0
		.amdhsa_exception_fp_denorm_src 0
		.amdhsa_exception_fp_ieee_div_zero 0
		.amdhsa_exception_fp_ieee_overflow 0
		.amdhsa_exception_fp_ieee_underflow 0
		.amdhsa_exception_fp_ieee_inexact 0
		.amdhsa_exception_int_div_zero 0
	.end_amdhsa_kernel
	.section	.text._ZN7rocprim17ROCPRIM_400000_NS6detail17trampoline_kernelINS0_14default_configENS1_21merge_config_selectorINS0_5tupleIJddEEENS0_10empty_typeEEEZNS1_10merge_implIS3_NS0_12zip_iteratorINS5_IJN6thrust23THRUST_200600_302600_NS6detail15normal_iteratorINSC_10device_ptrIKdEEEESI_EEEEESK_NSA_INS5_IJNSE_INSF_IdEEEESM_EEEEEPS7_SP_SP_NSC_11hip_rocprim7__merge17predicate_wrapperIddNSC_7greaterIdEEEEEE10hipError_tPvRmT0_T1_T2_T3_T4_T5_mmT6_P12ihipStream_tbEUlT_E_NS1_11comp_targetILNS1_3genE5ELNS1_11target_archE942ELNS1_3gpuE9ELNS1_3repE0EEENS1_30default_config_static_selectorELNS0_4arch9wavefront6targetE0EEEvS10_,"axG",@progbits,_ZN7rocprim17ROCPRIM_400000_NS6detail17trampoline_kernelINS0_14default_configENS1_21merge_config_selectorINS0_5tupleIJddEEENS0_10empty_typeEEEZNS1_10merge_implIS3_NS0_12zip_iteratorINS5_IJN6thrust23THRUST_200600_302600_NS6detail15normal_iteratorINSC_10device_ptrIKdEEEESI_EEEEESK_NSA_INS5_IJNSE_INSF_IdEEEESM_EEEEEPS7_SP_SP_NSC_11hip_rocprim7__merge17predicate_wrapperIddNSC_7greaterIdEEEEEE10hipError_tPvRmT0_T1_T2_T3_T4_T5_mmT6_P12ihipStream_tbEUlT_E_NS1_11comp_targetILNS1_3genE5ELNS1_11target_archE942ELNS1_3gpuE9ELNS1_3repE0EEENS1_30default_config_static_selectorELNS0_4arch9wavefront6targetE0EEEvS10_,comdat
.Lfunc_end318:
	.size	_ZN7rocprim17ROCPRIM_400000_NS6detail17trampoline_kernelINS0_14default_configENS1_21merge_config_selectorINS0_5tupleIJddEEENS0_10empty_typeEEEZNS1_10merge_implIS3_NS0_12zip_iteratorINS5_IJN6thrust23THRUST_200600_302600_NS6detail15normal_iteratorINSC_10device_ptrIKdEEEESI_EEEEESK_NSA_INS5_IJNSE_INSF_IdEEEESM_EEEEEPS7_SP_SP_NSC_11hip_rocprim7__merge17predicate_wrapperIddNSC_7greaterIdEEEEEE10hipError_tPvRmT0_T1_T2_T3_T4_T5_mmT6_P12ihipStream_tbEUlT_E_NS1_11comp_targetILNS1_3genE5ELNS1_11target_archE942ELNS1_3gpuE9ELNS1_3repE0EEENS1_30default_config_static_selectorELNS0_4arch9wavefront6targetE0EEEvS10_, .Lfunc_end318-_ZN7rocprim17ROCPRIM_400000_NS6detail17trampoline_kernelINS0_14default_configENS1_21merge_config_selectorINS0_5tupleIJddEEENS0_10empty_typeEEEZNS1_10merge_implIS3_NS0_12zip_iteratorINS5_IJN6thrust23THRUST_200600_302600_NS6detail15normal_iteratorINSC_10device_ptrIKdEEEESI_EEEEESK_NSA_INS5_IJNSE_INSF_IdEEEESM_EEEEEPS7_SP_SP_NSC_11hip_rocprim7__merge17predicate_wrapperIddNSC_7greaterIdEEEEEE10hipError_tPvRmT0_T1_T2_T3_T4_T5_mmT6_P12ihipStream_tbEUlT_E_NS1_11comp_targetILNS1_3genE5ELNS1_11target_archE942ELNS1_3gpuE9ELNS1_3repE0EEENS1_30default_config_static_selectorELNS0_4arch9wavefront6targetE0EEEvS10_
                                        ; -- End function
	.set _ZN7rocprim17ROCPRIM_400000_NS6detail17trampoline_kernelINS0_14default_configENS1_21merge_config_selectorINS0_5tupleIJddEEENS0_10empty_typeEEEZNS1_10merge_implIS3_NS0_12zip_iteratorINS5_IJN6thrust23THRUST_200600_302600_NS6detail15normal_iteratorINSC_10device_ptrIKdEEEESI_EEEEESK_NSA_INS5_IJNSE_INSF_IdEEEESM_EEEEEPS7_SP_SP_NSC_11hip_rocprim7__merge17predicate_wrapperIddNSC_7greaterIdEEEEEE10hipError_tPvRmT0_T1_T2_T3_T4_T5_mmT6_P12ihipStream_tbEUlT_E_NS1_11comp_targetILNS1_3genE5ELNS1_11target_archE942ELNS1_3gpuE9ELNS1_3repE0EEENS1_30default_config_static_selectorELNS0_4arch9wavefront6targetE0EEEvS10_.num_vgpr, 0
	.set _ZN7rocprim17ROCPRIM_400000_NS6detail17trampoline_kernelINS0_14default_configENS1_21merge_config_selectorINS0_5tupleIJddEEENS0_10empty_typeEEEZNS1_10merge_implIS3_NS0_12zip_iteratorINS5_IJN6thrust23THRUST_200600_302600_NS6detail15normal_iteratorINSC_10device_ptrIKdEEEESI_EEEEESK_NSA_INS5_IJNSE_INSF_IdEEEESM_EEEEEPS7_SP_SP_NSC_11hip_rocprim7__merge17predicate_wrapperIddNSC_7greaterIdEEEEEE10hipError_tPvRmT0_T1_T2_T3_T4_T5_mmT6_P12ihipStream_tbEUlT_E_NS1_11comp_targetILNS1_3genE5ELNS1_11target_archE942ELNS1_3gpuE9ELNS1_3repE0EEENS1_30default_config_static_selectorELNS0_4arch9wavefront6targetE0EEEvS10_.num_agpr, 0
	.set _ZN7rocprim17ROCPRIM_400000_NS6detail17trampoline_kernelINS0_14default_configENS1_21merge_config_selectorINS0_5tupleIJddEEENS0_10empty_typeEEEZNS1_10merge_implIS3_NS0_12zip_iteratorINS5_IJN6thrust23THRUST_200600_302600_NS6detail15normal_iteratorINSC_10device_ptrIKdEEEESI_EEEEESK_NSA_INS5_IJNSE_INSF_IdEEEESM_EEEEEPS7_SP_SP_NSC_11hip_rocprim7__merge17predicate_wrapperIddNSC_7greaterIdEEEEEE10hipError_tPvRmT0_T1_T2_T3_T4_T5_mmT6_P12ihipStream_tbEUlT_E_NS1_11comp_targetILNS1_3genE5ELNS1_11target_archE942ELNS1_3gpuE9ELNS1_3repE0EEENS1_30default_config_static_selectorELNS0_4arch9wavefront6targetE0EEEvS10_.numbered_sgpr, 0
	.set _ZN7rocprim17ROCPRIM_400000_NS6detail17trampoline_kernelINS0_14default_configENS1_21merge_config_selectorINS0_5tupleIJddEEENS0_10empty_typeEEEZNS1_10merge_implIS3_NS0_12zip_iteratorINS5_IJN6thrust23THRUST_200600_302600_NS6detail15normal_iteratorINSC_10device_ptrIKdEEEESI_EEEEESK_NSA_INS5_IJNSE_INSF_IdEEEESM_EEEEEPS7_SP_SP_NSC_11hip_rocprim7__merge17predicate_wrapperIddNSC_7greaterIdEEEEEE10hipError_tPvRmT0_T1_T2_T3_T4_T5_mmT6_P12ihipStream_tbEUlT_E_NS1_11comp_targetILNS1_3genE5ELNS1_11target_archE942ELNS1_3gpuE9ELNS1_3repE0EEENS1_30default_config_static_selectorELNS0_4arch9wavefront6targetE0EEEvS10_.num_named_barrier, 0
	.set _ZN7rocprim17ROCPRIM_400000_NS6detail17trampoline_kernelINS0_14default_configENS1_21merge_config_selectorINS0_5tupleIJddEEENS0_10empty_typeEEEZNS1_10merge_implIS3_NS0_12zip_iteratorINS5_IJN6thrust23THRUST_200600_302600_NS6detail15normal_iteratorINSC_10device_ptrIKdEEEESI_EEEEESK_NSA_INS5_IJNSE_INSF_IdEEEESM_EEEEEPS7_SP_SP_NSC_11hip_rocprim7__merge17predicate_wrapperIddNSC_7greaterIdEEEEEE10hipError_tPvRmT0_T1_T2_T3_T4_T5_mmT6_P12ihipStream_tbEUlT_E_NS1_11comp_targetILNS1_3genE5ELNS1_11target_archE942ELNS1_3gpuE9ELNS1_3repE0EEENS1_30default_config_static_selectorELNS0_4arch9wavefront6targetE0EEEvS10_.private_seg_size, 0
	.set _ZN7rocprim17ROCPRIM_400000_NS6detail17trampoline_kernelINS0_14default_configENS1_21merge_config_selectorINS0_5tupleIJddEEENS0_10empty_typeEEEZNS1_10merge_implIS3_NS0_12zip_iteratorINS5_IJN6thrust23THRUST_200600_302600_NS6detail15normal_iteratorINSC_10device_ptrIKdEEEESI_EEEEESK_NSA_INS5_IJNSE_INSF_IdEEEESM_EEEEEPS7_SP_SP_NSC_11hip_rocprim7__merge17predicate_wrapperIddNSC_7greaterIdEEEEEE10hipError_tPvRmT0_T1_T2_T3_T4_T5_mmT6_P12ihipStream_tbEUlT_E_NS1_11comp_targetILNS1_3genE5ELNS1_11target_archE942ELNS1_3gpuE9ELNS1_3repE0EEENS1_30default_config_static_selectorELNS0_4arch9wavefront6targetE0EEEvS10_.uses_vcc, 0
	.set _ZN7rocprim17ROCPRIM_400000_NS6detail17trampoline_kernelINS0_14default_configENS1_21merge_config_selectorINS0_5tupleIJddEEENS0_10empty_typeEEEZNS1_10merge_implIS3_NS0_12zip_iteratorINS5_IJN6thrust23THRUST_200600_302600_NS6detail15normal_iteratorINSC_10device_ptrIKdEEEESI_EEEEESK_NSA_INS5_IJNSE_INSF_IdEEEESM_EEEEEPS7_SP_SP_NSC_11hip_rocprim7__merge17predicate_wrapperIddNSC_7greaterIdEEEEEE10hipError_tPvRmT0_T1_T2_T3_T4_T5_mmT6_P12ihipStream_tbEUlT_E_NS1_11comp_targetILNS1_3genE5ELNS1_11target_archE942ELNS1_3gpuE9ELNS1_3repE0EEENS1_30default_config_static_selectorELNS0_4arch9wavefront6targetE0EEEvS10_.uses_flat_scratch, 0
	.set _ZN7rocprim17ROCPRIM_400000_NS6detail17trampoline_kernelINS0_14default_configENS1_21merge_config_selectorINS0_5tupleIJddEEENS0_10empty_typeEEEZNS1_10merge_implIS3_NS0_12zip_iteratorINS5_IJN6thrust23THRUST_200600_302600_NS6detail15normal_iteratorINSC_10device_ptrIKdEEEESI_EEEEESK_NSA_INS5_IJNSE_INSF_IdEEEESM_EEEEEPS7_SP_SP_NSC_11hip_rocprim7__merge17predicate_wrapperIddNSC_7greaterIdEEEEEE10hipError_tPvRmT0_T1_T2_T3_T4_T5_mmT6_P12ihipStream_tbEUlT_E_NS1_11comp_targetILNS1_3genE5ELNS1_11target_archE942ELNS1_3gpuE9ELNS1_3repE0EEENS1_30default_config_static_selectorELNS0_4arch9wavefront6targetE0EEEvS10_.has_dyn_sized_stack, 0
	.set _ZN7rocprim17ROCPRIM_400000_NS6detail17trampoline_kernelINS0_14default_configENS1_21merge_config_selectorINS0_5tupleIJddEEENS0_10empty_typeEEEZNS1_10merge_implIS3_NS0_12zip_iteratorINS5_IJN6thrust23THRUST_200600_302600_NS6detail15normal_iteratorINSC_10device_ptrIKdEEEESI_EEEEESK_NSA_INS5_IJNSE_INSF_IdEEEESM_EEEEEPS7_SP_SP_NSC_11hip_rocprim7__merge17predicate_wrapperIddNSC_7greaterIdEEEEEE10hipError_tPvRmT0_T1_T2_T3_T4_T5_mmT6_P12ihipStream_tbEUlT_E_NS1_11comp_targetILNS1_3genE5ELNS1_11target_archE942ELNS1_3gpuE9ELNS1_3repE0EEENS1_30default_config_static_selectorELNS0_4arch9wavefront6targetE0EEEvS10_.has_recursion, 0
	.set _ZN7rocprim17ROCPRIM_400000_NS6detail17trampoline_kernelINS0_14default_configENS1_21merge_config_selectorINS0_5tupleIJddEEENS0_10empty_typeEEEZNS1_10merge_implIS3_NS0_12zip_iteratorINS5_IJN6thrust23THRUST_200600_302600_NS6detail15normal_iteratorINSC_10device_ptrIKdEEEESI_EEEEESK_NSA_INS5_IJNSE_INSF_IdEEEESM_EEEEEPS7_SP_SP_NSC_11hip_rocprim7__merge17predicate_wrapperIddNSC_7greaterIdEEEEEE10hipError_tPvRmT0_T1_T2_T3_T4_T5_mmT6_P12ihipStream_tbEUlT_E_NS1_11comp_targetILNS1_3genE5ELNS1_11target_archE942ELNS1_3gpuE9ELNS1_3repE0EEENS1_30default_config_static_selectorELNS0_4arch9wavefront6targetE0EEEvS10_.has_indirect_call, 0
	.section	.AMDGPU.csdata,"",@progbits
; Kernel info:
; codeLenInByte = 0
; TotalNumSgprs: 0
; NumVgprs: 0
; ScratchSize: 0
; MemoryBound: 0
; FloatMode: 240
; IeeeMode: 1
; LDSByteSize: 0 bytes/workgroup (compile time only)
; SGPRBlocks: 0
; VGPRBlocks: 0
; NumSGPRsForWavesPerEU: 1
; NumVGPRsForWavesPerEU: 1
; Occupancy: 16
; WaveLimiterHint : 0
; COMPUTE_PGM_RSRC2:SCRATCH_EN: 0
; COMPUTE_PGM_RSRC2:USER_SGPR: 6
; COMPUTE_PGM_RSRC2:TRAP_HANDLER: 0
; COMPUTE_PGM_RSRC2:TGID_X_EN: 1
; COMPUTE_PGM_RSRC2:TGID_Y_EN: 0
; COMPUTE_PGM_RSRC2:TGID_Z_EN: 0
; COMPUTE_PGM_RSRC2:TIDIG_COMP_CNT: 0
	.section	.text._ZN7rocprim17ROCPRIM_400000_NS6detail17trampoline_kernelINS0_14default_configENS1_21merge_config_selectorINS0_5tupleIJddEEENS0_10empty_typeEEEZNS1_10merge_implIS3_NS0_12zip_iteratorINS5_IJN6thrust23THRUST_200600_302600_NS6detail15normal_iteratorINSC_10device_ptrIKdEEEESI_EEEEESK_NSA_INS5_IJNSE_INSF_IdEEEESM_EEEEEPS7_SP_SP_NSC_11hip_rocprim7__merge17predicate_wrapperIddNSC_7greaterIdEEEEEE10hipError_tPvRmT0_T1_T2_T3_T4_T5_mmT6_P12ihipStream_tbEUlT_E_NS1_11comp_targetILNS1_3genE4ELNS1_11target_archE910ELNS1_3gpuE8ELNS1_3repE0EEENS1_30default_config_static_selectorELNS0_4arch9wavefront6targetE0EEEvS10_,"axG",@progbits,_ZN7rocprim17ROCPRIM_400000_NS6detail17trampoline_kernelINS0_14default_configENS1_21merge_config_selectorINS0_5tupleIJddEEENS0_10empty_typeEEEZNS1_10merge_implIS3_NS0_12zip_iteratorINS5_IJN6thrust23THRUST_200600_302600_NS6detail15normal_iteratorINSC_10device_ptrIKdEEEESI_EEEEESK_NSA_INS5_IJNSE_INSF_IdEEEESM_EEEEEPS7_SP_SP_NSC_11hip_rocprim7__merge17predicate_wrapperIddNSC_7greaterIdEEEEEE10hipError_tPvRmT0_T1_T2_T3_T4_T5_mmT6_P12ihipStream_tbEUlT_E_NS1_11comp_targetILNS1_3genE4ELNS1_11target_archE910ELNS1_3gpuE8ELNS1_3repE0EEENS1_30default_config_static_selectorELNS0_4arch9wavefront6targetE0EEEvS10_,comdat
	.protected	_ZN7rocprim17ROCPRIM_400000_NS6detail17trampoline_kernelINS0_14default_configENS1_21merge_config_selectorINS0_5tupleIJddEEENS0_10empty_typeEEEZNS1_10merge_implIS3_NS0_12zip_iteratorINS5_IJN6thrust23THRUST_200600_302600_NS6detail15normal_iteratorINSC_10device_ptrIKdEEEESI_EEEEESK_NSA_INS5_IJNSE_INSF_IdEEEESM_EEEEEPS7_SP_SP_NSC_11hip_rocprim7__merge17predicate_wrapperIddNSC_7greaterIdEEEEEE10hipError_tPvRmT0_T1_T2_T3_T4_T5_mmT6_P12ihipStream_tbEUlT_E_NS1_11comp_targetILNS1_3genE4ELNS1_11target_archE910ELNS1_3gpuE8ELNS1_3repE0EEENS1_30default_config_static_selectorELNS0_4arch9wavefront6targetE0EEEvS10_ ; -- Begin function _ZN7rocprim17ROCPRIM_400000_NS6detail17trampoline_kernelINS0_14default_configENS1_21merge_config_selectorINS0_5tupleIJddEEENS0_10empty_typeEEEZNS1_10merge_implIS3_NS0_12zip_iteratorINS5_IJN6thrust23THRUST_200600_302600_NS6detail15normal_iteratorINSC_10device_ptrIKdEEEESI_EEEEESK_NSA_INS5_IJNSE_INSF_IdEEEESM_EEEEEPS7_SP_SP_NSC_11hip_rocprim7__merge17predicate_wrapperIddNSC_7greaterIdEEEEEE10hipError_tPvRmT0_T1_T2_T3_T4_T5_mmT6_P12ihipStream_tbEUlT_E_NS1_11comp_targetILNS1_3genE4ELNS1_11target_archE910ELNS1_3gpuE8ELNS1_3repE0EEENS1_30default_config_static_selectorELNS0_4arch9wavefront6targetE0EEEvS10_
	.globl	_ZN7rocprim17ROCPRIM_400000_NS6detail17trampoline_kernelINS0_14default_configENS1_21merge_config_selectorINS0_5tupleIJddEEENS0_10empty_typeEEEZNS1_10merge_implIS3_NS0_12zip_iteratorINS5_IJN6thrust23THRUST_200600_302600_NS6detail15normal_iteratorINSC_10device_ptrIKdEEEESI_EEEEESK_NSA_INS5_IJNSE_INSF_IdEEEESM_EEEEEPS7_SP_SP_NSC_11hip_rocprim7__merge17predicate_wrapperIddNSC_7greaterIdEEEEEE10hipError_tPvRmT0_T1_T2_T3_T4_T5_mmT6_P12ihipStream_tbEUlT_E_NS1_11comp_targetILNS1_3genE4ELNS1_11target_archE910ELNS1_3gpuE8ELNS1_3repE0EEENS1_30default_config_static_selectorELNS0_4arch9wavefront6targetE0EEEvS10_
	.p2align	8
	.type	_ZN7rocprim17ROCPRIM_400000_NS6detail17trampoline_kernelINS0_14default_configENS1_21merge_config_selectorINS0_5tupleIJddEEENS0_10empty_typeEEEZNS1_10merge_implIS3_NS0_12zip_iteratorINS5_IJN6thrust23THRUST_200600_302600_NS6detail15normal_iteratorINSC_10device_ptrIKdEEEESI_EEEEESK_NSA_INS5_IJNSE_INSF_IdEEEESM_EEEEEPS7_SP_SP_NSC_11hip_rocprim7__merge17predicate_wrapperIddNSC_7greaterIdEEEEEE10hipError_tPvRmT0_T1_T2_T3_T4_T5_mmT6_P12ihipStream_tbEUlT_E_NS1_11comp_targetILNS1_3genE4ELNS1_11target_archE910ELNS1_3gpuE8ELNS1_3repE0EEENS1_30default_config_static_selectorELNS0_4arch9wavefront6targetE0EEEvS10_,@function
_ZN7rocprim17ROCPRIM_400000_NS6detail17trampoline_kernelINS0_14default_configENS1_21merge_config_selectorINS0_5tupleIJddEEENS0_10empty_typeEEEZNS1_10merge_implIS3_NS0_12zip_iteratorINS5_IJN6thrust23THRUST_200600_302600_NS6detail15normal_iteratorINSC_10device_ptrIKdEEEESI_EEEEESK_NSA_INS5_IJNSE_INSF_IdEEEESM_EEEEEPS7_SP_SP_NSC_11hip_rocprim7__merge17predicate_wrapperIddNSC_7greaterIdEEEEEE10hipError_tPvRmT0_T1_T2_T3_T4_T5_mmT6_P12ihipStream_tbEUlT_E_NS1_11comp_targetILNS1_3genE4ELNS1_11target_archE910ELNS1_3gpuE8ELNS1_3repE0EEENS1_30default_config_static_selectorELNS0_4arch9wavefront6targetE0EEEvS10_: ; @_ZN7rocprim17ROCPRIM_400000_NS6detail17trampoline_kernelINS0_14default_configENS1_21merge_config_selectorINS0_5tupleIJddEEENS0_10empty_typeEEEZNS1_10merge_implIS3_NS0_12zip_iteratorINS5_IJN6thrust23THRUST_200600_302600_NS6detail15normal_iteratorINSC_10device_ptrIKdEEEESI_EEEEESK_NSA_INS5_IJNSE_INSF_IdEEEESM_EEEEEPS7_SP_SP_NSC_11hip_rocprim7__merge17predicate_wrapperIddNSC_7greaterIdEEEEEE10hipError_tPvRmT0_T1_T2_T3_T4_T5_mmT6_P12ihipStream_tbEUlT_E_NS1_11comp_targetILNS1_3genE4ELNS1_11target_archE910ELNS1_3gpuE8ELNS1_3repE0EEENS1_30default_config_static_selectorELNS0_4arch9wavefront6targetE0EEEvS10_
; %bb.0:
	.section	.rodata,"a",@progbits
	.p2align	6, 0x0
	.amdhsa_kernel _ZN7rocprim17ROCPRIM_400000_NS6detail17trampoline_kernelINS0_14default_configENS1_21merge_config_selectorINS0_5tupleIJddEEENS0_10empty_typeEEEZNS1_10merge_implIS3_NS0_12zip_iteratorINS5_IJN6thrust23THRUST_200600_302600_NS6detail15normal_iteratorINSC_10device_ptrIKdEEEESI_EEEEESK_NSA_INS5_IJNSE_INSF_IdEEEESM_EEEEEPS7_SP_SP_NSC_11hip_rocprim7__merge17predicate_wrapperIddNSC_7greaterIdEEEEEE10hipError_tPvRmT0_T1_T2_T3_T4_T5_mmT6_P12ihipStream_tbEUlT_E_NS1_11comp_targetILNS1_3genE4ELNS1_11target_archE910ELNS1_3gpuE8ELNS1_3repE0EEENS1_30default_config_static_selectorELNS0_4arch9wavefront6targetE0EEEvS10_
		.amdhsa_group_segment_fixed_size 0
		.amdhsa_private_segment_fixed_size 0
		.amdhsa_kernarg_size 64
		.amdhsa_user_sgpr_count 6
		.amdhsa_user_sgpr_private_segment_buffer 1
		.amdhsa_user_sgpr_dispatch_ptr 0
		.amdhsa_user_sgpr_queue_ptr 0
		.amdhsa_user_sgpr_kernarg_segment_ptr 1
		.amdhsa_user_sgpr_dispatch_id 0
		.amdhsa_user_sgpr_flat_scratch_init 0
		.amdhsa_user_sgpr_private_segment_size 0
		.amdhsa_wavefront_size32 1
		.amdhsa_uses_dynamic_stack 0
		.amdhsa_system_sgpr_private_segment_wavefront_offset 0
		.amdhsa_system_sgpr_workgroup_id_x 1
		.amdhsa_system_sgpr_workgroup_id_y 0
		.amdhsa_system_sgpr_workgroup_id_z 0
		.amdhsa_system_sgpr_workgroup_info 0
		.amdhsa_system_vgpr_workitem_id 0
		.amdhsa_next_free_vgpr 1
		.amdhsa_next_free_sgpr 1
		.amdhsa_reserve_vcc 0
		.amdhsa_reserve_flat_scratch 0
		.amdhsa_float_round_mode_32 0
		.amdhsa_float_round_mode_16_64 0
		.amdhsa_float_denorm_mode_32 3
		.amdhsa_float_denorm_mode_16_64 3
		.amdhsa_dx10_clamp 1
		.amdhsa_ieee_mode 1
		.amdhsa_fp16_overflow 0
		.amdhsa_workgroup_processor_mode 1
		.amdhsa_memory_ordered 1
		.amdhsa_forward_progress 1
		.amdhsa_shared_vgpr_count 0
		.amdhsa_exception_fp_ieee_invalid_op 0
		.amdhsa_exception_fp_denorm_src 0
		.amdhsa_exception_fp_ieee_div_zero 0
		.amdhsa_exception_fp_ieee_overflow 0
		.amdhsa_exception_fp_ieee_underflow 0
		.amdhsa_exception_fp_ieee_inexact 0
		.amdhsa_exception_int_div_zero 0
	.end_amdhsa_kernel
	.section	.text._ZN7rocprim17ROCPRIM_400000_NS6detail17trampoline_kernelINS0_14default_configENS1_21merge_config_selectorINS0_5tupleIJddEEENS0_10empty_typeEEEZNS1_10merge_implIS3_NS0_12zip_iteratorINS5_IJN6thrust23THRUST_200600_302600_NS6detail15normal_iteratorINSC_10device_ptrIKdEEEESI_EEEEESK_NSA_INS5_IJNSE_INSF_IdEEEESM_EEEEEPS7_SP_SP_NSC_11hip_rocprim7__merge17predicate_wrapperIddNSC_7greaterIdEEEEEE10hipError_tPvRmT0_T1_T2_T3_T4_T5_mmT6_P12ihipStream_tbEUlT_E_NS1_11comp_targetILNS1_3genE4ELNS1_11target_archE910ELNS1_3gpuE8ELNS1_3repE0EEENS1_30default_config_static_selectorELNS0_4arch9wavefront6targetE0EEEvS10_,"axG",@progbits,_ZN7rocprim17ROCPRIM_400000_NS6detail17trampoline_kernelINS0_14default_configENS1_21merge_config_selectorINS0_5tupleIJddEEENS0_10empty_typeEEEZNS1_10merge_implIS3_NS0_12zip_iteratorINS5_IJN6thrust23THRUST_200600_302600_NS6detail15normal_iteratorINSC_10device_ptrIKdEEEESI_EEEEESK_NSA_INS5_IJNSE_INSF_IdEEEESM_EEEEEPS7_SP_SP_NSC_11hip_rocprim7__merge17predicate_wrapperIddNSC_7greaterIdEEEEEE10hipError_tPvRmT0_T1_T2_T3_T4_T5_mmT6_P12ihipStream_tbEUlT_E_NS1_11comp_targetILNS1_3genE4ELNS1_11target_archE910ELNS1_3gpuE8ELNS1_3repE0EEENS1_30default_config_static_selectorELNS0_4arch9wavefront6targetE0EEEvS10_,comdat
.Lfunc_end319:
	.size	_ZN7rocprim17ROCPRIM_400000_NS6detail17trampoline_kernelINS0_14default_configENS1_21merge_config_selectorINS0_5tupleIJddEEENS0_10empty_typeEEEZNS1_10merge_implIS3_NS0_12zip_iteratorINS5_IJN6thrust23THRUST_200600_302600_NS6detail15normal_iteratorINSC_10device_ptrIKdEEEESI_EEEEESK_NSA_INS5_IJNSE_INSF_IdEEEESM_EEEEEPS7_SP_SP_NSC_11hip_rocprim7__merge17predicate_wrapperIddNSC_7greaterIdEEEEEE10hipError_tPvRmT0_T1_T2_T3_T4_T5_mmT6_P12ihipStream_tbEUlT_E_NS1_11comp_targetILNS1_3genE4ELNS1_11target_archE910ELNS1_3gpuE8ELNS1_3repE0EEENS1_30default_config_static_selectorELNS0_4arch9wavefront6targetE0EEEvS10_, .Lfunc_end319-_ZN7rocprim17ROCPRIM_400000_NS6detail17trampoline_kernelINS0_14default_configENS1_21merge_config_selectorINS0_5tupleIJddEEENS0_10empty_typeEEEZNS1_10merge_implIS3_NS0_12zip_iteratorINS5_IJN6thrust23THRUST_200600_302600_NS6detail15normal_iteratorINSC_10device_ptrIKdEEEESI_EEEEESK_NSA_INS5_IJNSE_INSF_IdEEEESM_EEEEEPS7_SP_SP_NSC_11hip_rocprim7__merge17predicate_wrapperIddNSC_7greaterIdEEEEEE10hipError_tPvRmT0_T1_T2_T3_T4_T5_mmT6_P12ihipStream_tbEUlT_E_NS1_11comp_targetILNS1_3genE4ELNS1_11target_archE910ELNS1_3gpuE8ELNS1_3repE0EEENS1_30default_config_static_selectorELNS0_4arch9wavefront6targetE0EEEvS10_
                                        ; -- End function
	.set _ZN7rocprim17ROCPRIM_400000_NS6detail17trampoline_kernelINS0_14default_configENS1_21merge_config_selectorINS0_5tupleIJddEEENS0_10empty_typeEEEZNS1_10merge_implIS3_NS0_12zip_iteratorINS5_IJN6thrust23THRUST_200600_302600_NS6detail15normal_iteratorINSC_10device_ptrIKdEEEESI_EEEEESK_NSA_INS5_IJNSE_INSF_IdEEEESM_EEEEEPS7_SP_SP_NSC_11hip_rocprim7__merge17predicate_wrapperIddNSC_7greaterIdEEEEEE10hipError_tPvRmT0_T1_T2_T3_T4_T5_mmT6_P12ihipStream_tbEUlT_E_NS1_11comp_targetILNS1_3genE4ELNS1_11target_archE910ELNS1_3gpuE8ELNS1_3repE0EEENS1_30default_config_static_selectorELNS0_4arch9wavefront6targetE0EEEvS10_.num_vgpr, 0
	.set _ZN7rocprim17ROCPRIM_400000_NS6detail17trampoline_kernelINS0_14default_configENS1_21merge_config_selectorINS0_5tupleIJddEEENS0_10empty_typeEEEZNS1_10merge_implIS3_NS0_12zip_iteratorINS5_IJN6thrust23THRUST_200600_302600_NS6detail15normal_iteratorINSC_10device_ptrIKdEEEESI_EEEEESK_NSA_INS5_IJNSE_INSF_IdEEEESM_EEEEEPS7_SP_SP_NSC_11hip_rocprim7__merge17predicate_wrapperIddNSC_7greaterIdEEEEEE10hipError_tPvRmT0_T1_T2_T3_T4_T5_mmT6_P12ihipStream_tbEUlT_E_NS1_11comp_targetILNS1_3genE4ELNS1_11target_archE910ELNS1_3gpuE8ELNS1_3repE0EEENS1_30default_config_static_selectorELNS0_4arch9wavefront6targetE0EEEvS10_.num_agpr, 0
	.set _ZN7rocprim17ROCPRIM_400000_NS6detail17trampoline_kernelINS0_14default_configENS1_21merge_config_selectorINS0_5tupleIJddEEENS0_10empty_typeEEEZNS1_10merge_implIS3_NS0_12zip_iteratorINS5_IJN6thrust23THRUST_200600_302600_NS6detail15normal_iteratorINSC_10device_ptrIKdEEEESI_EEEEESK_NSA_INS5_IJNSE_INSF_IdEEEESM_EEEEEPS7_SP_SP_NSC_11hip_rocprim7__merge17predicate_wrapperIddNSC_7greaterIdEEEEEE10hipError_tPvRmT0_T1_T2_T3_T4_T5_mmT6_P12ihipStream_tbEUlT_E_NS1_11comp_targetILNS1_3genE4ELNS1_11target_archE910ELNS1_3gpuE8ELNS1_3repE0EEENS1_30default_config_static_selectorELNS0_4arch9wavefront6targetE0EEEvS10_.numbered_sgpr, 0
	.set _ZN7rocprim17ROCPRIM_400000_NS6detail17trampoline_kernelINS0_14default_configENS1_21merge_config_selectorINS0_5tupleIJddEEENS0_10empty_typeEEEZNS1_10merge_implIS3_NS0_12zip_iteratorINS5_IJN6thrust23THRUST_200600_302600_NS6detail15normal_iteratorINSC_10device_ptrIKdEEEESI_EEEEESK_NSA_INS5_IJNSE_INSF_IdEEEESM_EEEEEPS7_SP_SP_NSC_11hip_rocprim7__merge17predicate_wrapperIddNSC_7greaterIdEEEEEE10hipError_tPvRmT0_T1_T2_T3_T4_T5_mmT6_P12ihipStream_tbEUlT_E_NS1_11comp_targetILNS1_3genE4ELNS1_11target_archE910ELNS1_3gpuE8ELNS1_3repE0EEENS1_30default_config_static_selectorELNS0_4arch9wavefront6targetE0EEEvS10_.num_named_barrier, 0
	.set _ZN7rocprim17ROCPRIM_400000_NS6detail17trampoline_kernelINS0_14default_configENS1_21merge_config_selectorINS0_5tupleIJddEEENS0_10empty_typeEEEZNS1_10merge_implIS3_NS0_12zip_iteratorINS5_IJN6thrust23THRUST_200600_302600_NS6detail15normal_iteratorINSC_10device_ptrIKdEEEESI_EEEEESK_NSA_INS5_IJNSE_INSF_IdEEEESM_EEEEEPS7_SP_SP_NSC_11hip_rocprim7__merge17predicate_wrapperIddNSC_7greaterIdEEEEEE10hipError_tPvRmT0_T1_T2_T3_T4_T5_mmT6_P12ihipStream_tbEUlT_E_NS1_11comp_targetILNS1_3genE4ELNS1_11target_archE910ELNS1_3gpuE8ELNS1_3repE0EEENS1_30default_config_static_selectorELNS0_4arch9wavefront6targetE0EEEvS10_.private_seg_size, 0
	.set _ZN7rocprim17ROCPRIM_400000_NS6detail17trampoline_kernelINS0_14default_configENS1_21merge_config_selectorINS0_5tupleIJddEEENS0_10empty_typeEEEZNS1_10merge_implIS3_NS0_12zip_iteratorINS5_IJN6thrust23THRUST_200600_302600_NS6detail15normal_iteratorINSC_10device_ptrIKdEEEESI_EEEEESK_NSA_INS5_IJNSE_INSF_IdEEEESM_EEEEEPS7_SP_SP_NSC_11hip_rocprim7__merge17predicate_wrapperIddNSC_7greaterIdEEEEEE10hipError_tPvRmT0_T1_T2_T3_T4_T5_mmT6_P12ihipStream_tbEUlT_E_NS1_11comp_targetILNS1_3genE4ELNS1_11target_archE910ELNS1_3gpuE8ELNS1_3repE0EEENS1_30default_config_static_selectorELNS0_4arch9wavefront6targetE0EEEvS10_.uses_vcc, 0
	.set _ZN7rocprim17ROCPRIM_400000_NS6detail17trampoline_kernelINS0_14default_configENS1_21merge_config_selectorINS0_5tupleIJddEEENS0_10empty_typeEEEZNS1_10merge_implIS3_NS0_12zip_iteratorINS5_IJN6thrust23THRUST_200600_302600_NS6detail15normal_iteratorINSC_10device_ptrIKdEEEESI_EEEEESK_NSA_INS5_IJNSE_INSF_IdEEEESM_EEEEEPS7_SP_SP_NSC_11hip_rocprim7__merge17predicate_wrapperIddNSC_7greaterIdEEEEEE10hipError_tPvRmT0_T1_T2_T3_T4_T5_mmT6_P12ihipStream_tbEUlT_E_NS1_11comp_targetILNS1_3genE4ELNS1_11target_archE910ELNS1_3gpuE8ELNS1_3repE0EEENS1_30default_config_static_selectorELNS0_4arch9wavefront6targetE0EEEvS10_.uses_flat_scratch, 0
	.set _ZN7rocprim17ROCPRIM_400000_NS6detail17trampoline_kernelINS0_14default_configENS1_21merge_config_selectorINS0_5tupleIJddEEENS0_10empty_typeEEEZNS1_10merge_implIS3_NS0_12zip_iteratorINS5_IJN6thrust23THRUST_200600_302600_NS6detail15normal_iteratorINSC_10device_ptrIKdEEEESI_EEEEESK_NSA_INS5_IJNSE_INSF_IdEEEESM_EEEEEPS7_SP_SP_NSC_11hip_rocprim7__merge17predicate_wrapperIddNSC_7greaterIdEEEEEE10hipError_tPvRmT0_T1_T2_T3_T4_T5_mmT6_P12ihipStream_tbEUlT_E_NS1_11comp_targetILNS1_3genE4ELNS1_11target_archE910ELNS1_3gpuE8ELNS1_3repE0EEENS1_30default_config_static_selectorELNS0_4arch9wavefront6targetE0EEEvS10_.has_dyn_sized_stack, 0
	.set _ZN7rocprim17ROCPRIM_400000_NS6detail17trampoline_kernelINS0_14default_configENS1_21merge_config_selectorINS0_5tupleIJddEEENS0_10empty_typeEEEZNS1_10merge_implIS3_NS0_12zip_iteratorINS5_IJN6thrust23THRUST_200600_302600_NS6detail15normal_iteratorINSC_10device_ptrIKdEEEESI_EEEEESK_NSA_INS5_IJNSE_INSF_IdEEEESM_EEEEEPS7_SP_SP_NSC_11hip_rocprim7__merge17predicate_wrapperIddNSC_7greaterIdEEEEEE10hipError_tPvRmT0_T1_T2_T3_T4_T5_mmT6_P12ihipStream_tbEUlT_E_NS1_11comp_targetILNS1_3genE4ELNS1_11target_archE910ELNS1_3gpuE8ELNS1_3repE0EEENS1_30default_config_static_selectorELNS0_4arch9wavefront6targetE0EEEvS10_.has_recursion, 0
	.set _ZN7rocprim17ROCPRIM_400000_NS6detail17trampoline_kernelINS0_14default_configENS1_21merge_config_selectorINS0_5tupleIJddEEENS0_10empty_typeEEEZNS1_10merge_implIS3_NS0_12zip_iteratorINS5_IJN6thrust23THRUST_200600_302600_NS6detail15normal_iteratorINSC_10device_ptrIKdEEEESI_EEEEESK_NSA_INS5_IJNSE_INSF_IdEEEESM_EEEEEPS7_SP_SP_NSC_11hip_rocprim7__merge17predicate_wrapperIddNSC_7greaterIdEEEEEE10hipError_tPvRmT0_T1_T2_T3_T4_T5_mmT6_P12ihipStream_tbEUlT_E_NS1_11comp_targetILNS1_3genE4ELNS1_11target_archE910ELNS1_3gpuE8ELNS1_3repE0EEENS1_30default_config_static_selectorELNS0_4arch9wavefront6targetE0EEEvS10_.has_indirect_call, 0
	.section	.AMDGPU.csdata,"",@progbits
; Kernel info:
; codeLenInByte = 0
; TotalNumSgprs: 0
; NumVgprs: 0
; ScratchSize: 0
; MemoryBound: 0
; FloatMode: 240
; IeeeMode: 1
; LDSByteSize: 0 bytes/workgroup (compile time only)
; SGPRBlocks: 0
; VGPRBlocks: 0
; NumSGPRsForWavesPerEU: 1
; NumVGPRsForWavesPerEU: 1
; Occupancy: 16
; WaveLimiterHint : 0
; COMPUTE_PGM_RSRC2:SCRATCH_EN: 0
; COMPUTE_PGM_RSRC2:USER_SGPR: 6
; COMPUTE_PGM_RSRC2:TRAP_HANDLER: 0
; COMPUTE_PGM_RSRC2:TGID_X_EN: 1
; COMPUTE_PGM_RSRC2:TGID_Y_EN: 0
; COMPUTE_PGM_RSRC2:TGID_Z_EN: 0
; COMPUTE_PGM_RSRC2:TIDIG_COMP_CNT: 0
	.section	.text._ZN7rocprim17ROCPRIM_400000_NS6detail17trampoline_kernelINS0_14default_configENS1_21merge_config_selectorINS0_5tupleIJddEEENS0_10empty_typeEEEZNS1_10merge_implIS3_NS0_12zip_iteratorINS5_IJN6thrust23THRUST_200600_302600_NS6detail15normal_iteratorINSC_10device_ptrIKdEEEESI_EEEEESK_NSA_INS5_IJNSE_INSF_IdEEEESM_EEEEEPS7_SP_SP_NSC_11hip_rocprim7__merge17predicate_wrapperIddNSC_7greaterIdEEEEEE10hipError_tPvRmT0_T1_T2_T3_T4_T5_mmT6_P12ihipStream_tbEUlT_E_NS1_11comp_targetILNS1_3genE3ELNS1_11target_archE908ELNS1_3gpuE7ELNS1_3repE0EEENS1_30default_config_static_selectorELNS0_4arch9wavefront6targetE0EEEvS10_,"axG",@progbits,_ZN7rocprim17ROCPRIM_400000_NS6detail17trampoline_kernelINS0_14default_configENS1_21merge_config_selectorINS0_5tupleIJddEEENS0_10empty_typeEEEZNS1_10merge_implIS3_NS0_12zip_iteratorINS5_IJN6thrust23THRUST_200600_302600_NS6detail15normal_iteratorINSC_10device_ptrIKdEEEESI_EEEEESK_NSA_INS5_IJNSE_INSF_IdEEEESM_EEEEEPS7_SP_SP_NSC_11hip_rocprim7__merge17predicate_wrapperIddNSC_7greaterIdEEEEEE10hipError_tPvRmT0_T1_T2_T3_T4_T5_mmT6_P12ihipStream_tbEUlT_E_NS1_11comp_targetILNS1_3genE3ELNS1_11target_archE908ELNS1_3gpuE7ELNS1_3repE0EEENS1_30default_config_static_selectorELNS0_4arch9wavefront6targetE0EEEvS10_,comdat
	.protected	_ZN7rocprim17ROCPRIM_400000_NS6detail17trampoline_kernelINS0_14default_configENS1_21merge_config_selectorINS0_5tupleIJddEEENS0_10empty_typeEEEZNS1_10merge_implIS3_NS0_12zip_iteratorINS5_IJN6thrust23THRUST_200600_302600_NS6detail15normal_iteratorINSC_10device_ptrIKdEEEESI_EEEEESK_NSA_INS5_IJNSE_INSF_IdEEEESM_EEEEEPS7_SP_SP_NSC_11hip_rocprim7__merge17predicate_wrapperIddNSC_7greaterIdEEEEEE10hipError_tPvRmT0_T1_T2_T3_T4_T5_mmT6_P12ihipStream_tbEUlT_E_NS1_11comp_targetILNS1_3genE3ELNS1_11target_archE908ELNS1_3gpuE7ELNS1_3repE0EEENS1_30default_config_static_selectorELNS0_4arch9wavefront6targetE0EEEvS10_ ; -- Begin function _ZN7rocprim17ROCPRIM_400000_NS6detail17trampoline_kernelINS0_14default_configENS1_21merge_config_selectorINS0_5tupleIJddEEENS0_10empty_typeEEEZNS1_10merge_implIS3_NS0_12zip_iteratorINS5_IJN6thrust23THRUST_200600_302600_NS6detail15normal_iteratorINSC_10device_ptrIKdEEEESI_EEEEESK_NSA_INS5_IJNSE_INSF_IdEEEESM_EEEEEPS7_SP_SP_NSC_11hip_rocprim7__merge17predicate_wrapperIddNSC_7greaterIdEEEEEE10hipError_tPvRmT0_T1_T2_T3_T4_T5_mmT6_P12ihipStream_tbEUlT_E_NS1_11comp_targetILNS1_3genE3ELNS1_11target_archE908ELNS1_3gpuE7ELNS1_3repE0EEENS1_30default_config_static_selectorELNS0_4arch9wavefront6targetE0EEEvS10_
	.globl	_ZN7rocprim17ROCPRIM_400000_NS6detail17trampoline_kernelINS0_14default_configENS1_21merge_config_selectorINS0_5tupleIJddEEENS0_10empty_typeEEEZNS1_10merge_implIS3_NS0_12zip_iteratorINS5_IJN6thrust23THRUST_200600_302600_NS6detail15normal_iteratorINSC_10device_ptrIKdEEEESI_EEEEESK_NSA_INS5_IJNSE_INSF_IdEEEESM_EEEEEPS7_SP_SP_NSC_11hip_rocprim7__merge17predicate_wrapperIddNSC_7greaterIdEEEEEE10hipError_tPvRmT0_T1_T2_T3_T4_T5_mmT6_P12ihipStream_tbEUlT_E_NS1_11comp_targetILNS1_3genE3ELNS1_11target_archE908ELNS1_3gpuE7ELNS1_3repE0EEENS1_30default_config_static_selectorELNS0_4arch9wavefront6targetE0EEEvS10_
	.p2align	8
	.type	_ZN7rocprim17ROCPRIM_400000_NS6detail17trampoline_kernelINS0_14default_configENS1_21merge_config_selectorINS0_5tupleIJddEEENS0_10empty_typeEEEZNS1_10merge_implIS3_NS0_12zip_iteratorINS5_IJN6thrust23THRUST_200600_302600_NS6detail15normal_iteratorINSC_10device_ptrIKdEEEESI_EEEEESK_NSA_INS5_IJNSE_INSF_IdEEEESM_EEEEEPS7_SP_SP_NSC_11hip_rocprim7__merge17predicate_wrapperIddNSC_7greaterIdEEEEEE10hipError_tPvRmT0_T1_T2_T3_T4_T5_mmT6_P12ihipStream_tbEUlT_E_NS1_11comp_targetILNS1_3genE3ELNS1_11target_archE908ELNS1_3gpuE7ELNS1_3repE0EEENS1_30default_config_static_selectorELNS0_4arch9wavefront6targetE0EEEvS10_,@function
_ZN7rocprim17ROCPRIM_400000_NS6detail17trampoline_kernelINS0_14default_configENS1_21merge_config_selectorINS0_5tupleIJddEEENS0_10empty_typeEEEZNS1_10merge_implIS3_NS0_12zip_iteratorINS5_IJN6thrust23THRUST_200600_302600_NS6detail15normal_iteratorINSC_10device_ptrIKdEEEESI_EEEEESK_NSA_INS5_IJNSE_INSF_IdEEEESM_EEEEEPS7_SP_SP_NSC_11hip_rocprim7__merge17predicate_wrapperIddNSC_7greaterIdEEEEEE10hipError_tPvRmT0_T1_T2_T3_T4_T5_mmT6_P12ihipStream_tbEUlT_E_NS1_11comp_targetILNS1_3genE3ELNS1_11target_archE908ELNS1_3gpuE7ELNS1_3repE0EEENS1_30default_config_static_selectorELNS0_4arch9wavefront6targetE0EEEvS10_: ; @_ZN7rocprim17ROCPRIM_400000_NS6detail17trampoline_kernelINS0_14default_configENS1_21merge_config_selectorINS0_5tupleIJddEEENS0_10empty_typeEEEZNS1_10merge_implIS3_NS0_12zip_iteratorINS5_IJN6thrust23THRUST_200600_302600_NS6detail15normal_iteratorINSC_10device_ptrIKdEEEESI_EEEEESK_NSA_INS5_IJNSE_INSF_IdEEEESM_EEEEEPS7_SP_SP_NSC_11hip_rocprim7__merge17predicate_wrapperIddNSC_7greaterIdEEEEEE10hipError_tPvRmT0_T1_T2_T3_T4_T5_mmT6_P12ihipStream_tbEUlT_E_NS1_11comp_targetILNS1_3genE3ELNS1_11target_archE908ELNS1_3gpuE7ELNS1_3repE0EEENS1_30default_config_static_selectorELNS0_4arch9wavefront6targetE0EEEvS10_
; %bb.0:
	.section	.rodata,"a",@progbits
	.p2align	6, 0x0
	.amdhsa_kernel _ZN7rocprim17ROCPRIM_400000_NS6detail17trampoline_kernelINS0_14default_configENS1_21merge_config_selectorINS0_5tupleIJddEEENS0_10empty_typeEEEZNS1_10merge_implIS3_NS0_12zip_iteratorINS5_IJN6thrust23THRUST_200600_302600_NS6detail15normal_iteratorINSC_10device_ptrIKdEEEESI_EEEEESK_NSA_INS5_IJNSE_INSF_IdEEEESM_EEEEEPS7_SP_SP_NSC_11hip_rocprim7__merge17predicate_wrapperIddNSC_7greaterIdEEEEEE10hipError_tPvRmT0_T1_T2_T3_T4_T5_mmT6_P12ihipStream_tbEUlT_E_NS1_11comp_targetILNS1_3genE3ELNS1_11target_archE908ELNS1_3gpuE7ELNS1_3repE0EEENS1_30default_config_static_selectorELNS0_4arch9wavefront6targetE0EEEvS10_
		.amdhsa_group_segment_fixed_size 0
		.amdhsa_private_segment_fixed_size 0
		.amdhsa_kernarg_size 64
		.amdhsa_user_sgpr_count 6
		.amdhsa_user_sgpr_private_segment_buffer 1
		.amdhsa_user_sgpr_dispatch_ptr 0
		.amdhsa_user_sgpr_queue_ptr 0
		.amdhsa_user_sgpr_kernarg_segment_ptr 1
		.amdhsa_user_sgpr_dispatch_id 0
		.amdhsa_user_sgpr_flat_scratch_init 0
		.amdhsa_user_sgpr_private_segment_size 0
		.amdhsa_wavefront_size32 1
		.amdhsa_uses_dynamic_stack 0
		.amdhsa_system_sgpr_private_segment_wavefront_offset 0
		.amdhsa_system_sgpr_workgroup_id_x 1
		.amdhsa_system_sgpr_workgroup_id_y 0
		.amdhsa_system_sgpr_workgroup_id_z 0
		.amdhsa_system_sgpr_workgroup_info 0
		.amdhsa_system_vgpr_workitem_id 0
		.amdhsa_next_free_vgpr 1
		.amdhsa_next_free_sgpr 1
		.amdhsa_reserve_vcc 0
		.amdhsa_reserve_flat_scratch 0
		.amdhsa_float_round_mode_32 0
		.amdhsa_float_round_mode_16_64 0
		.amdhsa_float_denorm_mode_32 3
		.amdhsa_float_denorm_mode_16_64 3
		.amdhsa_dx10_clamp 1
		.amdhsa_ieee_mode 1
		.amdhsa_fp16_overflow 0
		.amdhsa_workgroup_processor_mode 1
		.amdhsa_memory_ordered 1
		.amdhsa_forward_progress 1
		.amdhsa_shared_vgpr_count 0
		.amdhsa_exception_fp_ieee_invalid_op 0
		.amdhsa_exception_fp_denorm_src 0
		.amdhsa_exception_fp_ieee_div_zero 0
		.amdhsa_exception_fp_ieee_overflow 0
		.amdhsa_exception_fp_ieee_underflow 0
		.amdhsa_exception_fp_ieee_inexact 0
		.amdhsa_exception_int_div_zero 0
	.end_amdhsa_kernel
	.section	.text._ZN7rocprim17ROCPRIM_400000_NS6detail17trampoline_kernelINS0_14default_configENS1_21merge_config_selectorINS0_5tupleIJddEEENS0_10empty_typeEEEZNS1_10merge_implIS3_NS0_12zip_iteratorINS5_IJN6thrust23THRUST_200600_302600_NS6detail15normal_iteratorINSC_10device_ptrIKdEEEESI_EEEEESK_NSA_INS5_IJNSE_INSF_IdEEEESM_EEEEEPS7_SP_SP_NSC_11hip_rocprim7__merge17predicate_wrapperIddNSC_7greaterIdEEEEEE10hipError_tPvRmT0_T1_T2_T3_T4_T5_mmT6_P12ihipStream_tbEUlT_E_NS1_11comp_targetILNS1_3genE3ELNS1_11target_archE908ELNS1_3gpuE7ELNS1_3repE0EEENS1_30default_config_static_selectorELNS0_4arch9wavefront6targetE0EEEvS10_,"axG",@progbits,_ZN7rocprim17ROCPRIM_400000_NS6detail17trampoline_kernelINS0_14default_configENS1_21merge_config_selectorINS0_5tupleIJddEEENS0_10empty_typeEEEZNS1_10merge_implIS3_NS0_12zip_iteratorINS5_IJN6thrust23THRUST_200600_302600_NS6detail15normal_iteratorINSC_10device_ptrIKdEEEESI_EEEEESK_NSA_INS5_IJNSE_INSF_IdEEEESM_EEEEEPS7_SP_SP_NSC_11hip_rocprim7__merge17predicate_wrapperIddNSC_7greaterIdEEEEEE10hipError_tPvRmT0_T1_T2_T3_T4_T5_mmT6_P12ihipStream_tbEUlT_E_NS1_11comp_targetILNS1_3genE3ELNS1_11target_archE908ELNS1_3gpuE7ELNS1_3repE0EEENS1_30default_config_static_selectorELNS0_4arch9wavefront6targetE0EEEvS10_,comdat
.Lfunc_end320:
	.size	_ZN7rocprim17ROCPRIM_400000_NS6detail17trampoline_kernelINS0_14default_configENS1_21merge_config_selectorINS0_5tupleIJddEEENS0_10empty_typeEEEZNS1_10merge_implIS3_NS0_12zip_iteratorINS5_IJN6thrust23THRUST_200600_302600_NS6detail15normal_iteratorINSC_10device_ptrIKdEEEESI_EEEEESK_NSA_INS5_IJNSE_INSF_IdEEEESM_EEEEEPS7_SP_SP_NSC_11hip_rocprim7__merge17predicate_wrapperIddNSC_7greaterIdEEEEEE10hipError_tPvRmT0_T1_T2_T3_T4_T5_mmT6_P12ihipStream_tbEUlT_E_NS1_11comp_targetILNS1_3genE3ELNS1_11target_archE908ELNS1_3gpuE7ELNS1_3repE0EEENS1_30default_config_static_selectorELNS0_4arch9wavefront6targetE0EEEvS10_, .Lfunc_end320-_ZN7rocprim17ROCPRIM_400000_NS6detail17trampoline_kernelINS0_14default_configENS1_21merge_config_selectorINS0_5tupleIJddEEENS0_10empty_typeEEEZNS1_10merge_implIS3_NS0_12zip_iteratorINS5_IJN6thrust23THRUST_200600_302600_NS6detail15normal_iteratorINSC_10device_ptrIKdEEEESI_EEEEESK_NSA_INS5_IJNSE_INSF_IdEEEESM_EEEEEPS7_SP_SP_NSC_11hip_rocprim7__merge17predicate_wrapperIddNSC_7greaterIdEEEEEE10hipError_tPvRmT0_T1_T2_T3_T4_T5_mmT6_P12ihipStream_tbEUlT_E_NS1_11comp_targetILNS1_3genE3ELNS1_11target_archE908ELNS1_3gpuE7ELNS1_3repE0EEENS1_30default_config_static_selectorELNS0_4arch9wavefront6targetE0EEEvS10_
                                        ; -- End function
	.set _ZN7rocprim17ROCPRIM_400000_NS6detail17trampoline_kernelINS0_14default_configENS1_21merge_config_selectorINS0_5tupleIJddEEENS0_10empty_typeEEEZNS1_10merge_implIS3_NS0_12zip_iteratorINS5_IJN6thrust23THRUST_200600_302600_NS6detail15normal_iteratorINSC_10device_ptrIKdEEEESI_EEEEESK_NSA_INS5_IJNSE_INSF_IdEEEESM_EEEEEPS7_SP_SP_NSC_11hip_rocprim7__merge17predicate_wrapperIddNSC_7greaterIdEEEEEE10hipError_tPvRmT0_T1_T2_T3_T4_T5_mmT6_P12ihipStream_tbEUlT_E_NS1_11comp_targetILNS1_3genE3ELNS1_11target_archE908ELNS1_3gpuE7ELNS1_3repE0EEENS1_30default_config_static_selectorELNS0_4arch9wavefront6targetE0EEEvS10_.num_vgpr, 0
	.set _ZN7rocprim17ROCPRIM_400000_NS6detail17trampoline_kernelINS0_14default_configENS1_21merge_config_selectorINS0_5tupleIJddEEENS0_10empty_typeEEEZNS1_10merge_implIS3_NS0_12zip_iteratorINS5_IJN6thrust23THRUST_200600_302600_NS6detail15normal_iteratorINSC_10device_ptrIKdEEEESI_EEEEESK_NSA_INS5_IJNSE_INSF_IdEEEESM_EEEEEPS7_SP_SP_NSC_11hip_rocprim7__merge17predicate_wrapperIddNSC_7greaterIdEEEEEE10hipError_tPvRmT0_T1_T2_T3_T4_T5_mmT6_P12ihipStream_tbEUlT_E_NS1_11comp_targetILNS1_3genE3ELNS1_11target_archE908ELNS1_3gpuE7ELNS1_3repE0EEENS1_30default_config_static_selectorELNS0_4arch9wavefront6targetE0EEEvS10_.num_agpr, 0
	.set _ZN7rocprim17ROCPRIM_400000_NS6detail17trampoline_kernelINS0_14default_configENS1_21merge_config_selectorINS0_5tupleIJddEEENS0_10empty_typeEEEZNS1_10merge_implIS3_NS0_12zip_iteratorINS5_IJN6thrust23THRUST_200600_302600_NS6detail15normal_iteratorINSC_10device_ptrIKdEEEESI_EEEEESK_NSA_INS5_IJNSE_INSF_IdEEEESM_EEEEEPS7_SP_SP_NSC_11hip_rocprim7__merge17predicate_wrapperIddNSC_7greaterIdEEEEEE10hipError_tPvRmT0_T1_T2_T3_T4_T5_mmT6_P12ihipStream_tbEUlT_E_NS1_11comp_targetILNS1_3genE3ELNS1_11target_archE908ELNS1_3gpuE7ELNS1_3repE0EEENS1_30default_config_static_selectorELNS0_4arch9wavefront6targetE0EEEvS10_.numbered_sgpr, 0
	.set _ZN7rocprim17ROCPRIM_400000_NS6detail17trampoline_kernelINS0_14default_configENS1_21merge_config_selectorINS0_5tupleIJddEEENS0_10empty_typeEEEZNS1_10merge_implIS3_NS0_12zip_iteratorINS5_IJN6thrust23THRUST_200600_302600_NS6detail15normal_iteratorINSC_10device_ptrIKdEEEESI_EEEEESK_NSA_INS5_IJNSE_INSF_IdEEEESM_EEEEEPS7_SP_SP_NSC_11hip_rocprim7__merge17predicate_wrapperIddNSC_7greaterIdEEEEEE10hipError_tPvRmT0_T1_T2_T3_T4_T5_mmT6_P12ihipStream_tbEUlT_E_NS1_11comp_targetILNS1_3genE3ELNS1_11target_archE908ELNS1_3gpuE7ELNS1_3repE0EEENS1_30default_config_static_selectorELNS0_4arch9wavefront6targetE0EEEvS10_.num_named_barrier, 0
	.set _ZN7rocprim17ROCPRIM_400000_NS6detail17trampoline_kernelINS0_14default_configENS1_21merge_config_selectorINS0_5tupleIJddEEENS0_10empty_typeEEEZNS1_10merge_implIS3_NS0_12zip_iteratorINS5_IJN6thrust23THRUST_200600_302600_NS6detail15normal_iteratorINSC_10device_ptrIKdEEEESI_EEEEESK_NSA_INS5_IJNSE_INSF_IdEEEESM_EEEEEPS7_SP_SP_NSC_11hip_rocprim7__merge17predicate_wrapperIddNSC_7greaterIdEEEEEE10hipError_tPvRmT0_T1_T2_T3_T4_T5_mmT6_P12ihipStream_tbEUlT_E_NS1_11comp_targetILNS1_3genE3ELNS1_11target_archE908ELNS1_3gpuE7ELNS1_3repE0EEENS1_30default_config_static_selectorELNS0_4arch9wavefront6targetE0EEEvS10_.private_seg_size, 0
	.set _ZN7rocprim17ROCPRIM_400000_NS6detail17trampoline_kernelINS0_14default_configENS1_21merge_config_selectorINS0_5tupleIJddEEENS0_10empty_typeEEEZNS1_10merge_implIS3_NS0_12zip_iteratorINS5_IJN6thrust23THRUST_200600_302600_NS6detail15normal_iteratorINSC_10device_ptrIKdEEEESI_EEEEESK_NSA_INS5_IJNSE_INSF_IdEEEESM_EEEEEPS7_SP_SP_NSC_11hip_rocprim7__merge17predicate_wrapperIddNSC_7greaterIdEEEEEE10hipError_tPvRmT0_T1_T2_T3_T4_T5_mmT6_P12ihipStream_tbEUlT_E_NS1_11comp_targetILNS1_3genE3ELNS1_11target_archE908ELNS1_3gpuE7ELNS1_3repE0EEENS1_30default_config_static_selectorELNS0_4arch9wavefront6targetE0EEEvS10_.uses_vcc, 0
	.set _ZN7rocprim17ROCPRIM_400000_NS6detail17trampoline_kernelINS0_14default_configENS1_21merge_config_selectorINS0_5tupleIJddEEENS0_10empty_typeEEEZNS1_10merge_implIS3_NS0_12zip_iteratorINS5_IJN6thrust23THRUST_200600_302600_NS6detail15normal_iteratorINSC_10device_ptrIKdEEEESI_EEEEESK_NSA_INS5_IJNSE_INSF_IdEEEESM_EEEEEPS7_SP_SP_NSC_11hip_rocprim7__merge17predicate_wrapperIddNSC_7greaterIdEEEEEE10hipError_tPvRmT0_T1_T2_T3_T4_T5_mmT6_P12ihipStream_tbEUlT_E_NS1_11comp_targetILNS1_3genE3ELNS1_11target_archE908ELNS1_3gpuE7ELNS1_3repE0EEENS1_30default_config_static_selectorELNS0_4arch9wavefront6targetE0EEEvS10_.uses_flat_scratch, 0
	.set _ZN7rocprim17ROCPRIM_400000_NS6detail17trampoline_kernelINS0_14default_configENS1_21merge_config_selectorINS0_5tupleIJddEEENS0_10empty_typeEEEZNS1_10merge_implIS3_NS0_12zip_iteratorINS5_IJN6thrust23THRUST_200600_302600_NS6detail15normal_iteratorINSC_10device_ptrIKdEEEESI_EEEEESK_NSA_INS5_IJNSE_INSF_IdEEEESM_EEEEEPS7_SP_SP_NSC_11hip_rocprim7__merge17predicate_wrapperIddNSC_7greaterIdEEEEEE10hipError_tPvRmT0_T1_T2_T3_T4_T5_mmT6_P12ihipStream_tbEUlT_E_NS1_11comp_targetILNS1_3genE3ELNS1_11target_archE908ELNS1_3gpuE7ELNS1_3repE0EEENS1_30default_config_static_selectorELNS0_4arch9wavefront6targetE0EEEvS10_.has_dyn_sized_stack, 0
	.set _ZN7rocprim17ROCPRIM_400000_NS6detail17trampoline_kernelINS0_14default_configENS1_21merge_config_selectorINS0_5tupleIJddEEENS0_10empty_typeEEEZNS1_10merge_implIS3_NS0_12zip_iteratorINS5_IJN6thrust23THRUST_200600_302600_NS6detail15normal_iteratorINSC_10device_ptrIKdEEEESI_EEEEESK_NSA_INS5_IJNSE_INSF_IdEEEESM_EEEEEPS7_SP_SP_NSC_11hip_rocprim7__merge17predicate_wrapperIddNSC_7greaterIdEEEEEE10hipError_tPvRmT0_T1_T2_T3_T4_T5_mmT6_P12ihipStream_tbEUlT_E_NS1_11comp_targetILNS1_3genE3ELNS1_11target_archE908ELNS1_3gpuE7ELNS1_3repE0EEENS1_30default_config_static_selectorELNS0_4arch9wavefront6targetE0EEEvS10_.has_recursion, 0
	.set _ZN7rocprim17ROCPRIM_400000_NS6detail17trampoline_kernelINS0_14default_configENS1_21merge_config_selectorINS0_5tupleIJddEEENS0_10empty_typeEEEZNS1_10merge_implIS3_NS0_12zip_iteratorINS5_IJN6thrust23THRUST_200600_302600_NS6detail15normal_iteratorINSC_10device_ptrIKdEEEESI_EEEEESK_NSA_INS5_IJNSE_INSF_IdEEEESM_EEEEEPS7_SP_SP_NSC_11hip_rocprim7__merge17predicate_wrapperIddNSC_7greaterIdEEEEEE10hipError_tPvRmT0_T1_T2_T3_T4_T5_mmT6_P12ihipStream_tbEUlT_E_NS1_11comp_targetILNS1_3genE3ELNS1_11target_archE908ELNS1_3gpuE7ELNS1_3repE0EEENS1_30default_config_static_selectorELNS0_4arch9wavefront6targetE0EEEvS10_.has_indirect_call, 0
	.section	.AMDGPU.csdata,"",@progbits
; Kernel info:
; codeLenInByte = 0
; TotalNumSgprs: 0
; NumVgprs: 0
; ScratchSize: 0
; MemoryBound: 0
; FloatMode: 240
; IeeeMode: 1
; LDSByteSize: 0 bytes/workgroup (compile time only)
; SGPRBlocks: 0
; VGPRBlocks: 0
; NumSGPRsForWavesPerEU: 1
; NumVGPRsForWavesPerEU: 1
; Occupancy: 16
; WaveLimiterHint : 0
; COMPUTE_PGM_RSRC2:SCRATCH_EN: 0
; COMPUTE_PGM_RSRC2:USER_SGPR: 6
; COMPUTE_PGM_RSRC2:TRAP_HANDLER: 0
; COMPUTE_PGM_RSRC2:TGID_X_EN: 1
; COMPUTE_PGM_RSRC2:TGID_Y_EN: 0
; COMPUTE_PGM_RSRC2:TGID_Z_EN: 0
; COMPUTE_PGM_RSRC2:TIDIG_COMP_CNT: 0
	.section	.text._ZN7rocprim17ROCPRIM_400000_NS6detail17trampoline_kernelINS0_14default_configENS1_21merge_config_selectorINS0_5tupleIJddEEENS0_10empty_typeEEEZNS1_10merge_implIS3_NS0_12zip_iteratorINS5_IJN6thrust23THRUST_200600_302600_NS6detail15normal_iteratorINSC_10device_ptrIKdEEEESI_EEEEESK_NSA_INS5_IJNSE_INSF_IdEEEESM_EEEEEPS7_SP_SP_NSC_11hip_rocprim7__merge17predicate_wrapperIddNSC_7greaterIdEEEEEE10hipError_tPvRmT0_T1_T2_T3_T4_T5_mmT6_P12ihipStream_tbEUlT_E_NS1_11comp_targetILNS1_3genE2ELNS1_11target_archE906ELNS1_3gpuE6ELNS1_3repE0EEENS1_30default_config_static_selectorELNS0_4arch9wavefront6targetE0EEEvS10_,"axG",@progbits,_ZN7rocprim17ROCPRIM_400000_NS6detail17trampoline_kernelINS0_14default_configENS1_21merge_config_selectorINS0_5tupleIJddEEENS0_10empty_typeEEEZNS1_10merge_implIS3_NS0_12zip_iteratorINS5_IJN6thrust23THRUST_200600_302600_NS6detail15normal_iteratorINSC_10device_ptrIKdEEEESI_EEEEESK_NSA_INS5_IJNSE_INSF_IdEEEESM_EEEEEPS7_SP_SP_NSC_11hip_rocprim7__merge17predicate_wrapperIddNSC_7greaterIdEEEEEE10hipError_tPvRmT0_T1_T2_T3_T4_T5_mmT6_P12ihipStream_tbEUlT_E_NS1_11comp_targetILNS1_3genE2ELNS1_11target_archE906ELNS1_3gpuE6ELNS1_3repE0EEENS1_30default_config_static_selectorELNS0_4arch9wavefront6targetE0EEEvS10_,comdat
	.protected	_ZN7rocprim17ROCPRIM_400000_NS6detail17trampoline_kernelINS0_14default_configENS1_21merge_config_selectorINS0_5tupleIJddEEENS0_10empty_typeEEEZNS1_10merge_implIS3_NS0_12zip_iteratorINS5_IJN6thrust23THRUST_200600_302600_NS6detail15normal_iteratorINSC_10device_ptrIKdEEEESI_EEEEESK_NSA_INS5_IJNSE_INSF_IdEEEESM_EEEEEPS7_SP_SP_NSC_11hip_rocprim7__merge17predicate_wrapperIddNSC_7greaterIdEEEEEE10hipError_tPvRmT0_T1_T2_T3_T4_T5_mmT6_P12ihipStream_tbEUlT_E_NS1_11comp_targetILNS1_3genE2ELNS1_11target_archE906ELNS1_3gpuE6ELNS1_3repE0EEENS1_30default_config_static_selectorELNS0_4arch9wavefront6targetE0EEEvS10_ ; -- Begin function _ZN7rocprim17ROCPRIM_400000_NS6detail17trampoline_kernelINS0_14default_configENS1_21merge_config_selectorINS0_5tupleIJddEEENS0_10empty_typeEEEZNS1_10merge_implIS3_NS0_12zip_iteratorINS5_IJN6thrust23THRUST_200600_302600_NS6detail15normal_iteratorINSC_10device_ptrIKdEEEESI_EEEEESK_NSA_INS5_IJNSE_INSF_IdEEEESM_EEEEEPS7_SP_SP_NSC_11hip_rocprim7__merge17predicate_wrapperIddNSC_7greaterIdEEEEEE10hipError_tPvRmT0_T1_T2_T3_T4_T5_mmT6_P12ihipStream_tbEUlT_E_NS1_11comp_targetILNS1_3genE2ELNS1_11target_archE906ELNS1_3gpuE6ELNS1_3repE0EEENS1_30default_config_static_selectorELNS0_4arch9wavefront6targetE0EEEvS10_
	.globl	_ZN7rocprim17ROCPRIM_400000_NS6detail17trampoline_kernelINS0_14default_configENS1_21merge_config_selectorINS0_5tupleIJddEEENS0_10empty_typeEEEZNS1_10merge_implIS3_NS0_12zip_iteratorINS5_IJN6thrust23THRUST_200600_302600_NS6detail15normal_iteratorINSC_10device_ptrIKdEEEESI_EEEEESK_NSA_INS5_IJNSE_INSF_IdEEEESM_EEEEEPS7_SP_SP_NSC_11hip_rocprim7__merge17predicate_wrapperIddNSC_7greaterIdEEEEEE10hipError_tPvRmT0_T1_T2_T3_T4_T5_mmT6_P12ihipStream_tbEUlT_E_NS1_11comp_targetILNS1_3genE2ELNS1_11target_archE906ELNS1_3gpuE6ELNS1_3repE0EEENS1_30default_config_static_selectorELNS0_4arch9wavefront6targetE0EEEvS10_
	.p2align	8
	.type	_ZN7rocprim17ROCPRIM_400000_NS6detail17trampoline_kernelINS0_14default_configENS1_21merge_config_selectorINS0_5tupleIJddEEENS0_10empty_typeEEEZNS1_10merge_implIS3_NS0_12zip_iteratorINS5_IJN6thrust23THRUST_200600_302600_NS6detail15normal_iteratorINSC_10device_ptrIKdEEEESI_EEEEESK_NSA_INS5_IJNSE_INSF_IdEEEESM_EEEEEPS7_SP_SP_NSC_11hip_rocprim7__merge17predicate_wrapperIddNSC_7greaterIdEEEEEE10hipError_tPvRmT0_T1_T2_T3_T4_T5_mmT6_P12ihipStream_tbEUlT_E_NS1_11comp_targetILNS1_3genE2ELNS1_11target_archE906ELNS1_3gpuE6ELNS1_3repE0EEENS1_30default_config_static_selectorELNS0_4arch9wavefront6targetE0EEEvS10_,@function
_ZN7rocprim17ROCPRIM_400000_NS6detail17trampoline_kernelINS0_14default_configENS1_21merge_config_selectorINS0_5tupleIJddEEENS0_10empty_typeEEEZNS1_10merge_implIS3_NS0_12zip_iteratorINS5_IJN6thrust23THRUST_200600_302600_NS6detail15normal_iteratorINSC_10device_ptrIKdEEEESI_EEEEESK_NSA_INS5_IJNSE_INSF_IdEEEESM_EEEEEPS7_SP_SP_NSC_11hip_rocprim7__merge17predicate_wrapperIddNSC_7greaterIdEEEEEE10hipError_tPvRmT0_T1_T2_T3_T4_T5_mmT6_P12ihipStream_tbEUlT_E_NS1_11comp_targetILNS1_3genE2ELNS1_11target_archE906ELNS1_3gpuE6ELNS1_3repE0EEENS1_30default_config_static_selectorELNS0_4arch9wavefront6targetE0EEEvS10_: ; @_ZN7rocprim17ROCPRIM_400000_NS6detail17trampoline_kernelINS0_14default_configENS1_21merge_config_selectorINS0_5tupleIJddEEENS0_10empty_typeEEEZNS1_10merge_implIS3_NS0_12zip_iteratorINS5_IJN6thrust23THRUST_200600_302600_NS6detail15normal_iteratorINSC_10device_ptrIKdEEEESI_EEEEESK_NSA_INS5_IJNSE_INSF_IdEEEESM_EEEEEPS7_SP_SP_NSC_11hip_rocprim7__merge17predicate_wrapperIddNSC_7greaterIdEEEEEE10hipError_tPvRmT0_T1_T2_T3_T4_T5_mmT6_P12ihipStream_tbEUlT_E_NS1_11comp_targetILNS1_3genE2ELNS1_11target_archE906ELNS1_3gpuE6ELNS1_3repE0EEENS1_30default_config_static_selectorELNS0_4arch9wavefront6targetE0EEEvS10_
; %bb.0:
	.section	.rodata,"a",@progbits
	.p2align	6, 0x0
	.amdhsa_kernel _ZN7rocprim17ROCPRIM_400000_NS6detail17trampoline_kernelINS0_14default_configENS1_21merge_config_selectorINS0_5tupleIJddEEENS0_10empty_typeEEEZNS1_10merge_implIS3_NS0_12zip_iteratorINS5_IJN6thrust23THRUST_200600_302600_NS6detail15normal_iteratorINSC_10device_ptrIKdEEEESI_EEEEESK_NSA_INS5_IJNSE_INSF_IdEEEESM_EEEEEPS7_SP_SP_NSC_11hip_rocprim7__merge17predicate_wrapperIddNSC_7greaterIdEEEEEE10hipError_tPvRmT0_T1_T2_T3_T4_T5_mmT6_P12ihipStream_tbEUlT_E_NS1_11comp_targetILNS1_3genE2ELNS1_11target_archE906ELNS1_3gpuE6ELNS1_3repE0EEENS1_30default_config_static_selectorELNS0_4arch9wavefront6targetE0EEEvS10_
		.amdhsa_group_segment_fixed_size 0
		.amdhsa_private_segment_fixed_size 0
		.amdhsa_kernarg_size 64
		.amdhsa_user_sgpr_count 6
		.amdhsa_user_sgpr_private_segment_buffer 1
		.amdhsa_user_sgpr_dispatch_ptr 0
		.amdhsa_user_sgpr_queue_ptr 0
		.amdhsa_user_sgpr_kernarg_segment_ptr 1
		.amdhsa_user_sgpr_dispatch_id 0
		.amdhsa_user_sgpr_flat_scratch_init 0
		.amdhsa_user_sgpr_private_segment_size 0
		.amdhsa_wavefront_size32 1
		.amdhsa_uses_dynamic_stack 0
		.amdhsa_system_sgpr_private_segment_wavefront_offset 0
		.amdhsa_system_sgpr_workgroup_id_x 1
		.amdhsa_system_sgpr_workgroup_id_y 0
		.amdhsa_system_sgpr_workgroup_id_z 0
		.amdhsa_system_sgpr_workgroup_info 0
		.amdhsa_system_vgpr_workitem_id 0
		.amdhsa_next_free_vgpr 1
		.amdhsa_next_free_sgpr 1
		.amdhsa_reserve_vcc 0
		.amdhsa_reserve_flat_scratch 0
		.amdhsa_float_round_mode_32 0
		.amdhsa_float_round_mode_16_64 0
		.amdhsa_float_denorm_mode_32 3
		.amdhsa_float_denorm_mode_16_64 3
		.amdhsa_dx10_clamp 1
		.amdhsa_ieee_mode 1
		.amdhsa_fp16_overflow 0
		.amdhsa_workgroup_processor_mode 1
		.amdhsa_memory_ordered 1
		.amdhsa_forward_progress 1
		.amdhsa_shared_vgpr_count 0
		.amdhsa_exception_fp_ieee_invalid_op 0
		.amdhsa_exception_fp_denorm_src 0
		.amdhsa_exception_fp_ieee_div_zero 0
		.amdhsa_exception_fp_ieee_overflow 0
		.amdhsa_exception_fp_ieee_underflow 0
		.amdhsa_exception_fp_ieee_inexact 0
		.amdhsa_exception_int_div_zero 0
	.end_amdhsa_kernel
	.section	.text._ZN7rocprim17ROCPRIM_400000_NS6detail17trampoline_kernelINS0_14default_configENS1_21merge_config_selectorINS0_5tupleIJddEEENS0_10empty_typeEEEZNS1_10merge_implIS3_NS0_12zip_iteratorINS5_IJN6thrust23THRUST_200600_302600_NS6detail15normal_iteratorINSC_10device_ptrIKdEEEESI_EEEEESK_NSA_INS5_IJNSE_INSF_IdEEEESM_EEEEEPS7_SP_SP_NSC_11hip_rocprim7__merge17predicate_wrapperIddNSC_7greaterIdEEEEEE10hipError_tPvRmT0_T1_T2_T3_T4_T5_mmT6_P12ihipStream_tbEUlT_E_NS1_11comp_targetILNS1_3genE2ELNS1_11target_archE906ELNS1_3gpuE6ELNS1_3repE0EEENS1_30default_config_static_selectorELNS0_4arch9wavefront6targetE0EEEvS10_,"axG",@progbits,_ZN7rocprim17ROCPRIM_400000_NS6detail17trampoline_kernelINS0_14default_configENS1_21merge_config_selectorINS0_5tupleIJddEEENS0_10empty_typeEEEZNS1_10merge_implIS3_NS0_12zip_iteratorINS5_IJN6thrust23THRUST_200600_302600_NS6detail15normal_iteratorINSC_10device_ptrIKdEEEESI_EEEEESK_NSA_INS5_IJNSE_INSF_IdEEEESM_EEEEEPS7_SP_SP_NSC_11hip_rocprim7__merge17predicate_wrapperIddNSC_7greaterIdEEEEEE10hipError_tPvRmT0_T1_T2_T3_T4_T5_mmT6_P12ihipStream_tbEUlT_E_NS1_11comp_targetILNS1_3genE2ELNS1_11target_archE906ELNS1_3gpuE6ELNS1_3repE0EEENS1_30default_config_static_selectorELNS0_4arch9wavefront6targetE0EEEvS10_,comdat
.Lfunc_end321:
	.size	_ZN7rocprim17ROCPRIM_400000_NS6detail17trampoline_kernelINS0_14default_configENS1_21merge_config_selectorINS0_5tupleIJddEEENS0_10empty_typeEEEZNS1_10merge_implIS3_NS0_12zip_iteratorINS5_IJN6thrust23THRUST_200600_302600_NS6detail15normal_iteratorINSC_10device_ptrIKdEEEESI_EEEEESK_NSA_INS5_IJNSE_INSF_IdEEEESM_EEEEEPS7_SP_SP_NSC_11hip_rocprim7__merge17predicate_wrapperIddNSC_7greaterIdEEEEEE10hipError_tPvRmT0_T1_T2_T3_T4_T5_mmT6_P12ihipStream_tbEUlT_E_NS1_11comp_targetILNS1_3genE2ELNS1_11target_archE906ELNS1_3gpuE6ELNS1_3repE0EEENS1_30default_config_static_selectorELNS0_4arch9wavefront6targetE0EEEvS10_, .Lfunc_end321-_ZN7rocprim17ROCPRIM_400000_NS6detail17trampoline_kernelINS0_14default_configENS1_21merge_config_selectorINS0_5tupleIJddEEENS0_10empty_typeEEEZNS1_10merge_implIS3_NS0_12zip_iteratorINS5_IJN6thrust23THRUST_200600_302600_NS6detail15normal_iteratorINSC_10device_ptrIKdEEEESI_EEEEESK_NSA_INS5_IJNSE_INSF_IdEEEESM_EEEEEPS7_SP_SP_NSC_11hip_rocprim7__merge17predicate_wrapperIddNSC_7greaterIdEEEEEE10hipError_tPvRmT0_T1_T2_T3_T4_T5_mmT6_P12ihipStream_tbEUlT_E_NS1_11comp_targetILNS1_3genE2ELNS1_11target_archE906ELNS1_3gpuE6ELNS1_3repE0EEENS1_30default_config_static_selectorELNS0_4arch9wavefront6targetE0EEEvS10_
                                        ; -- End function
	.set _ZN7rocprim17ROCPRIM_400000_NS6detail17trampoline_kernelINS0_14default_configENS1_21merge_config_selectorINS0_5tupleIJddEEENS0_10empty_typeEEEZNS1_10merge_implIS3_NS0_12zip_iteratorINS5_IJN6thrust23THRUST_200600_302600_NS6detail15normal_iteratorINSC_10device_ptrIKdEEEESI_EEEEESK_NSA_INS5_IJNSE_INSF_IdEEEESM_EEEEEPS7_SP_SP_NSC_11hip_rocprim7__merge17predicate_wrapperIddNSC_7greaterIdEEEEEE10hipError_tPvRmT0_T1_T2_T3_T4_T5_mmT6_P12ihipStream_tbEUlT_E_NS1_11comp_targetILNS1_3genE2ELNS1_11target_archE906ELNS1_3gpuE6ELNS1_3repE0EEENS1_30default_config_static_selectorELNS0_4arch9wavefront6targetE0EEEvS10_.num_vgpr, 0
	.set _ZN7rocprim17ROCPRIM_400000_NS6detail17trampoline_kernelINS0_14default_configENS1_21merge_config_selectorINS0_5tupleIJddEEENS0_10empty_typeEEEZNS1_10merge_implIS3_NS0_12zip_iteratorINS5_IJN6thrust23THRUST_200600_302600_NS6detail15normal_iteratorINSC_10device_ptrIKdEEEESI_EEEEESK_NSA_INS5_IJNSE_INSF_IdEEEESM_EEEEEPS7_SP_SP_NSC_11hip_rocprim7__merge17predicate_wrapperIddNSC_7greaterIdEEEEEE10hipError_tPvRmT0_T1_T2_T3_T4_T5_mmT6_P12ihipStream_tbEUlT_E_NS1_11comp_targetILNS1_3genE2ELNS1_11target_archE906ELNS1_3gpuE6ELNS1_3repE0EEENS1_30default_config_static_selectorELNS0_4arch9wavefront6targetE0EEEvS10_.num_agpr, 0
	.set _ZN7rocprim17ROCPRIM_400000_NS6detail17trampoline_kernelINS0_14default_configENS1_21merge_config_selectorINS0_5tupleIJddEEENS0_10empty_typeEEEZNS1_10merge_implIS3_NS0_12zip_iteratorINS5_IJN6thrust23THRUST_200600_302600_NS6detail15normal_iteratorINSC_10device_ptrIKdEEEESI_EEEEESK_NSA_INS5_IJNSE_INSF_IdEEEESM_EEEEEPS7_SP_SP_NSC_11hip_rocprim7__merge17predicate_wrapperIddNSC_7greaterIdEEEEEE10hipError_tPvRmT0_T1_T2_T3_T4_T5_mmT6_P12ihipStream_tbEUlT_E_NS1_11comp_targetILNS1_3genE2ELNS1_11target_archE906ELNS1_3gpuE6ELNS1_3repE0EEENS1_30default_config_static_selectorELNS0_4arch9wavefront6targetE0EEEvS10_.numbered_sgpr, 0
	.set _ZN7rocprim17ROCPRIM_400000_NS6detail17trampoline_kernelINS0_14default_configENS1_21merge_config_selectorINS0_5tupleIJddEEENS0_10empty_typeEEEZNS1_10merge_implIS3_NS0_12zip_iteratorINS5_IJN6thrust23THRUST_200600_302600_NS6detail15normal_iteratorINSC_10device_ptrIKdEEEESI_EEEEESK_NSA_INS5_IJNSE_INSF_IdEEEESM_EEEEEPS7_SP_SP_NSC_11hip_rocprim7__merge17predicate_wrapperIddNSC_7greaterIdEEEEEE10hipError_tPvRmT0_T1_T2_T3_T4_T5_mmT6_P12ihipStream_tbEUlT_E_NS1_11comp_targetILNS1_3genE2ELNS1_11target_archE906ELNS1_3gpuE6ELNS1_3repE0EEENS1_30default_config_static_selectorELNS0_4arch9wavefront6targetE0EEEvS10_.num_named_barrier, 0
	.set _ZN7rocprim17ROCPRIM_400000_NS6detail17trampoline_kernelINS0_14default_configENS1_21merge_config_selectorINS0_5tupleIJddEEENS0_10empty_typeEEEZNS1_10merge_implIS3_NS0_12zip_iteratorINS5_IJN6thrust23THRUST_200600_302600_NS6detail15normal_iteratorINSC_10device_ptrIKdEEEESI_EEEEESK_NSA_INS5_IJNSE_INSF_IdEEEESM_EEEEEPS7_SP_SP_NSC_11hip_rocprim7__merge17predicate_wrapperIddNSC_7greaterIdEEEEEE10hipError_tPvRmT0_T1_T2_T3_T4_T5_mmT6_P12ihipStream_tbEUlT_E_NS1_11comp_targetILNS1_3genE2ELNS1_11target_archE906ELNS1_3gpuE6ELNS1_3repE0EEENS1_30default_config_static_selectorELNS0_4arch9wavefront6targetE0EEEvS10_.private_seg_size, 0
	.set _ZN7rocprim17ROCPRIM_400000_NS6detail17trampoline_kernelINS0_14default_configENS1_21merge_config_selectorINS0_5tupleIJddEEENS0_10empty_typeEEEZNS1_10merge_implIS3_NS0_12zip_iteratorINS5_IJN6thrust23THRUST_200600_302600_NS6detail15normal_iteratorINSC_10device_ptrIKdEEEESI_EEEEESK_NSA_INS5_IJNSE_INSF_IdEEEESM_EEEEEPS7_SP_SP_NSC_11hip_rocprim7__merge17predicate_wrapperIddNSC_7greaterIdEEEEEE10hipError_tPvRmT0_T1_T2_T3_T4_T5_mmT6_P12ihipStream_tbEUlT_E_NS1_11comp_targetILNS1_3genE2ELNS1_11target_archE906ELNS1_3gpuE6ELNS1_3repE0EEENS1_30default_config_static_selectorELNS0_4arch9wavefront6targetE0EEEvS10_.uses_vcc, 0
	.set _ZN7rocprim17ROCPRIM_400000_NS6detail17trampoline_kernelINS0_14default_configENS1_21merge_config_selectorINS0_5tupleIJddEEENS0_10empty_typeEEEZNS1_10merge_implIS3_NS0_12zip_iteratorINS5_IJN6thrust23THRUST_200600_302600_NS6detail15normal_iteratorINSC_10device_ptrIKdEEEESI_EEEEESK_NSA_INS5_IJNSE_INSF_IdEEEESM_EEEEEPS7_SP_SP_NSC_11hip_rocprim7__merge17predicate_wrapperIddNSC_7greaterIdEEEEEE10hipError_tPvRmT0_T1_T2_T3_T4_T5_mmT6_P12ihipStream_tbEUlT_E_NS1_11comp_targetILNS1_3genE2ELNS1_11target_archE906ELNS1_3gpuE6ELNS1_3repE0EEENS1_30default_config_static_selectorELNS0_4arch9wavefront6targetE0EEEvS10_.uses_flat_scratch, 0
	.set _ZN7rocprim17ROCPRIM_400000_NS6detail17trampoline_kernelINS0_14default_configENS1_21merge_config_selectorINS0_5tupleIJddEEENS0_10empty_typeEEEZNS1_10merge_implIS3_NS0_12zip_iteratorINS5_IJN6thrust23THRUST_200600_302600_NS6detail15normal_iteratorINSC_10device_ptrIKdEEEESI_EEEEESK_NSA_INS5_IJNSE_INSF_IdEEEESM_EEEEEPS7_SP_SP_NSC_11hip_rocprim7__merge17predicate_wrapperIddNSC_7greaterIdEEEEEE10hipError_tPvRmT0_T1_T2_T3_T4_T5_mmT6_P12ihipStream_tbEUlT_E_NS1_11comp_targetILNS1_3genE2ELNS1_11target_archE906ELNS1_3gpuE6ELNS1_3repE0EEENS1_30default_config_static_selectorELNS0_4arch9wavefront6targetE0EEEvS10_.has_dyn_sized_stack, 0
	.set _ZN7rocprim17ROCPRIM_400000_NS6detail17trampoline_kernelINS0_14default_configENS1_21merge_config_selectorINS0_5tupleIJddEEENS0_10empty_typeEEEZNS1_10merge_implIS3_NS0_12zip_iteratorINS5_IJN6thrust23THRUST_200600_302600_NS6detail15normal_iteratorINSC_10device_ptrIKdEEEESI_EEEEESK_NSA_INS5_IJNSE_INSF_IdEEEESM_EEEEEPS7_SP_SP_NSC_11hip_rocprim7__merge17predicate_wrapperIddNSC_7greaterIdEEEEEE10hipError_tPvRmT0_T1_T2_T3_T4_T5_mmT6_P12ihipStream_tbEUlT_E_NS1_11comp_targetILNS1_3genE2ELNS1_11target_archE906ELNS1_3gpuE6ELNS1_3repE0EEENS1_30default_config_static_selectorELNS0_4arch9wavefront6targetE0EEEvS10_.has_recursion, 0
	.set _ZN7rocprim17ROCPRIM_400000_NS6detail17trampoline_kernelINS0_14default_configENS1_21merge_config_selectorINS0_5tupleIJddEEENS0_10empty_typeEEEZNS1_10merge_implIS3_NS0_12zip_iteratorINS5_IJN6thrust23THRUST_200600_302600_NS6detail15normal_iteratorINSC_10device_ptrIKdEEEESI_EEEEESK_NSA_INS5_IJNSE_INSF_IdEEEESM_EEEEEPS7_SP_SP_NSC_11hip_rocprim7__merge17predicate_wrapperIddNSC_7greaterIdEEEEEE10hipError_tPvRmT0_T1_T2_T3_T4_T5_mmT6_P12ihipStream_tbEUlT_E_NS1_11comp_targetILNS1_3genE2ELNS1_11target_archE906ELNS1_3gpuE6ELNS1_3repE0EEENS1_30default_config_static_selectorELNS0_4arch9wavefront6targetE0EEEvS10_.has_indirect_call, 0
	.section	.AMDGPU.csdata,"",@progbits
; Kernel info:
; codeLenInByte = 0
; TotalNumSgprs: 0
; NumVgprs: 0
; ScratchSize: 0
; MemoryBound: 0
; FloatMode: 240
; IeeeMode: 1
; LDSByteSize: 0 bytes/workgroup (compile time only)
; SGPRBlocks: 0
; VGPRBlocks: 0
; NumSGPRsForWavesPerEU: 1
; NumVGPRsForWavesPerEU: 1
; Occupancy: 16
; WaveLimiterHint : 0
; COMPUTE_PGM_RSRC2:SCRATCH_EN: 0
; COMPUTE_PGM_RSRC2:USER_SGPR: 6
; COMPUTE_PGM_RSRC2:TRAP_HANDLER: 0
; COMPUTE_PGM_RSRC2:TGID_X_EN: 1
; COMPUTE_PGM_RSRC2:TGID_Y_EN: 0
; COMPUTE_PGM_RSRC2:TGID_Z_EN: 0
; COMPUTE_PGM_RSRC2:TIDIG_COMP_CNT: 0
	.section	.text._ZN7rocprim17ROCPRIM_400000_NS6detail17trampoline_kernelINS0_14default_configENS1_21merge_config_selectorINS0_5tupleIJddEEENS0_10empty_typeEEEZNS1_10merge_implIS3_NS0_12zip_iteratorINS5_IJN6thrust23THRUST_200600_302600_NS6detail15normal_iteratorINSC_10device_ptrIKdEEEESI_EEEEESK_NSA_INS5_IJNSE_INSF_IdEEEESM_EEEEEPS7_SP_SP_NSC_11hip_rocprim7__merge17predicate_wrapperIddNSC_7greaterIdEEEEEE10hipError_tPvRmT0_T1_T2_T3_T4_T5_mmT6_P12ihipStream_tbEUlT_E_NS1_11comp_targetILNS1_3genE10ELNS1_11target_archE1201ELNS1_3gpuE5ELNS1_3repE0EEENS1_30default_config_static_selectorELNS0_4arch9wavefront6targetE0EEEvS10_,"axG",@progbits,_ZN7rocprim17ROCPRIM_400000_NS6detail17trampoline_kernelINS0_14default_configENS1_21merge_config_selectorINS0_5tupleIJddEEENS0_10empty_typeEEEZNS1_10merge_implIS3_NS0_12zip_iteratorINS5_IJN6thrust23THRUST_200600_302600_NS6detail15normal_iteratorINSC_10device_ptrIKdEEEESI_EEEEESK_NSA_INS5_IJNSE_INSF_IdEEEESM_EEEEEPS7_SP_SP_NSC_11hip_rocprim7__merge17predicate_wrapperIddNSC_7greaterIdEEEEEE10hipError_tPvRmT0_T1_T2_T3_T4_T5_mmT6_P12ihipStream_tbEUlT_E_NS1_11comp_targetILNS1_3genE10ELNS1_11target_archE1201ELNS1_3gpuE5ELNS1_3repE0EEENS1_30default_config_static_selectorELNS0_4arch9wavefront6targetE0EEEvS10_,comdat
	.protected	_ZN7rocprim17ROCPRIM_400000_NS6detail17trampoline_kernelINS0_14default_configENS1_21merge_config_selectorINS0_5tupleIJddEEENS0_10empty_typeEEEZNS1_10merge_implIS3_NS0_12zip_iteratorINS5_IJN6thrust23THRUST_200600_302600_NS6detail15normal_iteratorINSC_10device_ptrIKdEEEESI_EEEEESK_NSA_INS5_IJNSE_INSF_IdEEEESM_EEEEEPS7_SP_SP_NSC_11hip_rocprim7__merge17predicate_wrapperIddNSC_7greaterIdEEEEEE10hipError_tPvRmT0_T1_T2_T3_T4_T5_mmT6_P12ihipStream_tbEUlT_E_NS1_11comp_targetILNS1_3genE10ELNS1_11target_archE1201ELNS1_3gpuE5ELNS1_3repE0EEENS1_30default_config_static_selectorELNS0_4arch9wavefront6targetE0EEEvS10_ ; -- Begin function _ZN7rocprim17ROCPRIM_400000_NS6detail17trampoline_kernelINS0_14default_configENS1_21merge_config_selectorINS0_5tupleIJddEEENS0_10empty_typeEEEZNS1_10merge_implIS3_NS0_12zip_iteratorINS5_IJN6thrust23THRUST_200600_302600_NS6detail15normal_iteratorINSC_10device_ptrIKdEEEESI_EEEEESK_NSA_INS5_IJNSE_INSF_IdEEEESM_EEEEEPS7_SP_SP_NSC_11hip_rocprim7__merge17predicate_wrapperIddNSC_7greaterIdEEEEEE10hipError_tPvRmT0_T1_T2_T3_T4_T5_mmT6_P12ihipStream_tbEUlT_E_NS1_11comp_targetILNS1_3genE10ELNS1_11target_archE1201ELNS1_3gpuE5ELNS1_3repE0EEENS1_30default_config_static_selectorELNS0_4arch9wavefront6targetE0EEEvS10_
	.globl	_ZN7rocprim17ROCPRIM_400000_NS6detail17trampoline_kernelINS0_14default_configENS1_21merge_config_selectorINS0_5tupleIJddEEENS0_10empty_typeEEEZNS1_10merge_implIS3_NS0_12zip_iteratorINS5_IJN6thrust23THRUST_200600_302600_NS6detail15normal_iteratorINSC_10device_ptrIKdEEEESI_EEEEESK_NSA_INS5_IJNSE_INSF_IdEEEESM_EEEEEPS7_SP_SP_NSC_11hip_rocprim7__merge17predicate_wrapperIddNSC_7greaterIdEEEEEE10hipError_tPvRmT0_T1_T2_T3_T4_T5_mmT6_P12ihipStream_tbEUlT_E_NS1_11comp_targetILNS1_3genE10ELNS1_11target_archE1201ELNS1_3gpuE5ELNS1_3repE0EEENS1_30default_config_static_selectorELNS0_4arch9wavefront6targetE0EEEvS10_
	.p2align	8
	.type	_ZN7rocprim17ROCPRIM_400000_NS6detail17trampoline_kernelINS0_14default_configENS1_21merge_config_selectorINS0_5tupleIJddEEENS0_10empty_typeEEEZNS1_10merge_implIS3_NS0_12zip_iteratorINS5_IJN6thrust23THRUST_200600_302600_NS6detail15normal_iteratorINSC_10device_ptrIKdEEEESI_EEEEESK_NSA_INS5_IJNSE_INSF_IdEEEESM_EEEEEPS7_SP_SP_NSC_11hip_rocprim7__merge17predicate_wrapperIddNSC_7greaterIdEEEEEE10hipError_tPvRmT0_T1_T2_T3_T4_T5_mmT6_P12ihipStream_tbEUlT_E_NS1_11comp_targetILNS1_3genE10ELNS1_11target_archE1201ELNS1_3gpuE5ELNS1_3repE0EEENS1_30default_config_static_selectorELNS0_4arch9wavefront6targetE0EEEvS10_,@function
_ZN7rocprim17ROCPRIM_400000_NS6detail17trampoline_kernelINS0_14default_configENS1_21merge_config_selectorINS0_5tupleIJddEEENS0_10empty_typeEEEZNS1_10merge_implIS3_NS0_12zip_iteratorINS5_IJN6thrust23THRUST_200600_302600_NS6detail15normal_iteratorINSC_10device_ptrIKdEEEESI_EEEEESK_NSA_INS5_IJNSE_INSF_IdEEEESM_EEEEEPS7_SP_SP_NSC_11hip_rocprim7__merge17predicate_wrapperIddNSC_7greaterIdEEEEEE10hipError_tPvRmT0_T1_T2_T3_T4_T5_mmT6_P12ihipStream_tbEUlT_E_NS1_11comp_targetILNS1_3genE10ELNS1_11target_archE1201ELNS1_3gpuE5ELNS1_3repE0EEENS1_30default_config_static_selectorELNS0_4arch9wavefront6targetE0EEEvS10_: ; @_ZN7rocprim17ROCPRIM_400000_NS6detail17trampoline_kernelINS0_14default_configENS1_21merge_config_selectorINS0_5tupleIJddEEENS0_10empty_typeEEEZNS1_10merge_implIS3_NS0_12zip_iteratorINS5_IJN6thrust23THRUST_200600_302600_NS6detail15normal_iteratorINSC_10device_ptrIKdEEEESI_EEEEESK_NSA_INS5_IJNSE_INSF_IdEEEESM_EEEEEPS7_SP_SP_NSC_11hip_rocprim7__merge17predicate_wrapperIddNSC_7greaterIdEEEEEE10hipError_tPvRmT0_T1_T2_T3_T4_T5_mmT6_P12ihipStream_tbEUlT_E_NS1_11comp_targetILNS1_3genE10ELNS1_11target_archE1201ELNS1_3gpuE5ELNS1_3repE0EEENS1_30default_config_static_selectorELNS0_4arch9wavefront6targetE0EEEvS10_
; %bb.0:
	.section	.rodata,"a",@progbits
	.p2align	6, 0x0
	.amdhsa_kernel _ZN7rocprim17ROCPRIM_400000_NS6detail17trampoline_kernelINS0_14default_configENS1_21merge_config_selectorINS0_5tupleIJddEEENS0_10empty_typeEEEZNS1_10merge_implIS3_NS0_12zip_iteratorINS5_IJN6thrust23THRUST_200600_302600_NS6detail15normal_iteratorINSC_10device_ptrIKdEEEESI_EEEEESK_NSA_INS5_IJNSE_INSF_IdEEEESM_EEEEEPS7_SP_SP_NSC_11hip_rocprim7__merge17predicate_wrapperIddNSC_7greaterIdEEEEEE10hipError_tPvRmT0_T1_T2_T3_T4_T5_mmT6_P12ihipStream_tbEUlT_E_NS1_11comp_targetILNS1_3genE10ELNS1_11target_archE1201ELNS1_3gpuE5ELNS1_3repE0EEENS1_30default_config_static_selectorELNS0_4arch9wavefront6targetE0EEEvS10_
		.amdhsa_group_segment_fixed_size 0
		.amdhsa_private_segment_fixed_size 0
		.amdhsa_kernarg_size 64
		.amdhsa_user_sgpr_count 6
		.amdhsa_user_sgpr_private_segment_buffer 1
		.amdhsa_user_sgpr_dispatch_ptr 0
		.amdhsa_user_sgpr_queue_ptr 0
		.amdhsa_user_sgpr_kernarg_segment_ptr 1
		.amdhsa_user_sgpr_dispatch_id 0
		.amdhsa_user_sgpr_flat_scratch_init 0
		.amdhsa_user_sgpr_private_segment_size 0
		.amdhsa_wavefront_size32 1
		.amdhsa_uses_dynamic_stack 0
		.amdhsa_system_sgpr_private_segment_wavefront_offset 0
		.amdhsa_system_sgpr_workgroup_id_x 1
		.amdhsa_system_sgpr_workgroup_id_y 0
		.amdhsa_system_sgpr_workgroup_id_z 0
		.amdhsa_system_sgpr_workgroup_info 0
		.amdhsa_system_vgpr_workitem_id 0
		.amdhsa_next_free_vgpr 1
		.amdhsa_next_free_sgpr 1
		.amdhsa_reserve_vcc 0
		.amdhsa_reserve_flat_scratch 0
		.amdhsa_float_round_mode_32 0
		.amdhsa_float_round_mode_16_64 0
		.amdhsa_float_denorm_mode_32 3
		.amdhsa_float_denorm_mode_16_64 3
		.amdhsa_dx10_clamp 1
		.amdhsa_ieee_mode 1
		.amdhsa_fp16_overflow 0
		.amdhsa_workgroup_processor_mode 1
		.amdhsa_memory_ordered 1
		.amdhsa_forward_progress 1
		.amdhsa_shared_vgpr_count 0
		.amdhsa_exception_fp_ieee_invalid_op 0
		.amdhsa_exception_fp_denorm_src 0
		.amdhsa_exception_fp_ieee_div_zero 0
		.amdhsa_exception_fp_ieee_overflow 0
		.amdhsa_exception_fp_ieee_underflow 0
		.amdhsa_exception_fp_ieee_inexact 0
		.amdhsa_exception_int_div_zero 0
	.end_amdhsa_kernel
	.section	.text._ZN7rocprim17ROCPRIM_400000_NS6detail17trampoline_kernelINS0_14default_configENS1_21merge_config_selectorINS0_5tupleIJddEEENS0_10empty_typeEEEZNS1_10merge_implIS3_NS0_12zip_iteratorINS5_IJN6thrust23THRUST_200600_302600_NS6detail15normal_iteratorINSC_10device_ptrIKdEEEESI_EEEEESK_NSA_INS5_IJNSE_INSF_IdEEEESM_EEEEEPS7_SP_SP_NSC_11hip_rocprim7__merge17predicate_wrapperIddNSC_7greaterIdEEEEEE10hipError_tPvRmT0_T1_T2_T3_T4_T5_mmT6_P12ihipStream_tbEUlT_E_NS1_11comp_targetILNS1_3genE10ELNS1_11target_archE1201ELNS1_3gpuE5ELNS1_3repE0EEENS1_30default_config_static_selectorELNS0_4arch9wavefront6targetE0EEEvS10_,"axG",@progbits,_ZN7rocprim17ROCPRIM_400000_NS6detail17trampoline_kernelINS0_14default_configENS1_21merge_config_selectorINS0_5tupleIJddEEENS0_10empty_typeEEEZNS1_10merge_implIS3_NS0_12zip_iteratorINS5_IJN6thrust23THRUST_200600_302600_NS6detail15normal_iteratorINSC_10device_ptrIKdEEEESI_EEEEESK_NSA_INS5_IJNSE_INSF_IdEEEESM_EEEEEPS7_SP_SP_NSC_11hip_rocprim7__merge17predicate_wrapperIddNSC_7greaterIdEEEEEE10hipError_tPvRmT0_T1_T2_T3_T4_T5_mmT6_P12ihipStream_tbEUlT_E_NS1_11comp_targetILNS1_3genE10ELNS1_11target_archE1201ELNS1_3gpuE5ELNS1_3repE0EEENS1_30default_config_static_selectorELNS0_4arch9wavefront6targetE0EEEvS10_,comdat
.Lfunc_end322:
	.size	_ZN7rocprim17ROCPRIM_400000_NS6detail17trampoline_kernelINS0_14default_configENS1_21merge_config_selectorINS0_5tupleIJddEEENS0_10empty_typeEEEZNS1_10merge_implIS3_NS0_12zip_iteratorINS5_IJN6thrust23THRUST_200600_302600_NS6detail15normal_iteratorINSC_10device_ptrIKdEEEESI_EEEEESK_NSA_INS5_IJNSE_INSF_IdEEEESM_EEEEEPS7_SP_SP_NSC_11hip_rocprim7__merge17predicate_wrapperIddNSC_7greaterIdEEEEEE10hipError_tPvRmT0_T1_T2_T3_T4_T5_mmT6_P12ihipStream_tbEUlT_E_NS1_11comp_targetILNS1_3genE10ELNS1_11target_archE1201ELNS1_3gpuE5ELNS1_3repE0EEENS1_30default_config_static_selectorELNS0_4arch9wavefront6targetE0EEEvS10_, .Lfunc_end322-_ZN7rocprim17ROCPRIM_400000_NS6detail17trampoline_kernelINS0_14default_configENS1_21merge_config_selectorINS0_5tupleIJddEEENS0_10empty_typeEEEZNS1_10merge_implIS3_NS0_12zip_iteratorINS5_IJN6thrust23THRUST_200600_302600_NS6detail15normal_iteratorINSC_10device_ptrIKdEEEESI_EEEEESK_NSA_INS5_IJNSE_INSF_IdEEEESM_EEEEEPS7_SP_SP_NSC_11hip_rocprim7__merge17predicate_wrapperIddNSC_7greaterIdEEEEEE10hipError_tPvRmT0_T1_T2_T3_T4_T5_mmT6_P12ihipStream_tbEUlT_E_NS1_11comp_targetILNS1_3genE10ELNS1_11target_archE1201ELNS1_3gpuE5ELNS1_3repE0EEENS1_30default_config_static_selectorELNS0_4arch9wavefront6targetE0EEEvS10_
                                        ; -- End function
	.set _ZN7rocprim17ROCPRIM_400000_NS6detail17trampoline_kernelINS0_14default_configENS1_21merge_config_selectorINS0_5tupleIJddEEENS0_10empty_typeEEEZNS1_10merge_implIS3_NS0_12zip_iteratorINS5_IJN6thrust23THRUST_200600_302600_NS6detail15normal_iteratorINSC_10device_ptrIKdEEEESI_EEEEESK_NSA_INS5_IJNSE_INSF_IdEEEESM_EEEEEPS7_SP_SP_NSC_11hip_rocprim7__merge17predicate_wrapperIddNSC_7greaterIdEEEEEE10hipError_tPvRmT0_T1_T2_T3_T4_T5_mmT6_P12ihipStream_tbEUlT_E_NS1_11comp_targetILNS1_3genE10ELNS1_11target_archE1201ELNS1_3gpuE5ELNS1_3repE0EEENS1_30default_config_static_selectorELNS0_4arch9wavefront6targetE0EEEvS10_.num_vgpr, 0
	.set _ZN7rocprim17ROCPRIM_400000_NS6detail17trampoline_kernelINS0_14default_configENS1_21merge_config_selectorINS0_5tupleIJddEEENS0_10empty_typeEEEZNS1_10merge_implIS3_NS0_12zip_iteratorINS5_IJN6thrust23THRUST_200600_302600_NS6detail15normal_iteratorINSC_10device_ptrIKdEEEESI_EEEEESK_NSA_INS5_IJNSE_INSF_IdEEEESM_EEEEEPS7_SP_SP_NSC_11hip_rocprim7__merge17predicate_wrapperIddNSC_7greaterIdEEEEEE10hipError_tPvRmT0_T1_T2_T3_T4_T5_mmT6_P12ihipStream_tbEUlT_E_NS1_11comp_targetILNS1_3genE10ELNS1_11target_archE1201ELNS1_3gpuE5ELNS1_3repE0EEENS1_30default_config_static_selectorELNS0_4arch9wavefront6targetE0EEEvS10_.num_agpr, 0
	.set _ZN7rocprim17ROCPRIM_400000_NS6detail17trampoline_kernelINS0_14default_configENS1_21merge_config_selectorINS0_5tupleIJddEEENS0_10empty_typeEEEZNS1_10merge_implIS3_NS0_12zip_iteratorINS5_IJN6thrust23THRUST_200600_302600_NS6detail15normal_iteratorINSC_10device_ptrIKdEEEESI_EEEEESK_NSA_INS5_IJNSE_INSF_IdEEEESM_EEEEEPS7_SP_SP_NSC_11hip_rocprim7__merge17predicate_wrapperIddNSC_7greaterIdEEEEEE10hipError_tPvRmT0_T1_T2_T3_T4_T5_mmT6_P12ihipStream_tbEUlT_E_NS1_11comp_targetILNS1_3genE10ELNS1_11target_archE1201ELNS1_3gpuE5ELNS1_3repE0EEENS1_30default_config_static_selectorELNS0_4arch9wavefront6targetE0EEEvS10_.numbered_sgpr, 0
	.set _ZN7rocprim17ROCPRIM_400000_NS6detail17trampoline_kernelINS0_14default_configENS1_21merge_config_selectorINS0_5tupleIJddEEENS0_10empty_typeEEEZNS1_10merge_implIS3_NS0_12zip_iteratorINS5_IJN6thrust23THRUST_200600_302600_NS6detail15normal_iteratorINSC_10device_ptrIKdEEEESI_EEEEESK_NSA_INS5_IJNSE_INSF_IdEEEESM_EEEEEPS7_SP_SP_NSC_11hip_rocprim7__merge17predicate_wrapperIddNSC_7greaterIdEEEEEE10hipError_tPvRmT0_T1_T2_T3_T4_T5_mmT6_P12ihipStream_tbEUlT_E_NS1_11comp_targetILNS1_3genE10ELNS1_11target_archE1201ELNS1_3gpuE5ELNS1_3repE0EEENS1_30default_config_static_selectorELNS0_4arch9wavefront6targetE0EEEvS10_.num_named_barrier, 0
	.set _ZN7rocprim17ROCPRIM_400000_NS6detail17trampoline_kernelINS0_14default_configENS1_21merge_config_selectorINS0_5tupleIJddEEENS0_10empty_typeEEEZNS1_10merge_implIS3_NS0_12zip_iteratorINS5_IJN6thrust23THRUST_200600_302600_NS6detail15normal_iteratorINSC_10device_ptrIKdEEEESI_EEEEESK_NSA_INS5_IJNSE_INSF_IdEEEESM_EEEEEPS7_SP_SP_NSC_11hip_rocprim7__merge17predicate_wrapperIddNSC_7greaterIdEEEEEE10hipError_tPvRmT0_T1_T2_T3_T4_T5_mmT6_P12ihipStream_tbEUlT_E_NS1_11comp_targetILNS1_3genE10ELNS1_11target_archE1201ELNS1_3gpuE5ELNS1_3repE0EEENS1_30default_config_static_selectorELNS0_4arch9wavefront6targetE0EEEvS10_.private_seg_size, 0
	.set _ZN7rocprim17ROCPRIM_400000_NS6detail17trampoline_kernelINS0_14default_configENS1_21merge_config_selectorINS0_5tupleIJddEEENS0_10empty_typeEEEZNS1_10merge_implIS3_NS0_12zip_iteratorINS5_IJN6thrust23THRUST_200600_302600_NS6detail15normal_iteratorINSC_10device_ptrIKdEEEESI_EEEEESK_NSA_INS5_IJNSE_INSF_IdEEEESM_EEEEEPS7_SP_SP_NSC_11hip_rocprim7__merge17predicate_wrapperIddNSC_7greaterIdEEEEEE10hipError_tPvRmT0_T1_T2_T3_T4_T5_mmT6_P12ihipStream_tbEUlT_E_NS1_11comp_targetILNS1_3genE10ELNS1_11target_archE1201ELNS1_3gpuE5ELNS1_3repE0EEENS1_30default_config_static_selectorELNS0_4arch9wavefront6targetE0EEEvS10_.uses_vcc, 0
	.set _ZN7rocprim17ROCPRIM_400000_NS6detail17trampoline_kernelINS0_14default_configENS1_21merge_config_selectorINS0_5tupleIJddEEENS0_10empty_typeEEEZNS1_10merge_implIS3_NS0_12zip_iteratorINS5_IJN6thrust23THRUST_200600_302600_NS6detail15normal_iteratorINSC_10device_ptrIKdEEEESI_EEEEESK_NSA_INS5_IJNSE_INSF_IdEEEESM_EEEEEPS7_SP_SP_NSC_11hip_rocprim7__merge17predicate_wrapperIddNSC_7greaterIdEEEEEE10hipError_tPvRmT0_T1_T2_T3_T4_T5_mmT6_P12ihipStream_tbEUlT_E_NS1_11comp_targetILNS1_3genE10ELNS1_11target_archE1201ELNS1_3gpuE5ELNS1_3repE0EEENS1_30default_config_static_selectorELNS0_4arch9wavefront6targetE0EEEvS10_.uses_flat_scratch, 0
	.set _ZN7rocprim17ROCPRIM_400000_NS6detail17trampoline_kernelINS0_14default_configENS1_21merge_config_selectorINS0_5tupleIJddEEENS0_10empty_typeEEEZNS1_10merge_implIS3_NS0_12zip_iteratorINS5_IJN6thrust23THRUST_200600_302600_NS6detail15normal_iteratorINSC_10device_ptrIKdEEEESI_EEEEESK_NSA_INS5_IJNSE_INSF_IdEEEESM_EEEEEPS7_SP_SP_NSC_11hip_rocprim7__merge17predicate_wrapperIddNSC_7greaterIdEEEEEE10hipError_tPvRmT0_T1_T2_T3_T4_T5_mmT6_P12ihipStream_tbEUlT_E_NS1_11comp_targetILNS1_3genE10ELNS1_11target_archE1201ELNS1_3gpuE5ELNS1_3repE0EEENS1_30default_config_static_selectorELNS0_4arch9wavefront6targetE0EEEvS10_.has_dyn_sized_stack, 0
	.set _ZN7rocprim17ROCPRIM_400000_NS6detail17trampoline_kernelINS0_14default_configENS1_21merge_config_selectorINS0_5tupleIJddEEENS0_10empty_typeEEEZNS1_10merge_implIS3_NS0_12zip_iteratorINS5_IJN6thrust23THRUST_200600_302600_NS6detail15normal_iteratorINSC_10device_ptrIKdEEEESI_EEEEESK_NSA_INS5_IJNSE_INSF_IdEEEESM_EEEEEPS7_SP_SP_NSC_11hip_rocprim7__merge17predicate_wrapperIddNSC_7greaterIdEEEEEE10hipError_tPvRmT0_T1_T2_T3_T4_T5_mmT6_P12ihipStream_tbEUlT_E_NS1_11comp_targetILNS1_3genE10ELNS1_11target_archE1201ELNS1_3gpuE5ELNS1_3repE0EEENS1_30default_config_static_selectorELNS0_4arch9wavefront6targetE0EEEvS10_.has_recursion, 0
	.set _ZN7rocprim17ROCPRIM_400000_NS6detail17trampoline_kernelINS0_14default_configENS1_21merge_config_selectorINS0_5tupleIJddEEENS0_10empty_typeEEEZNS1_10merge_implIS3_NS0_12zip_iteratorINS5_IJN6thrust23THRUST_200600_302600_NS6detail15normal_iteratorINSC_10device_ptrIKdEEEESI_EEEEESK_NSA_INS5_IJNSE_INSF_IdEEEESM_EEEEEPS7_SP_SP_NSC_11hip_rocprim7__merge17predicate_wrapperIddNSC_7greaterIdEEEEEE10hipError_tPvRmT0_T1_T2_T3_T4_T5_mmT6_P12ihipStream_tbEUlT_E_NS1_11comp_targetILNS1_3genE10ELNS1_11target_archE1201ELNS1_3gpuE5ELNS1_3repE0EEENS1_30default_config_static_selectorELNS0_4arch9wavefront6targetE0EEEvS10_.has_indirect_call, 0
	.section	.AMDGPU.csdata,"",@progbits
; Kernel info:
; codeLenInByte = 0
; TotalNumSgprs: 0
; NumVgprs: 0
; ScratchSize: 0
; MemoryBound: 0
; FloatMode: 240
; IeeeMode: 1
; LDSByteSize: 0 bytes/workgroup (compile time only)
; SGPRBlocks: 0
; VGPRBlocks: 0
; NumSGPRsForWavesPerEU: 1
; NumVGPRsForWavesPerEU: 1
; Occupancy: 16
; WaveLimiterHint : 0
; COMPUTE_PGM_RSRC2:SCRATCH_EN: 0
; COMPUTE_PGM_RSRC2:USER_SGPR: 6
; COMPUTE_PGM_RSRC2:TRAP_HANDLER: 0
; COMPUTE_PGM_RSRC2:TGID_X_EN: 1
; COMPUTE_PGM_RSRC2:TGID_Y_EN: 0
; COMPUTE_PGM_RSRC2:TGID_Z_EN: 0
; COMPUTE_PGM_RSRC2:TIDIG_COMP_CNT: 0
	.section	.text._ZN7rocprim17ROCPRIM_400000_NS6detail17trampoline_kernelINS0_14default_configENS1_21merge_config_selectorINS0_5tupleIJddEEENS0_10empty_typeEEEZNS1_10merge_implIS3_NS0_12zip_iteratorINS5_IJN6thrust23THRUST_200600_302600_NS6detail15normal_iteratorINSC_10device_ptrIKdEEEESI_EEEEESK_NSA_INS5_IJNSE_INSF_IdEEEESM_EEEEEPS7_SP_SP_NSC_11hip_rocprim7__merge17predicate_wrapperIddNSC_7greaterIdEEEEEE10hipError_tPvRmT0_T1_T2_T3_T4_T5_mmT6_P12ihipStream_tbEUlT_E_NS1_11comp_targetILNS1_3genE10ELNS1_11target_archE1200ELNS1_3gpuE4ELNS1_3repE0EEENS1_30default_config_static_selectorELNS0_4arch9wavefront6targetE0EEEvS10_,"axG",@progbits,_ZN7rocprim17ROCPRIM_400000_NS6detail17trampoline_kernelINS0_14default_configENS1_21merge_config_selectorINS0_5tupleIJddEEENS0_10empty_typeEEEZNS1_10merge_implIS3_NS0_12zip_iteratorINS5_IJN6thrust23THRUST_200600_302600_NS6detail15normal_iteratorINSC_10device_ptrIKdEEEESI_EEEEESK_NSA_INS5_IJNSE_INSF_IdEEEESM_EEEEEPS7_SP_SP_NSC_11hip_rocprim7__merge17predicate_wrapperIddNSC_7greaterIdEEEEEE10hipError_tPvRmT0_T1_T2_T3_T4_T5_mmT6_P12ihipStream_tbEUlT_E_NS1_11comp_targetILNS1_3genE10ELNS1_11target_archE1200ELNS1_3gpuE4ELNS1_3repE0EEENS1_30default_config_static_selectorELNS0_4arch9wavefront6targetE0EEEvS10_,comdat
	.protected	_ZN7rocprim17ROCPRIM_400000_NS6detail17trampoline_kernelINS0_14default_configENS1_21merge_config_selectorINS0_5tupleIJddEEENS0_10empty_typeEEEZNS1_10merge_implIS3_NS0_12zip_iteratorINS5_IJN6thrust23THRUST_200600_302600_NS6detail15normal_iteratorINSC_10device_ptrIKdEEEESI_EEEEESK_NSA_INS5_IJNSE_INSF_IdEEEESM_EEEEEPS7_SP_SP_NSC_11hip_rocprim7__merge17predicate_wrapperIddNSC_7greaterIdEEEEEE10hipError_tPvRmT0_T1_T2_T3_T4_T5_mmT6_P12ihipStream_tbEUlT_E_NS1_11comp_targetILNS1_3genE10ELNS1_11target_archE1200ELNS1_3gpuE4ELNS1_3repE0EEENS1_30default_config_static_selectorELNS0_4arch9wavefront6targetE0EEEvS10_ ; -- Begin function _ZN7rocprim17ROCPRIM_400000_NS6detail17trampoline_kernelINS0_14default_configENS1_21merge_config_selectorINS0_5tupleIJddEEENS0_10empty_typeEEEZNS1_10merge_implIS3_NS0_12zip_iteratorINS5_IJN6thrust23THRUST_200600_302600_NS6detail15normal_iteratorINSC_10device_ptrIKdEEEESI_EEEEESK_NSA_INS5_IJNSE_INSF_IdEEEESM_EEEEEPS7_SP_SP_NSC_11hip_rocprim7__merge17predicate_wrapperIddNSC_7greaterIdEEEEEE10hipError_tPvRmT0_T1_T2_T3_T4_T5_mmT6_P12ihipStream_tbEUlT_E_NS1_11comp_targetILNS1_3genE10ELNS1_11target_archE1200ELNS1_3gpuE4ELNS1_3repE0EEENS1_30default_config_static_selectorELNS0_4arch9wavefront6targetE0EEEvS10_
	.globl	_ZN7rocprim17ROCPRIM_400000_NS6detail17trampoline_kernelINS0_14default_configENS1_21merge_config_selectorINS0_5tupleIJddEEENS0_10empty_typeEEEZNS1_10merge_implIS3_NS0_12zip_iteratorINS5_IJN6thrust23THRUST_200600_302600_NS6detail15normal_iteratorINSC_10device_ptrIKdEEEESI_EEEEESK_NSA_INS5_IJNSE_INSF_IdEEEESM_EEEEEPS7_SP_SP_NSC_11hip_rocprim7__merge17predicate_wrapperIddNSC_7greaterIdEEEEEE10hipError_tPvRmT0_T1_T2_T3_T4_T5_mmT6_P12ihipStream_tbEUlT_E_NS1_11comp_targetILNS1_3genE10ELNS1_11target_archE1200ELNS1_3gpuE4ELNS1_3repE0EEENS1_30default_config_static_selectorELNS0_4arch9wavefront6targetE0EEEvS10_
	.p2align	8
	.type	_ZN7rocprim17ROCPRIM_400000_NS6detail17trampoline_kernelINS0_14default_configENS1_21merge_config_selectorINS0_5tupleIJddEEENS0_10empty_typeEEEZNS1_10merge_implIS3_NS0_12zip_iteratorINS5_IJN6thrust23THRUST_200600_302600_NS6detail15normal_iteratorINSC_10device_ptrIKdEEEESI_EEEEESK_NSA_INS5_IJNSE_INSF_IdEEEESM_EEEEEPS7_SP_SP_NSC_11hip_rocprim7__merge17predicate_wrapperIddNSC_7greaterIdEEEEEE10hipError_tPvRmT0_T1_T2_T3_T4_T5_mmT6_P12ihipStream_tbEUlT_E_NS1_11comp_targetILNS1_3genE10ELNS1_11target_archE1200ELNS1_3gpuE4ELNS1_3repE0EEENS1_30default_config_static_selectorELNS0_4arch9wavefront6targetE0EEEvS10_,@function
_ZN7rocprim17ROCPRIM_400000_NS6detail17trampoline_kernelINS0_14default_configENS1_21merge_config_selectorINS0_5tupleIJddEEENS0_10empty_typeEEEZNS1_10merge_implIS3_NS0_12zip_iteratorINS5_IJN6thrust23THRUST_200600_302600_NS6detail15normal_iteratorINSC_10device_ptrIKdEEEESI_EEEEESK_NSA_INS5_IJNSE_INSF_IdEEEESM_EEEEEPS7_SP_SP_NSC_11hip_rocprim7__merge17predicate_wrapperIddNSC_7greaterIdEEEEEE10hipError_tPvRmT0_T1_T2_T3_T4_T5_mmT6_P12ihipStream_tbEUlT_E_NS1_11comp_targetILNS1_3genE10ELNS1_11target_archE1200ELNS1_3gpuE4ELNS1_3repE0EEENS1_30default_config_static_selectorELNS0_4arch9wavefront6targetE0EEEvS10_: ; @_ZN7rocprim17ROCPRIM_400000_NS6detail17trampoline_kernelINS0_14default_configENS1_21merge_config_selectorINS0_5tupleIJddEEENS0_10empty_typeEEEZNS1_10merge_implIS3_NS0_12zip_iteratorINS5_IJN6thrust23THRUST_200600_302600_NS6detail15normal_iteratorINSC_10device_ptrIKdEEEESI_EEEEESK_NSA_INS5_IJNSE_INSF_IdEEEESM_EEEEEPS7_SP_SP_NSC_11hip_rocprim7__merge17predicate_wrapperIddNSC_7greaterIdEEEEEE10hipError_tPvRmT0_T1_T2_T3_T4_T5_mmT6_P12ihipStream_tbEUlT_E_NS1_11comp_targetILNS1_3genE10ELNS1_11target_archE1200ELNS1_3gpuE4ELNS1_3repE0EEENS1_30default_config_static_selectorELNS0_4arch9wavefront6targetE0EEEvS10_
; %bb.0:
	.section	.rodata,"a",@progbits
	.p2align	6, 0x0
	.amdhsa_kernel _ZN7rocprim17ROCPRIM_400000_NS6detail17trampoline_kernelINS0_14default_configENS1_21merge_config_selectorINS0_5tupleIJddEEENS0_10empty_typeEEEZNS1_10merge_implIS3_NS0_12zip_iteratorINS5_IJN6thrust23THRUST_200600_302600_NS6detail15normal_iteratorINSC_10device_ptrIKdEEEESI_EEEEESK_NSA_INS5_IJNSE_INSF_IdEEEESM_EEEEEPS7_SP_SP_NSC_11hip_rocprim7__merge17predicate_wrapperIddNSC_7greaterIdEEEEEE10hipError_tPvRmT0_T1_T2_T3_T4_T5_mmT6_P12ihipStream_tbEUlT_E_NS1_11comp_targetILNS1_3genE10ELNS1_11target_archE1200ELNS1_3gpuE4ELNS1_3repE0EEENS1_30default_config_static_selectorELNS0_4arch9wavefront6targetE0EEEvS10_
		.amdhsa_group_segment_fixed_size 0
		.amdhsa_private_segment_fixed_size 0
		.amdhsa_kernarg_size 64
		.amdhsa_user_sgpr_count 6
		.amdhsa_user_sgpr_private_segment_buffer 1
		.amdhsa_user_sgpr_dispatch_ptr 0
		.amdhsa_user_sgpr_queue_ptr 0
		.amdhsa_user_sgpr_kernarg_segment_ptr 1
		.amdhsa_user_sgpr_dispatch_id 0
		.amdhsa_user_sgpr_flat_scratch_init 0
		.amdhsa_user_sgpr_private_segment_size 0
		.amdhsa_wavefront_size32 1
		.amdhsa_uses_dynamic_stack 0
		.amdhsa_system_sgpr_private_segment_wavefront_offset 0
		.amdhsa_system_sgpr_workgroup_id_x 1
		.amdhsa_system_sgpr_workgroup_id_y 0
		.amdhsa_system_sgpr_workgroup_id_z 0
		.amdhsa_system_sgpr_workgroup_info 0
		.amdhsa_system_vgpr_workitem_id 0
		.amdhsa_next_free_vgpr 1
		.amdhsa_next_free_sgpr 1
		.amdhsa_reserve_vcc 0
		.amdhsa_reserve_flat_scratch 0
		.amdhsa_float_round_mode_32 0
		.amdhsa_float_round_mode_16_64 0
		.amdhsa_float_denorm_mode_32 3
		.amdhsa_float_denorm_mode_16_64 3
		.amdhsa_dx10_clamp 1
		.amdhsa_ieee_mode 1
		.amdhsa_fp16_overflow 0
		.amdhsa_workgroup_processor_mode 1
		.amdhsa_memory_ordered 1
		.amdhsa_forward_progress 1
		.amdhsa_shared_vgpr_count 0
		.amdhsa_exception_fp_ieee_invalid_op 0
		.amdhsa_exception_fp_denorm_src 0
		.amdhsa_exception_fp_ieee_div_zero 0
		.amdhsa_exception_fp_ieee_overflow 0
		.amdhsa_exception_fp_ieee_underflow 0
		.amdhsa_exception_fp_ieee_inexact 0
		.amdhsa_exception_int_div_zero 0
	.end_amdhsa_kernel
	.section	.text._ZN7rocprim17ROCPRIM_400000_NS6detail17trampoline_kernelINS0_14default_configENS1_21merge_config_selectorINS0_5tupleIJddEEENS0_10empty_typeEEEZNS1_10merge_implIS3_NS0_12zip_iteratorINS5_IJN6thrust23THRUST_200600_302600_NS6detail15normal_iteratorINSC_10device_ptrIKdEEEESI_EEEEESK_NSA_INS5_IJNSE_INSF_IdEEEESM_EEEEEPS7_SP_SP_NSC_11hip_rocprim7__merge17predicate_wrapperIddNSC_7greaterIdEEEEEE10hipError_tPvRmT0_T1_T2_T3_T4_T5_mmT6_P12ihipStream_tbEUlT_E_NS1_11comp_targetILNS1_3genE10ELNS1_11target_archE1200ELNS1_3gpuE4ELNS1_3repE0EEENS1_30default_config_static_selectorELNS0_4arch9wavefront6targetE0EEEvS10_,"axG",@progbits,_ZN7rocprim17ROCPRIM_400000_NS6detail17trampoline_kernelINS0_14default_configENS1_21merge_config_selectorINS0_5tupleIJddEEENS0_10empty_typeEEEZNS1_10merge_implIS3_NS0_12zip_iteratorINS5_IJN6thrust23THRUST_200600_302600_NS6detail15normal_iteratorINSC_10device_ptrIKdEEEESI_EEEEESK_NSA_INS5_IJNSE_INSF_IdEEEESM_EEEEEPS7_SP_SP_NSC_11hip_rocprim7__merge17predicate_wrapperIddNSC_7greaterIdEEEEEE10hipError_tPvRmT0_T1_T2_T3_T4_T5_mmT6_P12ihipStream_tbEUlT_E_NS1_11comp_targetILNS1_3genE10ELNS1_11target_archE1200ELNS1_3gpuE4ELNS1_3repE0EEENS1_30default_config_static_selectorELNS0_4arch9wavefront6targetE0EEEvS10_,comdat
.Lfunc_end323:
	.size	_ZN7rocprim17ROCPRIM_400000_NS6detail17trampoline_kernelINS0_14default_configENS1_21merge_config_selectorINS0_5tupleIJddEEENS0_10empty_typeEEEZNS1_10merge_implIS3_NS0_12zip_iteratorINS5_IJN6thrust23THRUST_200600_302600_NS6detail15normal_iteratorINSC_10device_ptrIKdEEEESI_EEEEESK_NSA_INS5_IJNSE_INSF_IdEEEESM_EEEEEPS7_SP_SP_NSC_11hip_rocprim7__merge17predicate_wrapperIddNSC_7greaterIdEEEEEE10hipError_tPvRmT0_T1_T2_T3_T4_T5_mmT6_P12ihipStream_tbEUlT_E_NS1_11comp_targetILNS1_3genE10ELNS1_11target_archE1200ELNS1_3gpuE4ELNS1_3repE0EEENS1_30default_config_static_selectorELNS0_4arch9wavefront6targetE0EEEvS10_, .Lfunc_end323-_ZN7rocprim17ROCPRIM_400000_NS6detail17trampoline_kernelINS0_14default_configENS1_21merge_config_selectorINS0_5tupleIJddEEENS0_10empty_typeEEEZNS1_10merge_implIS3_NS0_12zip_iteratorINS5_IJN6thrust23THRUST_200600_302600_NS6detail15normal_iteratorINSC_10device_ptrIKdEEEESI_EEEEESK_NSA_INS5_IJNSE_INSF_IdEEEESM_EEEEEPS7_SP_SP_NSC_11hip_rocprim7__merge17predicate_wrapperIddNSC_7greaterIdEEEEEE10hipError_tPvRmT0_T1_T2_T3_T4_T5_mmT6_P12ihipStream_tbEUlT_E_NS1_11comp_targetILNS1_3genE10ELNS1_11target_archE1200ELNS1_3gpuE4ELNS1_3repE0EEENS1_30default_config_static_selectorELNS0_4arch9wavefront6targetE0EEEvS10_
                                        ; -- End function
	.set _ZN7rocprim17ROCPRIM_400000_NS6detail17trampoline_kernelINS0_14default_configENS1_21merge_config_selectorINS0_5tupleIJddEEENS0_10empty_typeEEEZNS1_10merge_implIS3_NS0_12zip_iteratorINS5_IJN6thrust23THRUST_200600_302600_NS6detail15normal_iteratorINSC_10device_ptrIKdEEEESI_EEEEESK_NSA_INS5_IJNSE_INSF_IdEEEESM_EEEEEPS7_SP_SP_NSC_11hip_rocprim7__merge17predicate_wrapperIddNSC_7greaterIdEEEEEE10hipError_tPvRmT0_T1_T2_T3_T4_T5_mmT6_P12ihipStream_tbEUlT_E_NS1_11comp_targetILNS1_3genE10ELNS1_11target_archE1200ELNS1_3gpuE4ELNS1_3repE0EEENS1_30default_config_static_selectorELNS0_4arch9wavefront6targetE0EEEvS10_.num_vgpr, 0
	.set _ZN7rocprim17ROCPRIM_400000_NS6detail17trampoline_kernelINS0_14default_configENS1_21merge_config_selectorINS0_5tupleIJddEEENS0_10empty_typeEEEZNS1_10merge_implIS3_NS0_12zip_iteratorINS5_IJN6thrust23THRUST_200600_302600_NS6detail15normal_iteratorINSC_10device_ptrIKdEEEESI_EEEEESK_NSA_INS5_IJNSE_INSF_IdEEEESM_EEEEEPS7_SP_SP_NSC_11hip_rocprim7__merge17predicate_wrapperIddNSC_7greaterIdEEEEEE10hipError_tPvRmT0_T1_T2_T3_T4_T5_mmT6_P12ihipStream_tbEUlT_E_NS1_11comp_targetILNS1_3genE10ELNS1_11target_archE1200ELNS1_3gpuE4ELNS1_3repE0EEENS1_30default_config_static_selectorELNS0_4arch9wavefront6targetE0EEEvS10_.num_agpr, 0
	.set _ZN7rocprim17ROCPRIM_400000_NS6detail17trampoline_kernelINS0_14default_configENS1_21merge_config_selectorINS0_5tupleIJddEEENS0_10empty_typeEEEZNS1_10merge_implIS3_NS0_12zip_iteratorINS5_IJN6thrust23THRUST_200600_302600_NS6detail15normal_iteratorINSC_10device_ptrIKdEEEESI_EEEEESK_NSA_INS5_IJNSE_INSF_IdEEEESM_EEEEEPS7_SP_SP_NSC_11hip_rocprim7__merge17predicate_wrapperIddNSC_7greaterIdEEEEEE10hipError_tPvRmT0_T1_T2_T3_T4_T5_mmT6_P12ihipStream_tbEUlT_E_NS1_11comp_targetILNS1_3genE10ELNS1_11target_archE1200ELNS1_3gpuE4ELNS1_3repE0EEENS1_30default_config_static_selectorELNS0_4arch9wavefront6targetE0EEEvS10_.numbered_sgpr, 0
	.set _ZN7rocprim17ROCPRIM_400000_NS6detail17trampoline_kernelINS0_14default_configENS1_21merge_config_selectorINS0_5tupleIJddEEENS0_10empty_typeEEEZNS1_10merge_implIS3_NS0_12zip_iteratorINS5_IJN6thrust23THRUST_200600_302600_NS6detail15normal_iteratorINSC_10device_ptrIKdEEEESI_EEEEESK_NSA_INS5_IJNSE_INSF_IdEEEESM_EEEEEPS7_SP_SP_NSC_11hip_rocprim7__merge17predicate_wrapperIddNSC_7greaterIdEEEEEE10hipError_tPvRmT0_T1_T2_T3_T4_T5_mmT6_P12ihipStream_tbEUlT_E_NS1_11comp_targetILNS1_3genE10ELNS1_11target_archE1200ELNS1_3gpuE4ELNS1_3repE0EEENS1_30default_config_static_selectorELNS0_4arch9wavefront6targetE0EEEvS10_.num_named_barrier, 0
	.set _ZN7rocprim17ROCPRIM_400000_NS6detail17trampoline_kernelINS0_14default_configENS1_21merge_config_selectorINS0_5tupleIJddEEENS0_10empty_typeEEEZNS1_10merge_implIS3_NS0_12zip_iteratorINS5_IJN6thrust23THRUST_200600_302600_NS6detail15normal_iteratorINSC_10device_ptrIKdEEEESI_EEEEESK_NSA_INS5_IJNSE_INSF_IdEEEESM_EEEEEPS7_SP_SP_NSC_11hip_rocprim7__merge17predicate_wrapperIddNSC_7greaterIdEEEEEE10hipError_tPvRmT0_T1_T2_T3_T4_T5_mmT6_P12ihipStream_tbEUlT_E_NS1_11comp_targetILNS1_3genE10ELNS1_11target_archE1200ELNS1_3gpuE4ELNS1_3repE0EEENS1_30default_config_static_selectorELNS0_4arch9wavefront6targetE0EEEvS10_.private_seg_size, 0
	.set _ZN7rocprim17ROCPRIM_400000_NS6detail17trampoline_kernelINS0_14default_configENS1_21merge_config_selectorINS0_5tupleIJddEEENS0_10empty_typeEEEZNS1_10merge_implIS3_NS0_12zip_iteratorINS5_IJN6thrust23THRUST_200600_302600_NS6detail15normal_iteratorINSC_10device_ptrIKdEEEESI_EEEEESK_NSA_INS5_IJNSE_INSF_IdEEEESM_EEEEEPS7_SP_SP_NSC_11hip_rocprim7__merge17predicate_wrapperIddNSC_7greaterIdEEEEEE10hipError_tPvRmT0_T1_T2_T3_T4_T5_mmT6_P12ihipStream_tbEUlT_E_NS1_11comp_targetILNS1_3genE10ELNS1_11target_archE1200ELNS1_3gpuE4ELNS1_3repE0EEENS1_30default_config_static_selectorELNS0_4arch9wavefront6targetE0EEEvS10_.uses_vcc, 0
	.set _ZN7rocprim17ROCPRIM_400000_NS6detail17trampoline_kernelINS0_14default_configENS1_21merge_config_selectorINS0_5tupleIJddEEENS0_10empty_typeEEEZNS1_10merge_implIS3_NS0_12zip_iteratorINS5_IJN6thrust23THRUST_200600_302600_NS6detail15normal_iteratorINSC_10device_ptrIKdEEEESI_EEEEESK_NSA_INS5_IJNSE_INSF_IdEEEESM_EEEEEPS7_SP_SP_NSC_11hip_rocprim7__merge17predicate_wrapperIddNSC_7greaterIdEEEEEE10hipError_tPvRmT0_T1_T2_T3_T4_T5_mmT6_P12ihipStream_tbEUlT_E_NS1_11comp_targetILNS1_3genE10ELNS1_11target_archE1200ELNS1_3gpuE4ELNS1_3repE0EEENS1_30default_config_static_selectorELNS0_4arch9wavefront6targetE0EEEvS10_.uses_flat_scratch, 0
	.set _ZN7rocprim17ROCPRIM_400000_NS6detail17trampoline_kernelINS0_14default_configENS1_21merge_config_selectorINS0_5tupleIJddEEENS0_10empty_typeEEEZNS1_10merge_implIS3_NS0_12zip_iteratorINS5_IJN6thrust23THRUST_200600_302600_NS6detail15normal_iteratorINSC_10device_ptrIKdEEEESI_EEEEESK_NSA_INS5_IJNSE_INSF_IdEEEESM_EEEEEPS7_SP_SP_NSC_11hip_rocprim7__merge17predicate_wrapperIddNSC_7greaterIdEEEEEE10hipError_tPvRmT0_T1_T2_T3_T4_T5_mmT6_P12ihipStream_tbEUlT_E_NS1_11comp_targetILNS1_3genE10ELNS1_11target_archE1200ELNS1_3gpuE4ELNS1_3repE0EEENS1_30default_config_static_selectorELNS0_4arch9wavefront6targetE0EEEvS10_.has_dyn_sized_stack, 0
	.set _ZN7rocprim17ROCPRIM_400000_NS6detail17trampoline_kernelINS0_14default_configENS1_21merge_config_selectorINS0_5tupleIJddEEENS0_10empty_typeEEEZNS1_10merge_implIS3_NS0_12zip_iteratorINS5_IJN6thrust23THRUST_200600_302600_NS6detail15normal_iteratorINSC_10device_ptrIKdEEEESI_EEEEESK_NSA_INS5_IJNSE_INSF_IdEEEESM_EEEEEPS7_SP_SP_NSC_11hip_rocprim7__merge17predicate_wrapperIddNSC_7greaterIdEEEEEE10hipError_tPvRmT0_T1_T2_T3_T4_T5_mmT6_P12ihipStream_tbEUlT_E_NS1_11comp_targetILNS1_3genE10ELNS1_11target_archE1200ELNS1_3gpuE4ELNS1_3repE0EEENS1_30default_config_static_selectorELNS0_4arch9wavefront6targetE0EEEvS10_.has_recursion, 0
	.set _ZN7rocprim17ROCPRIM_400000_NS6detail17trampoline_kernelINS0_14default_configENS1_21merge_config_selectorINS0_5tupleIJddEEENS0_10empty_typeEEEZNS1_10merge_implIS3_NS0_12zip_iteratorINS5_IJN6thrust23THRUST_200600_302600_NS6detail15normal_iteratorINSC_10device_ptrIKdEEEESI_EEEEESK_NSA_INS5_IJNSE_INSF_IdEEEESM_EEEEEPS7_SP_SP_NSC_11hip_rocprim7__merge17predicate_wrapperIddNSC_7greaterIdEEEEEE10hipError_tPvRmT0_T1_T2_T3_T4_T5_mmT6_P12ihipStream_tbEUlT_E_NS1_11comp_targetILNS1_3genE10ELNS1_11target_archE1200ELNS1_3gpuE4ELNS1_3repE0EEENS1_30default_config_static_selectorELNS0_4arch9wavefront6targetE0EEEvS10_.has_indirect_call, 0
	.section	.AMDGPU.csdata,"",@progbits
; Kernel info:
; codeLenInByte = 0
; TotalNumSgprs: 0
; NumVgprs: 0
; ScratchSize: 0
; MemoryBound: 0
; FloatMode: 240
; IeeeMode: 1
; LDSByteSize: 0 bytes/workgroup (compile time only)
; SGPRBlocks: 0
; VGPRBlocks: 0
; NumSGPRsForWavesPerEU: 1
; NumVGPRsForWavesPerEU: 1
; Occupancy: 16
; WaveLimiterHint : 0
; COMPUTE_PGM_RSRC2:SCRATCH_EN: 0
; COMPUTE_PGM_RSRC2:USER_SGPR: 6
; COMPUTE_PGM_RSRC2:TRAP_HANDLER: 0
; COMPUTE_PGM_RSRC2:TGID_X_EN: 1
; COMPUTE_PGM_RSRC2:TGID_Y_EN: 0
; COMPUTE_PGM_RSRC2:TGID_Z_EN: 0
; COMPUTE_PGM_RSRC2:TIDIG_COMP_CNT: 0
	.section	.text._ZN7rocprim17ROCPRIM_400000_NS6detail17trampoline_kernelINS0_14default_configENS1_21merge_config_selectorINS0_5tupleIJddEEENS0_10empty_typeEEEZNS1_10merge_implIS3_NS0_12zip_iteratorINS5_IJN6thrust23THRUST_200600_302600_NS6detail15normal_iteratorINSC_10device_ptrIKdEEEESI_EEEEESK_NSA_INS5_IJNSE_INSF_IdEEEESM_EEEEEPS7_SP_SP_NSC_11hip_rocprim7__merge17predicate_wrapperIddNSC_7greaterIdEEEEEE10hipError_tPvRmT0_T1_T2_T3_T4_T5_mmT6_P12ihipStream_tbEUlT_E_NS1_11comp_targetILNS1_3genE9ELNS1_11target_archE1100ELNS1_3gpuE3ELNS1_3repE0EEENS1_30default_config_static_selectorELNS0_4arch9wavefront6targetE0EEEvS10_,"axG",@progbits,_ZN7rocprim17ROCPRIM_400000_NS6detail17trampoline_kernelINS0_14default_configENS1_21merge_config_selectorINS0_5tupleIJddEEENS0_10empty_typeEEEZNS1_10merge_implIS3_NS0_12zip_iteratorINS5_IJN6thrust23THRUST_200600_302600_NS6detail15normal_iteratorINSC_10device_ptrIKdEEEESI_EEEEESK_NSA_INS5_IJNSE_INSF_IdEEEESM_EEEEEPS7_SP_SP_NSC_11hip_rocprim7__merge17predicate_wrapperIddNSC_7greaterIdEEEEEE10hipError_tPvRmT0_T1_T2_T3_T4_T5_mmT6_P12ihipStream_tbEUlT_E_NS1_11comp_targetILNS1_3genE9ELNS1_11target_archE1100ELNS1_3gpuE3ELNS1_3repE0EEENS1_30default_config_static_selectorELNS0_4arch9wavefront6targetE0EEEvS10_,comdat
	.protected	_ZN7rocprim17ROCPRIM_400000_NS6detail17trampoline_kernelINS0_14default_configENS1_21merge_config_selectorINS0_5tupleIJddEEENS0_10empty_typeEEEZNS1_10merge_implIS3_NS0_12zip_iteratorINS5_IJN6thrust23THRUST_200600_302600_NS6detail15normal_iteratorINSC_10device_ptrIKdEEEESI_EEEEESK_NSA_INS5_IJNSE_INSF_IdEEEESM_EEEEEPS7_SP_SP_NSC_11hip_rocprim7__merge17predicate_wrapperIddNSC_7greaterIdEEEEEE10hipError_tPvRmT0_T1_T2_T3_T4_T5_mmT6_P12ihipStream_tbEUlT_E_NS1_11comp_targetILNS1_3genE9ELNS1_11target_archE1100ELNS1_3gpuE3ELNS1_3repE0EEENS1_30default_config_static_selectorELNS0_4arch9wavefront6targetE0EEEvS10_ ; -- Begin function _ZN7rocprim17ROCPRIM_400000_NS6detail17trampoline_kernelINS0_14default_configENS1_21merge_config_selectorINS0_5tupleIJddEEENS0_10empty_typeEEEZNS1_10merge_implIS3_NS0_12zip_iteratorINS5_IJN6thrust23THRUST_200600_302600_NS6detail15normal_iteratorINSC_10device_ptrIKdEEEESI_EEEEESK_NSA_INS5_IJNSE_INSF_IdEEEESM_EEEEEPS7_SP_SP_NSC_11hip_rocprim7__merge17predicate_wrapperIddNSC_7greaterIdEEEEEE10hipError_tPvRmT0_T1_T2_T3_T4_T5_mmT6_P12ihipStream_tbEUlT_E_NS1_11comp_targetILNS1_3genE9ELNS1_11target_archE1100ELNS1_3gpuE3ELNS1_3repE0EEENS1_30default_config_static_selectorELNS0_4arch9wavefront6targetE0EEEvS10_
	.globl	_ZN7rocprim17ROCPRIM_400000_NS6detail17trampoline_kernelINS0_14default_configENS1_21merge_config_selectorINS0_5tupleIJddEEENS0_10empty_typeEEEZNS1_10merge_implIS3_NS0_12zip_iteratorINS5_IJN6thrust23THRUST_200600_302600_NS6detail15normal_iteratorINSC_10device_ptrIKdEEEESI_EEEEESK_NSA_INS5_IJNSE_INSF_IdEEEESM_EEEEEPS7_SP_SP_NSC_11hip_rocprim7__merge17predicate_wrapperIddNSC_7greaterIdEEEEEE10hipError_tPvRmT0_T1_T2_T3_T4_T5_mmT6_P12ihipStream_tbEUlT_E_NS1_11comp_targetILNS1_3genE9ELNS1_11target_archE1100ELNS1_3gpuE3ELNS1_3repE0EEENS1_30default_config_static_selectorELNS0_4arch9wavefront6targetE0EEEvS10_
	.p2align	8
	.type	_ZN7rocprim17ROCPRIM_400000_NS6detail17trampoline_kernelINS0_14default_configENS1_21merge_config_selectorINS0_5tupleIJddEEENS0_10empty_typeEEEZNS1_10merge_implIS3_NS0_12zip_iteratorINS5_IJN6thrust23THRUST_200600_302600_NS6detail15normal_iteratorINSC_10device_ptrIKdEEEESI_EEEEESK_NSA_INS5_IJNSE_INSF_IdEEEESM_EEEEEPS7_SP_SP_NSC_11hip_rocprim7__merge17predicate_wrapperIddNSC_7greaterIdEEEEEE10hipError_tPvRmT0_T1_T2_T3_T4_T5_mmT6_P12ihipStream_tbEUlT_E_NS1_11comp_targetILNS1_3genE9ELNS1_11target_archE1100ELNS1_3gpuE3ELNS1_3repE0EEENS1_30default_config_static_selectorELNS0_4arch9wavefront6targetE0EEEvS10_,@function
_ZN7rocprim17ROCPRIM_400000_NS6detail17trampoline_kernelINS0_14default_configENS1_21merge_config_selectorINS0_5tupleIJddEEENS0_10empty_typeEEEZNS1_10merge_implIS3_NS0_12zip_iteratorINS5_IJN6thrust23THRUST_200600_302600_NS6detail15normal_iteratorINSC_10device_ptrIKdEEEESI_EEEEESK_NSA_INS5_IJNSE_INSF_IdEEEESM_EEEEEPS7_SP_SP_NSC_11hip_rocprim7__merge17predicate_wrapperIddNSC_7greaterIdEEEEEE10hipError_tPvRmT0_T1_T2_T3_T4_T5_mmT6_P12ihipStream_tbEUlT_E_NS1_11comp_targetILNS1_3genE9ELNS1_11target_archE1100ELNS1_3gpuE3ELNS1_3repE0EEENS1_30default_config_static_selectorELNS0_4arch9wavefront6targetE0EEEvS10_: ; @_ZN7rocprim17ROCPRIM_400000_NS6detail17trampoline_kernelINS0_14default_configENS1_21merge_config_selectorINS0_5tupleIJddEEENS0_10empty_typeEEEZNS1_10merge_implIS3_NS0_12zip_iteratorINS5_IJN6thrust23THRUST_200600_302600_NS6detail15normal_iteratorINSC_10device_ptrIKdEEEESI_EEEEESK_NSA_INS5_IJNSE_INSF_IdEEEESM_EEEEEPS7_SP_SP_NSC_11hip_rocprim7__merge17predicate_wrapperIddNSC_7greaterIdEEEEEE10hipError_tPvRmT0_T1_T2_T3_T4_T5_mmT6_P12ihipStream_tbEUlT_E_NS1_11comp_targetILNS1_3genE9ELNS1_11target_archE1100ELNS1_3gpuE3ELNS1_3repE0EEENS1_30default_config_static_selectorELNS0_4arch9wavefront6targetE0EEEvS10_
; %bb.0:
	.section	.rodata,"a",@progbits
	.p2align	6, 0x0
	.amdhsa_kernel _ZN7rocprim17ROCPRIM_400000_NS6detail17trampoline_kernelINS0_14default_configENS1_21merge_config_selectorINS0_5tupleIJddEEENS0_10empty_typeEEEZNS1_10merge_implIS3_NS0_12zip_iteratorINS5_IJN6thrust23THRUST_200600_302600_NS6detail15normal_iteratorINSC_10device_ptrIKdEEEESI_EEEEESK_NSA_INS5_IJNSE_INSF_IdEEEESM_EEEEEPS7_SP_SP_NSC_11hip_rocprim7__merge17predicate_wrapperIddNSC_7greaterIdEEEEEE10hipError_tPvRmT0_T1_T2_T3_T4_T5_mmT6_P12ihipStream_tbEUlT_E_NS1_11comp_targetILNS1_3genE9ELNS1_11target_archE1100ELNS1_3gpuE3ELNS1_3repE0EEENS1_30default_config_static_selectorELNS0_4arch9wavefront6targetE0EEEvS10_
		.amdhsa_group_segment_fixed_size 0
		.amdhsa_private_segment_fixed_size 0
		.amdhsa_kernarg_size 64
		.amdhsa_user_sgpr_count 6
		.amdhsa_user_sgpr_private_segment_buffer 1
		.amdhsa_user_sgpr_dispatch_ptr 0
		.amdhsa_user_sgpr_queue_ptr 0
		.amdhsa_user_sgpr_kernarg_segment_ptr 1
		.amdhsa_user_sgpr_dispatch_id 0
		.amdhsa_user_sgpr_flat_scratch_init 0
		.amdhsa_user_sgpr_private_segment_size 0
		.amdhsa_wavefront_size32 1
		.amdhsa_uses_dynamic_stack 0
		.amdhsa_system_sgpr_private_segment_wavefront_offset 0
		.amdhsa_system_sgpr_workgroup_id_x 1
		.amdhsa_system_sgpr_workgroup_id_y 0
		.amdhsa_system_sgpr_workgroup_id_z 0
		.amdhsa_system_sgpr_workgroup_info 0
		.amdhsa_system_vgpr_workitem_id 0
		.amdhsa_next_free_vgpr 1
		.amdhsa_next_free_sgpr 1
		.amdhsa_reserve_vcc 0
		.amdhsa_reserve_flat_scratch 0
		.amdhsa_float_round_mode_32 0
		.amdhsa_float_round_mode_16_64 0
		.amdhsa_float_denorm_mode_32 3
		.amdhsa_float_denorm_mode_16_64 3
		.amdhsa_dx10_clamp 1
		.amdhsa_ieee_mode 1
		.amdhsa_fp16_overflow 0
		.amdhsa_workgroup_processor_mode 1
		.amdhsa_memory_ordered 1
		.amdhsa_forward_progress 1
		.amdhsa_shared_vgpr_count 0
		.amdhsa_exception_fp_ieee_invalid_op 0
		.amdhsa_exception_fp_denorm_src 0
		.amdhsa_exception_fp_ieee_div_zero 0
		.amdhsa_exception_fp_ieee_overflow 0
		.amdhsa_exception_fp_ieee_underflow 0
		.amdhsa_exception_fp_ieee_inexact 0
		.amdhsa_exception_int_div_zero 0
	.end_amdhsa_kernel
	.section	.text._ZN7rocprim17ROCPRIM_400000_NS6detail17trampoline_kernelINS0_14default_configENS1_21merge_config_selectorINS0_5tupleIJddEEENS0_10empty_typeEEEZNS1_10merge_implIS3_NS0_12zip_iteratorINS5_IJN6thrust23THRUST_200600_302600_NS6detail15normal_iteratorINSC_10device_ptrIKdEEEESI_EEEEESK_NSA_INS5_IJNSE_INSF_IdEEEESM_EEEEEPS7_SP_SP_NSC_11hip_rocprim7__merge17predicate_wrapperIddNSC_7greaterIdEEEEEE10hipError_tPvRmT0_T1_T2_T3_T4_T5_mmT6_P12ihipStream_tbEUlT_E_NS1_11comp_targetILNS1_3genE9ELNS1_11target_archE1100ELNS1_3gpuE3ELNS1_3repE0EEENS1_30default_config_static_selectorELNS0_4arch9wavefront6targetE0EEEvS10_,"axG",@progbits,_ZN7rocprim17ROCPRIM_400000_NS6detail17trampoline_kernelINS0_14default_configENS1_21merge_config_selectorINS0_5tupleIJddEEENS0_10empty_typeEEEZNS1_10merge_implIS3_NS0_12zip_iteratorINS5_IJN6thrust23THRUST_200600_302600_NS6detail15normal_iteratorINSC_10device_ptrIKdEEEESI_EEEEESK_NSA_INS5_IJNSE_INSF_IdEEEESM_EEEEEPS7_SP_SP_NSC_11hip_rocprim7__merge17predicate_wrapperIddNSC_7greaterIdEEEEEE10hipError_tPvRmT0_T1_T2_T3_T4_T5_mmT6_P12ihipStream_tbEUlT_E_NS1_11comp_targetILNS1_3genE9ELNS1_11target_archE1100ELNS1_3gpuE3ELNS1_3repE0EEENS1_30default_config_static_selectorELNS0_4arch9wavefront6targetE0EEEvS10_,comdat
.Lfunc_end324:
	.size	_ZN7rocprim17ROCPRIM_400000_NS6detail17trampoline_kernelINS0_14default_configENS1_21merge_config_selectorINS0_5tupleIJddEEENS0_10empty_typeEEEZNS1_10merge_implIS3_NS0_12zip_iteratorINS5_IJN6thrust23THRUST_200600_302600_NS6detail15normal_iteratorINSC_10device_ptrIKdEEEESI_EEEEESK_NSA_INS5_IJNSE_INSF_IdEEEESM_EEEEEPS7_SP_SP_NSC_11hip_rocprim7__merge17predicate_wrapperIddNSC_7greaterIdEEEEEE10hipError_tPvRmT0_T1_T2_T3_T4_T5_mmT6_P12ihipStream_tbEUlT_E_NS1_11comp_targetILNS1_3genE9ELNS1_11target_archE1100ELNS1_3gpuE3ELNS1_3repE0EEENS1_30default_config_static_selectorELNS0_4arch9wavefront6targetE0EEEvS10_, .Lfunc_end324-_ZN7rocprim17ROCPRIM_400000_NS6detail17trampoline_kernelINS0_14default_configENS1_21merge_config_selectorINS0_5tupleIJddEEENS0_10empty_typeEEEZNS1_10merge_implIS3_NS0_12zip_iteratorINS5_IJN6thrust23THRUST_200600_302600_NS6detail15normal_iteratorINSC_10device_ptrIKdEEEESI_EEEEESK_NSA_INS5_IJNSE_INSF_IdEEEESM_EEEEEPS7_SP_SP_NSC_11hip_rocprim7__merge17predicate_wrapperIddNSC_7greaterIdEEEEEE10hipError_tPvRmT0_T1_T2_T3_T4_T5_mmT6_P12ihipStream_tbEUlT_E_NS1_11comp_targetILNS1_3genE9ELNS1_11target_archE1100ELNS1_3gpuE3ELNS1_3repE0EEENS1_30default_config_static_selectorELNS0_4arch9wavefront6targetE0EEEvS10_
                                        ; -- End function
	.set _ZN7rocprim17ROCPRIM_400000_NS6detail17trampoline_kernelINS0_14default_configENS1_21merge_config_selectorINS0_5tupleIJddEEENS0_10empty_typeEEEZNS1_10merge_implIS3_NS0_12zip_iteratorINS5_IJN6thrust23THRUST_200600_302600_NS6detail15normal_iteratorINSC_10device_ptrIKdEEEESI_EEEEESK_NSA_INS5_IJNSE_INSF_IdEEEESM_EEEEEPS7_SP_SP_NSC_11hip_rocprim7__merge17predicate_wrapperIddNSC_7greaterIdEEEEEE10hipError_tPvRmT0_T1_T2_T3_T4_T5_mmT6_P12ihipStream_tbEUlT_E_NS1_11comp_targetILNS1_3genE9ELNS1_11target_archE1100ELNS1_3gpuE3ELNS1_3repE0EEENS1_30default_config_static_selectorELNS0_4arch9wavefront6targetE0EEEvS10_.num_vgpr, 0
	.set _ZN7rocprim17ROCPRIM_400000_NS6detail17trampoline_kernelINS0_14default_configENS1_21merge_config_selectorINS0_5tupleIJddEEENS0_10empty_typeEEEZNS1_10merge_implIS3_NS0_12zip_iteratorINS5_IJN6thrust23THRUST_200600_302600_NS6detail15normal_iteratorINSC_10device_ptrIKdEEEESI_EEEEESK_NSA_INS5_IJNSE_INSF_IdEEEESM_EEEEEPS7_SP_SP_NSC_11hip_rocprim7__merge17predicate_wrapperIddNSC_7greaterIdEEEEEE10hipError_tPvRmT0_T1_T2_T3_T4_T5_mmT6_P12ihipStream_tbEUlT_E_NS1_11comp_targetILNS1_3genE9ELNS1_11target_archE1100ELNS1_3gpuE3ELNS1_3repE0EEENS1_30default_config_static_selectorELNS0_4arch9wavefront6targetE0EEEvS10_.num_agpr, 0
	.set _ZN7rocprim17ROCPRIM_400000_NS6detail17trampoline_kernelINS0_14default_configENS1_21merge_config_selectorINS0_5tupleIJddEEENS0_10empty_typeEEEZNS1_10merge_implIS3_NS0_12zip_iteratorINS5_IJN6thrust23THRUST_200600_302600_NS6detail15normal_iteratorINSC_10device_ptrIKdEEEESI_EEEEESK_NSA_INS5_IJNSE_INSF_IdEEEESM_EEEEEPS7_SP_SP_NSC_11hip_rocprim7__merge17predicate_wrapperIddNSC_7greaterIdEEEEEE10hipError_tPvRmT0_T1_T2_T3_T4_T5_mmT6_P12ihipStream_tbEUlT_E_NS1_11comp_targetILNS1_3genE9ELNS1_11target_archE1100ELNS1_3gpuE3ELNS1_3repE0EEENS1_30default_config_static_selectorELNS0_4arch9wavefront6targetE0EEEvS10_.numbered_sgpr, 0
	.set _ZN7rocprim17ROCPRIM_400000_NS6detail17trampoline_kernelINS0_14default_configENS1_21merge_config_selectorINS0_5tupleIJddEEENS0_10empty_typeEEEZNS1_10merge_implIS3_NS0_12zip_iteratorINS5_IJN6thrust23THRUST_200600_302600_NS6detail15normal_iteratorINSC_10device_ptrIKdEEEESI_EEEEESK_NSA_INS5_IJNSE_INSF_IdEEEESM_EEEEEPS7_SP_SP_NSC_11hip_rocprim7__merge17predicate_wrapperIddNSC_7greaterIdEEEEEE10hipError_tPvRmT0_T1_T2_T3_T4_T5_mmT6_P12ihipStream_tbEUlT_E_NS1_11comp_targetILNS1_3genE9ELNS1_11target_archE1100ELNS1_3gpuE3ELNS1_3repE0EEENS1_30default_config_static_selectorELNS0_4arch9wavefront6targetE0EEEvS10_.num_named_barrier, 0
	.set _ZN7rocprim17ROCPRIM_400000_NS6detail17trampoline_kernelINS0_14default_configENS1_21merge_config_selectorINS0_5tupleIJddEEENS0_10empty_typeEEEZNS1_10merge_implIS3_NS0_12zip_iteratorINS5_IJN6thrust23THRUST_200600_302600_NS6detail15normal_iteratorINSC_10device_ptrIKdEEEESI_EEEEESK_NSA_INS5_IJNSE_INSF_IdEEEESM_EEEEEPS7_SP_SP_NSC_11hip_rocprim7__merge17predicate_wrapperIddNSC_7greaterIdEEEEEE10hipError_tPvRmT0_T1_T2_T3_T4_T5_mmT6_P12ihipStream_tbEUlT_E_NS1_11comp_targetILNS1_3genE9ELNS1_11target_archE1100ELNS1_3gpuE3ELNS1_3repE0EEENS1_30default_config_static_selectorELNS0_4arch9wavefront6targetE0EEEvS10_.private_seg_size, 0
	.set _ZN7rocprim17ROCPRIM_400000_NS6detail17trampoline_kernelINS0_14default_configENS1_21merge_config_selectorINS0_5tupleIJddEEENS0_10empty_typeEEEZNS1_10merge_implIS3_NS0_12zip_iteratorINS5_IJN6thrust23THRUST_200600_302600_NS6detail15normal_iteratorINSC_10device_ptrIKdEEEESI_EEEEESK_NSA_INS5_IJNSE_INSF_IdEEEESM_EEEEEPS7_SP_SP_NSC_11hip_rocprim7__merge17predicate_wrapperIddNSC_7greaterIdEEEEEE10hipError_tPvRmT0_T1_T2_T3_T4_T5_mmT6_P12ihipStream_tbEUlT_E_NS1_11comp_targetILNS1_3genE9ELNS1_11target_archE1100ELNS1_3gpuE3ELNS1_3repE0EEENS1_30default_config_static_selectorELNS0_4arch9wavefront6targetE0EEEvS10_.uses_vcc, 0
	.set _ZN7rocprim17ROCPRIM_400000_NS6detail17trampoline_kernelINS0_14default_configENS1_21merge_config_selectorINS0_5tupleIJddEEENS0_10empty_typeEEEZNS1_10merge_implIS3_NS0_12zip_iteratorINS5_IJN6thrust23THRUST_200600_302600_NS6detail15normal_iteratorINSC_10device_ptrIKdEEEESI_EEEEESK_NSA_INS5_IJNSE_INSF_IdEEEESM_EEEEEPS7_SP_SP_NSC_11hip_rocprim7__merge17predicate_wrapperIddNSC_7greaterIdEEEEEE10hipError_tPvRmT0_T1_T2_T3_T4_T5_mmT6_P12ihipStream_tbEUlT_E_NS1_11comp_targetILNS1_3genE9ELNS1_11target_archE1100ELNS1_3gpuE3ELNS1_3repE0EEENS1_30default_config_static_selectorELNS0_4arch9wavefront6targetE0EEEvS10_.uses_flat_scratch, 0
	.set _ZN7rocprim17ROCPRIM_400000_NS6detail17trampoline_kernelINS0_14default_configENS1_21merge_config_selectorINS0_5tupleIJddEEENS0_10empty_typeEEEZNS1_10merge_implIS3_NS0_12zip_iteratorINS5_IJN6thrust23THRUST_200600_302600_NS6detail15normal_iteratorINSC_10device_ptrIKdEEEESI_EEEEESK_NSA_INS5_IJNSE_INSF_IdEEEESM_EEEEEPS7_SP_SP_NSC_11hip_rocprim7__merge17predicate_wrapperIddNSC_7greaterIdEEEEEE10hipError_tPvRmT0_T1_T2_T3_T4_T5_mmT6_P12ihipStream_tbEUlT_E_NS1_11comp_targetILNS1_3genE9ELNS1_11target_archE1100ELNS1_3gpuE3ELNS1_3repE0EEENS1_30default_config_static_selectorELNS0_4arch9wavefront6targetE0EEEvS10_.has_dyn_sized_stack, 0
	.set _ZN7rocprim17ROCPRIM_400000_NS6detail17trampoline_kernelINS0_14default_configENS1_21merge_config_selectorINS0_5tupleIJddEEENS0_10empty_typeEEEZNS1_10merge_implIS3_NS0_12zip_iteratorINS5_IJN6thrust23THRUST_200600_302600_NS6detail15normal_iteratorINSC_10device_ptrIKdEEEESI_EEEEESK_NSA_INS5_IJNSE_INSF_IdEEEESM_EEEEEPS7_SP_SP_NSC_11hip_rocprim7__merge17predicate_wrapperIddNSC_7greaterIdEEEEEE10hipError_tPvRmT0_T1_T2_T3_T4_T5_mmT6_P12ihipStream_tbEUlT_E_NS1_11comp_targetILNS1_3genE9ELNS1_11target_archE1100ELNS1_3gpuE3ELNS1_3repE0EEENS1_30default_config_static_selectorELNS0_4arch9wavefront6targetE0EEEvS10_.has_recursion, 0
	.set _ZN7rocprim17ROCPRIM_400000_NS6detail17trampoline_kernelINS0_14default_configENS1_21merge_config_selectorINS0_5tupleIJddEEENS0_10empty_typeEEEZNS1_10merge_implIS3_NS0_12zip_iteratorINS5_IJN6thrust23THRUST_200600_302600_NS6detail15normal_iteratorINSC_10device_ptrIKdEEEESI_EEEEESK_NSA_INS5_IJNSE_INSF_IdEEEESM_EEEEEPS7_SP_SP_NSC_11hip_rocprim7__merge17predicate_wrapperIddNSC_7greaterIdEEEEEE10hipError_tPvRmT0_T1_T2_T3_T4_T5_mmT6_P12ihipStream_tbEUlT_E_NS1_11comp_targetILNS1_3genE9ELNS1_11target_archE1100ELNS1_3gpuE3ELNS1_3repE0EEENS1_30default_config_static_selectorELNS0_4arch9wavefront6targetE0EEEvS10_.has_indirect_call, 0
	.section	.AMDGPU.csdata,"",@progbits
; Kernel info:
; codeLenInByte = 0
; TotalNumSgprs: 0
; NumVgprs: 0
; ScratchSize: 0
; MemoryBound: 0
; FloatMode: 240
; IeeeMode: 1
; LDSByteSize: 0 bytes/workgroup (compile time only)
; SGPRBlocks: 0
; VGPRBlocks: 0
; NumSGPRsForWavesPerEU: 1
; NumVGPRsForWavesPerEU: 1
; Occupancy: 16
; WaveLimiterHint : 0
; COMPUTE_PGM_RSRC2:SCRATCH_EN: 0
; COMPUTE_PGM_RSRC2:USER_SGPR: 6
; COMPUTE_PGM_RSRC2:TRAP_HANDLER: 0
; COMPUTE_PGM_RSRC2:TGID_X_EN: 1
; COMPUTE_PGM_RSRC2:TGID_Y_EN: 0
; COMPUTE_PGM_RSRC2:TGID_Z_EN: 0
; COMPUTE_PGM_RSRC2:TIDIG_COMP_CNT: 0
	.section	.text._ZN7rocprim17ROCPRIM_400000_NS6detail17trampoline_kernelINS0_14default_configENS1_21merge_config_selectorINS0_5tupleIJddEEENS0_10empty_typeEEEZNS1_10merge_implIS3_NS0_12zip_iteratorINS5_IJN6thrust23THRUST_200600_302600_NS6detail15normal_iteratorINSC_10device_ptrIKdEEEESI_EEEEESK_NSA_INS5_IJNSE_INSF_IdEEEESM_EEEEEPS7_SP_SP_NSC_11hip_rocprim7__merge17predicate_wrapperIddNSC_7greaterIdEEEEEE10hipError_tPvRmT0_T1_T2_T3_T4_T5_mmT6_P12ihipStream_tbEUlT_E_NS1_11comp_targetILNS1_3genE8ELNS1_11target_archE1030ELNS1_3gpuE2ELNS1_3repE0EEENS1_30default_config_static_selectorELNS0_4arch9wavefront6targetE0EEEvS10_,"axG",@progbits,_ZN7rocprim17ROCPRIM_400000_NS6detail17trampoline_kernelINS0_14default_configENS1_21merge_config_selectorINS0_5tupleIJddEEENS0_10empty_typeEEEZNS1_10merge_implIS3_NS0_12zip_iteratorINS5_IJN6thrust23THRUST_200600_302600_NS6detail15normal_iteratorINSC_10device_ptrIKdEEEESI_EEEEESK_NSA_INS5_IJNSE_INSF_IdEEEESM_EEEEEPS7_SP_SP_NSC_11hip_rocprim7__merge17predicate_wrapperIddNSC_7greaterIdEEEEEE10hipError_tPvRmT0_T1_T2_T3_T4_T5_mmT6_P12ihipStream_tbEUlT_E_NS1_11comp_targetILNS1_3genE8ELNS1_11target_archE1030ELNS1_3gpuE2ELNS1_3repE0EEENS1_30default_config_static_selectorELNS0_4arch9wavefront6targetE0EEEvS10_,comdat
	.protected	_ZN7rocprim17ROCPRIM_400000_NS6detail17trampoline_kernelINS0_14default_configENS1_21merge_config_selectorINS0_5tupleIJddEEENS0_10empty_typeEEEZNS1_10merge_implIS3_NS0_12zip_iteratorINS5_IJN6thrust23THRUST_200600_302600_NS6detail15normal_iteratorINSC_10device_ptrIKdEEEESI_EEEEESK_NSA_INS5_IJNSE_INSF_IdEEEESM_EEEEEPS7_SP_SP_NSC_11hip_rocprim7__merge17predicate_wrapperIddNSC_7greaterIdEEEEEE10hipError_tPvRmT0_T1_T2_T3_T4_T5_mmT6_P12ihipStream_tbEUlT_E_NS1_11comp_targetILNS1_3genE8ELNS1_11target_archE1030ELNS1_3gpuE2ELNS1_3repE0EEENS1_30default_config_static_selectorELNS0_4arch9wavefront6targetE0EEEvS10_ ; -- Begin function _ZN7rocprim17ROCPRIM_400000_NS6detail17trampoline_kernelINS0_14default_configENS1_21merge_config_selectorINS0_5tupleIJddEEENS0_10empty_typeEEEZNS1_10merge_implIS3_NS0_12zip_iteratorINS5_IJN6thrust23THRUST_200600_302600_NS6detail15normal_iteratorINSC_10device_ptrIKdEEEESI_EEEEESK_NSA_INS5_IJNSE_INSF_IdEEEESM_EEEEEPS7_SP_SP_NSC_11hip_rocprim7__merge17predicate_wrapperIddNSC_7greaterIdEEEEEE10hipError_tPvRmT0_T1_T2_T3_T4_T5_mmT6_P12ihipStream_tbEUlT_E_NS1_11comp_targetILNS1_3genE8ELNS1_11target_archE1030ELNS1_3gpuE2ELNS1_3repE0EEENS1_30default_config_static_selectorELNS0_4arch9wavefront6targetE0EEEvS10_
	.globl	_ZN7rocprim17ROCPRIM_400000_NS6detail17trampoline_kernelINS0_14default_configENS1_21merge_config_selectorINS0_5tupleIJddEEENS0_10empty_typeEEEZNS1_10merge_implIS3_NS0_12zip_iteratorINS5_IJN6thrust23THRUST_200600_302600_NS6detail15normal_iteratorINSC_10device_ptrIKdEEEESI_EEEEESK_NSA_INS5_IJNSE_INSF_IdEEEESM_EEEEEPS7_SP_SP_NSC_11hip_rocprim7__merge17predicate_wrapperIddNSC_7greaterIdEEEEEE10hipError_tPvRmT0_T1_T2_T3_T4_T5_mmT6_P12ihipStream_tbEUlT_E_NS1_11comp_targetILNS1_3genE8ELNS1_11target_archE1030ELNS1_3gpuE2ELNS1_3repE0EEENS1_30default_config_static_selectorELNS0_4arch9wavefront6targetE0EEEvS10_
	.p2align	8
	.type	_ZN7rocprim17ROCPRIM_400000_NS6detail17trampoline_kernelINS0_14default_configENS1_21merge_config_selectorINS0_5tupleIJddEEENS0_10empty_typeEEEZNS1_10merge_implIS3_NS0_12zip_iteratorINS5_IJN6thrust23THRUST_200600_302600_NS6detail15normal_iteratorINSC_10device_ptrIKdEEEESI_EEEEESK_NSA_INS5_IJNSE_INSF_IdEEEESM_EEEEEPS7_SP_SP_NSC_11hip_rocprim7__merge17predicate_wrapperIddNSC_7greaterIdEEEEEE10hipError_tPvRmT0_T1_T2_T3_T4_T5_mmT6_P12ihipStream_tbEUlT_E_NS1_11comp_targetILNS1_3genE8ELNS1_11target_archE1030ELNS1_3gpuE2ELNS1_3repE0EEENS1_30default_config_static_selectorELNS0_4arch9wavefront6targetE0EEEvS10_,@function
_ZN7rocprim17ROCPRIM_400000_NS6detail17trampoline_kernelINS0_14default_configENS1_21merge_config_selectorINS0_5tupleIJddEEENS0_10empty_typeEEEZNS1_10merge_implIS3_NS0_12zip_iteratorINS5_IJN6thrust23THRUST_200600_302600_NS6detail15normal_iteratorINSC_10device_ptrIKdEEEESI_EEEEESK_NSA_INS5_IJNSE_INSF_IdEEEESM_EEEEEPS7_SP_SP_NSC_11hip_rocprim7__merge17predicate_wrapperIddNSC_7greaterIdEEEEEE10hipError_tPvRmT0_T1_T2_T3_T4_T5_mmT6_P12ihipStream_tbEUlT_E_NS1_11comp_targetILNS1_3genE8ELNS1_11target_archE1030ELNS1_3gpuE2ELNS1_3repE0EEENS1_30default_config_static_selectorELNS0_4arch9wavefront6targetE0EEEvS10_: ; @_ZN7rocprim17ROCPRIM_400000_NS6detail17trampoline_kernelINS0_14default_configENS1_21merge_config_selectorINS0_5tupleIJddEEENS0_10empty_typeEEEZNS1_10merge_implIS3_NS0_12zip_iteratorINS5_IJN6thrust23THRUST_200600_302600_NS6detail15normal_iteratorINSC_10device_ptrIKdEEEESI_EEEEESK_NSA_INS5_IJNSE_INSF_IdEEEESM_EEEEEPS7_SP_SP_NSC_11hip_rocprim7__merge17predicate_wrapperIddNSC_7greaterIdEEEEEE10hipError_tPvRmT0_T1_T2_T3_T4_T5_mmT6_P12ihipStream_tbEUlT_E_NS1_11comp_targetILNS1_3genE8ELNS1_11target_archE1030ELNS1_3gpuE2ELNS1_3repE0EEENS1_30default_config_static_selectorELNS0_4arch9wavefront6targetE0EEEvS10_
; %bb.0:
	s_clause 0x2
	s_load_dword s2, s[4:5], 0x38
	s_load_dword s0, s[4:5], 0x4c
	s_load_dwordx4 s[12:15], s[4:5], 0x28
	s_waitcnt lgkmcnt(0)
	v_cvt_f32_u32_e32 v1, s2
	s_and_b32 s3, s0, 0xffff
	s_add_u32 s0, s14, s12
	s_addc_u32 s1, s15, s13
	s_sub_i32 s8, 0, s2
	v_rcp_iflag_f32_e32 v1, v1
	s_add_i32 s9, s2, s0
	s_add_i32 s9, s9, -1
	v_mul_f32_e32 v1, 0x4f7ffffe, v1
	v_cvt_u32_f32_e32 v1, v1
	v_readfirstlane_b32 s7, v1
	v_mad_u64_u32 v[0:1], null, s6, s3, v[0:1]
	s_mul_i32 s8, s8, s7
	s_mul_hi_u32 s8, s7, s8
	s_add_i32 s7, s7, s8
	s_mul_hi_u32 s7, s9, s7
	s_mul_i32 s8, s7, s2
	s_sub_i32 s8, s9, s8
	s_add_i32 s9, s7, 1
	s_sub_i32 s10, s8, s2
	s_cmp_ge_u32 s8, s2
	s_cselect_b32 s3, s9, s7
	s_cselect_b32 s6, s10, s8
	s_add_i32 s7, s3, 1
	s_cmp_ge_u32 s6, s2
	s_cselect_b32 s3, s7, s3
	v_cmp_ge_u32_e32 vcc_lo, s3, v0
	s_and_saveexec_b32 s3, vcc_lo
	s_cbranch_execz .LBB325_6
; %bb.1:
	v_mul_lo_u32 v1, v0, s2
	v_mov_b32_e32 v2, 0
	s_load_dwordx4 s[8:11], s[4:5], 0x0
	v_cmp_gt_u64_e32 vcc_lo, s[0:1], v[1:2]
	v_cndmask_b32_e32 v6, s0, v1, vcc_lo
	v_cndmask_b32_e64 v7, s1, 0, vcc_lo
	s_mov_b32 s1, exec_lo
	v_sub_co_u32 v1, vcc_lo, v6, s14
	v_subrev_co_ci_u32_e64 v2, null, s15, v7, vcc_lo
	v_cmp_gt_u64_e64 s0, s[12:13], v[6:7]
	v_cmp_gt_u64_e32 vcc_lo, v[1:2], v[6:7]
	v_cndmask_b32_e64 v5, s13, v7, s0
	v_cndmask_b32_e64 v4, s12, v6, s0
	v_cndmask_b32_e64 v3, v2, 0, vcc_lo
	v_cndmask_b32_e64 v2, v1, 0, vcc_lo
	v_cmpx_lt_u64_e64 v[2:3], v[4:5]
	s_cbranch_execz .LBB325_5
; %bb.2:
	s_load_dwordx2 s[2:3], s[4:5], 0x18
	v_lshlrev_b64 v[6:7], 3, v[6:7]
	s_waitcnt lgkmcnt(0)
	v_add_co_u32 v1, vcc_lo, s2, v6
	v_add_co_ci_u32_e64 v6, null, s3, v7, vcc_lo
	s_mov_b32 s2, 0
	s_inst_prefetch 0x1
	.p2align	6
.LBB325_3:                              ; =>This Inner Loop Header: Depth=1
	v_add_co_u32 v7, vcc_lo, v4, v2
	v_add_co_ci_u32_e64 v8, null, v5, v3, vcc_lo
	v_lshrrev_b64 v[7:8], 1, v[7:8]
	v_lshlrev_b64 v[9:10], 3, v[7:8]
	v_xor_b32_e32 v11, -8, v9
	v_xor_b32_e32 v12, -1, v10
	v_add_co_u32 v9, vcc_lo, s10, v9
	v_add_co_ci_u32_e64 v10, null, s11, v10, vcc_lo
	v_add_co_u32 v11, vcc_lo, v1, v11
	v_add_co_ci_u32_e64 v12, null, v6, v12, vcc_lo
	global_load_dwordx2 v[9:10], v[9:10], off
	global_load_dwordx2 v[11:12], v[11:12], off
	s_waitcnt vmcnt(0)
	v_cmp_gt_f64_e32 vcc_lo, v[11:12], v[9:10]
	v_add_co_u32 v9, s0, v7, 1
	v_add_co_ci_u32_e64 v10, null, 0, v8, s0
	v_cndmask_b32_e32 v5, v5, v8, vcc_lo
	v_cndmask_b32_e32 v4, v4, v7, vcc_lo
	;; [unrolled: 1-line block ×4, first 2 shown]
	v_cmp_ge_u64_e32 vcc_lo, v[2:3], v[4:5]
	s_or_b32 s2, vcc_lo, s2
	s_andn2_b32 exec_lo, exec_lo, s2
	s_cbranch_execnz .LBB325_3
; %bb.4:
	s_inst_prefetch 0x2
	s_or_b32 exec_lo, exec_lo, s2
.LBB325_5:
	s_or_b32 exec_lo, exec_lo, s1
	v_mov_b32_e32 v1, 0
	v_lshlrev_b64 v[0:1], 2, v[0:1]
	s_waitcnt lgkmcnt(0)
	v_add_co_u32 v0, vcc_lo, s8, v0
	v_add_co_ci_u32_e64 v1, null, s9, v1, vcc_lo
	global_store_dword v[0:1], v2, off
.LBB325_6:
	s_endpgm
	.section	.rodata,"a",@progbits
	.p2align	6, 0x0
	.amdhsa_kernel _ZN7rocprim17ROCPRIM_400000_NS6detail17trampoline_kernelINS0_14default_configENS1_21merge_config_selectorINS0_5tupleIJddEEENS0_10empty_typeEEEZNS1_10merge_implIS3_NS0_12zip_iteratorINS5_IJN6thrust23THRUST_200600_302600_NS6detail15normal_iteratorINSC_10device_ptrIKdEEEESI_EEEEESK_NSA_INS5_IJNSE_INSF_IdEEEESM_EEEEEPS7_SP_SP_NSC_11hip_rocprim7__merge17predicate_wrapperIddNSC_7greaterIdEEEEEE10hipError_tPvRmT0_T1_T2_T3_T4_T5_mmT6_P12ihipStream_tbEUlT_E_NS1_11comp_targetILNS1_3genE8ELNS1_11target_archE1030ELNS1_3gpuE2ELNS1_3repE0EEENS1_30default_config_static_selectorELNS0_4arch9wavefront6targetE0EEEvS10_
		.amdhsa_group_segment_fixed_size 0
		.amdhsa_private_segment_fixed_size 0
		.amdhsa_kernarg_size 320
		.amdhsa_user_sgpr_count 6
		.amdhsa_user_sgpr_private_segment_buffer 1
		.amdhsa_user_sgpr_dispatch_ptr 0
		.amdhsa_user_sgpr_queue_ptr 0
		.amdhsa_user_sgpr_kernarg_segment_ptr 1
		.amdhsa_user_sgpr_dispatch_id 0
		.amdhsa_user_sgpr_flat_scratch_init 0
		.amdhsa_user_sgpr_private_segment_size 0
		.amdhsa_wavefront_size32 1
		.amdhsa_uses_dynamic_stack 0
		.amdhsa_system_sgpr_private_segment_wavefront_offset 0
		.amdhsa_system_sgpr_workgroup_id_x 1
		.amdhsa_system_sgpr_workgroup_id_y 0
		.amdhsa_system_sgpr_workgroup_id_z 0
		.amdhsa_system_sgpr_workgroup_info 0
		.amdhsa_system_vgpr_workitem_id 0
		.amdhsa_next_free_vgpr 13
		.amdhsa_next_free_sgpr 16
		.amdhsa_reserve_vcc 1
		.amdhsa_reserve_flat_scratch 0
		.amdhsa_float_round_mode_32 0
		.amdhsa_float_round_mode_16_64 0
		.amdhsa_float_denorm_mode_32 3
		.amdhsa_float_denorm_mode_16_64 3
		.amdhsa_dx10_clamp 1
		.amdhsa_ieee_mode 1
		.amdhsa_fp16_overflow 0
		.amdhsa_workgroup_processor_mode 1
		.amdhsa_memory_ordered 1
		.amdhsa_forward_progress 1
		.amdhsa_shared_vgpr_count 0
		.amdhsa_exception_fp_ieee_invalid_op 0
		.amdhsa_exception_fp_denorm_src 0
		.amdhsa_exception_fp_ieee_div_zero 0
		.amdhsa_exception_fp_ieee_overflow 0
		.amdhsa_exception_fp_ieee_underflow 0
		.amdhsa_exception_fp_ieee_inexact 0
		.amdhsa_exception_int_div_zero 0
	.end_amdhsa_kernel
	.section	.text._ZN7rocprim17ROCPRIM_400000_NS6detail17trampoline_kernelINS0_14default_configENS1_21merge_config_selectorINS0_5tupleIJddEEENS0_10empty_typeEEEZNS1_10merge_implIS3_NS0_12zip_iteratorINS5_IJN6thrust23THRUST_200600_302600_NS6detail15normal_iteratorINSC_10device_ptrIKdEEEESI_EEEEESK_NSA_INS5_IJNSE_INSF_IdEEEESM_EEEEEPS7_SP_SP_NSC_11hip_rocprim7__merge17predicate_wrapperIddNSC_7greaterIdEEEEEE10hipError_tPvRmT0_T1_T2_T3_T4_T5_mmT6_P12ihipStream_tbEUlT_E_NS1_11comp_targetILNS1_3genE8ELNS1_11target_archE1030ELNS1_3gpuE2ELNS1_3repE0EEENS1_30default_config_static_selectorELNS0_4arch9wavefront6targetE0EEEvS10_,"axG",@progbits,_ZN7rocprim17ROCPRIM_400000_NS6detail17trampoline_kernelINS0_14default_configENS1_21merge_config_selectorINS0_5tupleIJddEEENS0_10empty_typeEEEZNS1_10merge_implIS3_NS0_12zip_iteratorINS5_IJN6thrust23THRUST_200600_302600_NS6detail15normal_iteratorINSC_10device_ptrIKdEEEESI_EEEEESK_NSA_INS5_IJNSE_INSF_IdEEEESM_EEEEEPS7_SP_SP_NSC_11hip_rocprim7__merge17predicate_wrapperIddNSC_7greaterIdEEEEEE10hipError_tPvRmT0_T1_T2_T3_T4_T5_mmT6_P12ihipStream_tbEUlT_E_NS1_11comp_targetILNS1_3genE8ELNS1_11target_archE1030ELNS1_3gpuE2ELNS1_3repE0EEENS1_30default_config_static_selectorELNS0_4arch9wavefront6targetE0EEEvS10_,comdat
.Lfunc_end325:
	.size	_ZN7rocprim17ROCPRIM_400000_NS6detail17trampoline_kernelINS0_14default_configENS1_21merge_config_selectorINS0_5tupleIJddEEENS0_10empty_typeEEEZNS1_10merge_implIS3_NS0_12zip_iteratorINS5_IJN6thrust23THRUST_200600_302600_NS6detail15normal_iteratorINSC_10device_ptrIKdEEEESI_EEEEESK_NSA_INS5_IJNSE_INSF_IdEEEESM_EEEEEPS7_SP_SP_NSC_11hip_rocprim7__merge17predicate_wrapperIddNSC_7greaterIdEEEEEE10hipError_tPvRmT0_T1_T2_T3_T4_T5_mmT6_P12ihipStream_tbEUlT_E_NS1_11comp_targetILNS1_3genE8ELNS1_11target_archE1030ELNS1_3gpuE2ELNS1_3repE0EEENS1_30default_config_static_selectorELNS0_4arch9wavefront6targetE0EEEvS10_, .Lfunc_end325-_ZN7rocprim17ROCPRIM_400000_NS6detail17trampoline_kernelINS0_14default_configENS1_21merge_config_selectorINS0_5tupleIJddEEENS0_10empty_typeEEEZNS1_10merge_implIS3_NS0_12zip_iteratorINS5_IJN6thrust23THRUST_200600_302600_NS6detail15normal_iteratorINSC_10device_ptrIKdEEEESI_EEEEESK_NSA_INS5_IJNSE_INSF_IdEEEESM_EEEEEPS7_SP_SP_NSC_11hip_rocprim7__merge17predicate_wrapperIddNSC_7greaterIdEEEEEE10hipError_tPvRmT0_T1_T2_T3_T4_T5_mmT6_P12ihipStream_tbEUlT_E_NS1_11comp_targetILNS1_3genE8ELNS1_11target_archE1030ELNS1_3gpuE2ELNS1_3repE0EEENS1_30default_config_static_selectorELNS0_4arch9wavefront6targetE0EEEvS10_
                                        ; -- End function
	.set _ZN7rocprim17ROCPRIM_400000_NS6detail17trampoline_kernelINS0_14default_configENS1_21merge_config_selectorINS0_5tupleIJddEEENS0_10empty_typeEEEZNS1_10merge_implIS3_NS0_12zip_iteratorINS5_IJN6thrust23THRUST_200600_302600_NS6detail15normal_iteratorINSC_10device_ptrIKdEEEESI_EEEEESK_NSA_INS5_IJNSE_INSF_IdEEEESM_EEEEEPS7_SP_SP_NSC_11hip_rocprim7__merge17predicate_wrapperIddNSC_7greaterIdEEEEEE10hipError_tPvRmT0_T1_T2_T3_T4_T5_mmT6_P12ihipStream_tbEUlT_E_NS1_11comp_targetILNS1_3genE8ELNS1_11target_archE1030ELNS1_3gpuE2ELNS1_3repE0EEENS1_30default_config_static_selectorELNS0_4arch9wavefront6targetE0EEEvS10_.num_vgpr, 13
	.set _ZN7rocprim17ROCPRIM_400000_NS6detail17trampoline_kernelINS0_14default_configENS1_21merge_config_selectorINS0_5tupleIJddEEENS0_10empty_typeEEEZNS1_10merge_implIS3_NS0_12zip_iteratorINS5_IJN6thrust23THRUST_200600_302600_NS6detail15normal_iteratorINSC_10device_ptrIKdEEEESI_EEEEESK_NSA_INS5_IJNSE_INSF_IdEEEESM_EEEEEPS7_SP_SP_NSC_11hip_rocprim7__merge17predicate_wrapperIddNSC_7greaterIdEEEEEE10hipError_tPvRmT0_T1_T2_T3_T4_T5_mmT6_P12ihipStream_tbEUlT_E_NS1_11comp_targetILNS1_3genE8ELNS1_11target_archE1030ELNS1_3gpuE2ELNS1_3repE0EEENS1_30default_config_static_selectorELNS0_4arch9wavefront6targetE0EEEvS10_.num_agpr, 0
	.set _ZN7rocprim17ROCPRIM_400000_NS6detail17trampoline_kernelINS0_14default_configENS1_21merge_config_selectorINS0_5tupleIJddEEENS0_10empty_typeEEEZNS1_10merge_implIS3_NS0_12zip_iteratorINS5_IJN6thrust23THRUST_200600_302600_NS6detail15normal_iteratorINSC_10device_ptrIKdEEEESI_EEEEESK_NSA_INS5_IJNSE_INSF_IdEEEESM_EEEEEPS7_SP_SP_NSC_11hip_rocprim7__merge17predicate_wrapperIddNSC_7greaterIdEEEEEE10hipError_tPvRmT0_T1_T2_T3_T4_T5_mmT6_P12ihipStream_tbEUlT_E_NS1_11comp_targetILNS1_3genE8ELNS1_11target_archE1030ELNS1_3gpuE2ELNS1_3repE0EEENS1_30default_config_static_selectorELNS0_4arch9wavefront6targetE0EEEvS10_.numbered_sgpr, 16
	.set _ZN7rocprim17ROCPRIM_400000_NS6detail17trampoline_kernelINS0_14default_configENS1_21merge_config_selectorINS0_5tupleIJddEEENS0_10empty_typeEEEZNS1_10merge_implIS3_NS0_12zip_iteratorINS5_IJN6thrust23THRUST_200600_302600_NS6detail15normal_iteratorINSC_10device_ptrIKdEEEESI_EEEEESK_NSA_INS5_IJNSE_INSF_IdEEEESM_EEEEEPS7_SP_SP_NSC_11hip_rocprim7__merge17predicate_wrapperIddNSC_7greaterIdEEEEEE10hipError_tPvRmT0_T1_T2_T3_T4_T5_mmT6_P12ihipStream_tbEUlT_E_NS1_11comp_targetILNS1_3genE8ELNS1_11target_archE1030ELNS1_3gpuE2ELNS1_3repE0EEENS1_30default_config_static_selectorELNS0_4arch9wavefront6targetE0EEEvS10_.num_named_barrier, 0
	.set _ZN7rocprim17ROCPRIM_400000_NS6detail17trampoline_kernelINS0_14default_configENS1_21merge_config_selectorINS0_5tupleIJddEEENS0_10empty_typeEEEZNS1_10merge_implIS3_NS0_12zip_iteratorINS5_IJN6thrust23THRUST_200600_302600_NS6detail15normal_iteratorINSC_10device_ptrIKdEEEESI_EEEEESK_NSA_INS5_IJNSE_INSF_IdEEEESM_EEEEEPS7_SP_SP_NSC_11hip_rocprim7__merge17predicate_wrapperIddNSC_7greaterIdEEEEEE10hipError_tPvRmT0_T1_T2_T3_T4_T5_mmT6_P12ihipStream_tbEUlT_E_NS1_11comp_targetILNS1_3genE8ELNS1_11target_archE1030ELNS1_3gpuE2ELNS1_3repE0EEENS1_30default_config_static_selectorELNS0_4arch9wavefront6targetE0EEEvS10_.private_seg_size, 0
	.set _ZN7rocprim17ROCPRIM_400000_NS6detail17trampoline_kernelINS0_14default_configENS1_21merge_config_selectorINS0_5tupleIJddEEENS0_10empty_typeEEEZNS1_10merge_implIS3_NS0_12zip_iteratorINS5_IJN6thrust23THRUST_200600_302600_NS6detail15normal_iteratorINSC_10device_ptrIKdEEEESI_EEEEESK_NSA_INS5_IJNSE_INSF_IdEEEESM_EEEEEPS7_SP_SP_NSC_11hip_rocprim7__merge17predicate_wrapperIddNSC_7greaterIdEEEEEE10hipError_tPvRmT0_T1_T2_T3_T4_T5_mmT6_P12ihipStream_tbEUlT_E_NS1_11comp_targetILNS1_3genE8ELNS1_11target_archE1030ELNS1_3gpuE2ELNS1_3repE0EEENS1_30default_config_static_selectorELNS0_4arch9wavefront6targetE0EEEvS10_.uses_vcc, 1
	.set _ZN7rocprim17ROCPRIM_400000_NS6detail17trampoline_kernelINS0_14default_configENS1_21merge_config_selectorINS0_5tupleIJddEEENS0_10empty_typeEEEZNS1_10merge_implIS3_NS0_12zip_iteratorINS5_IJN6thrust23THRUST_200600_302600_NS6detail15normal_iteratorINSC_10device_ptrIKdEEEESI_EEEEESK_NSA_INS5_IJNSE_INSF_IdEEEESM_EEEEEPS7_SP_SP_NSC_11hip_rocprim7__merge17predicate_wrapperIddNSC_7greaterIdEEEEEE10hipError_tPvRmT0_T1_T2_T3_T4_T5_mmT6_P12ihipStream_tbEUlT_E_NS1_11comp_targetILNS1_3genE8ELNS1_11target_archE1030ELNS1_3gpuE2ELNS1_3repE0EEENS1_30default_config_static_selectorELNS0_4arch9wavefront6targetE0EEEvS10_.uses_flat_scratch, 0
	.set _ZN7rocprim17ROCPRIM_400000_NS6detail17trampoline_kernelINS0_14default_configENS1_21merge_config_selectorINS0_5tupleIJddEEENS0_10empty_typeEEEZNS1_10merge_implIS3_NS0_12zip_iteratorINS5_IJN6thrust23THRUST_200600_302600_NS6detail15normal_iteratorINSC_10device_ptrIKdEEEESI_EEEEESK_NSA_INS5_IJNSE_INSF_IdEEEESM_EEEEEPS7_SP_SP_NSC_11hip_rocprim7__merge17predicate_wrapperIddNSC_7greaterIdEEEEEE10hipError_tPvRmT0_T1_T2_T3_T4_T5_mmT6_P12ihipStream_tbEUlT_E_NS1_11comp_targetILNS1_3genE8ELNS1_11target_archE1030ELNS1_3gpuE2ELNS1_3repE0EEENS1_30default_config_static_selectorELNS0_4arch9wavefront6targetE0EEEvS10_.has_dyn_sized_stack, 0
	.set _ZN7rocprim17ROCPRIM_400000_NS6detail17trampoline_kernelINS0_14default_configENS1_21merge_config_selectorINS0_5tupleIJddEEENS0_10empty_typeEEEZNS1_10merge_implIS3_NS0_12zip_iteratorINS5_IJN6thrust23THRUST_200600_302600_NS6detail15normal_iteratorINSC_10device_ptrIKdEEEESI_EEEEESK_NSA_INS5_IJNSE_INSF_IdEEEESM_EEEEEPS7_SP_SP_NSC_11hip_rocprim7__merge17predicate_wrapperIddNSC_7greaterIdEEEEEE10hipError_tPvRmT0_T1_T2_T3_T4_T5_mmT6_P12ihipStream_tbEUlT_E_NS1_11comp_targetILNS1_3genE8ELNS1_11target_archE1030ELNS1_3gpuE2ELNS1_3repE0EEENS1_30default_config_static_selectorELNS0_4arch9wavefront6targetE0EEEvS10_.has_recursion, 0
	.set _ZN7rocprim17ROCPRIM_400000_NS6detail17trampoline_kernelINS0_14default_configENS1_21merge_config_selectorINS0_5tupleIJddEEENS0_10empty_typeEEEZNS1_10merge_implIS3_NS0_12zip_iteratorINS5_IJN6thrust23THRUST_200600_302600_NS6detail15normal_iteratorINSC_10device_ptrIKdEEEESI_EEEEESK_NSA_INS5_IJNSE_INSF_IdEEEESM_EEEEEPS7_SP_SP_NSC_11hip_rocprim7__merge17predicate_wrapperIddNSC_7greaterIdEEEEEE10hipError_tPvRmT0_T1_T2_T3_T4_T5_mmT6_P12ihipStream_tbEUlT_E_NS1_11comp_targetILNS1_3genE8ELNS1_11target_archE1030ELNS1_3gpuE2ELNS1_3repE0EEENS1_30default_config_static_selectorELNS0_4arch9wavefront6targetE0EEEvS10_.has_indirect_call, 0
	.section	.AMDGPU.csdata,"",@progbits
; Kernel info:
; codeLenInByte = 520
; TotalNumSgprs: 18
; NumVgprs: 13
; ScratchSize: 0
; MemoryBound: 0
; FloatMode: 240
; IeeeMode: 1
; LDSByteSize: 0 bytes/workgroup (compile time only)
; SGPRBlocks: 0
; VGPRBlocks: 1
; NumSGPRsForWavesPerEU: 18
; NumVGPRsForWavesPerEU: 13
; Occupancy: 16
; WaveLimiterHint : 0
; COMPUTE_PGM_RSRC2:SCRATCH_EN: 0
; COMPUTE_PGM_RSRC2:USER_SGPR: 6
; COMPUTE_PGM_RSRC2:TRAP_HANDLER: 0
; COMPUTE_PGM_RSRC2:TGID_X_EN: 1
; COMPUTE_PGM_RSRC2:TGID_Y_EN: 0
; COMPUTE_PGM_RSRC2:TGID_Z_EN: 0
; COMPUTE_PGM_RSRC2:TIDIG_COMP_CNT: 0
	.section	.text._ZN7rocprim17ROCPRIM_400000_NS6detail17trampoline_kernelINS0_14default_configENS1_21merge_config_selectorINS0_5tupleIJddEEENS0_10empty_typeEEEZNS1_10merge_implIS3_NS0_12zip_iteratorINS5_IJN6thrust23THRUST_200600_302600_NS6detail15normal_iteratorINSC_10device_ptrIKdEEEESI_EEEEESK_NSA_INS5_IJNSE_INSF_IdEEEESM_EEEEEPS7_SP_SP_NSC_11hip_rocprim7__merge17predicate_wrapperIddNSC_7greaterIdEEEEEE10hipError_tPvRmT0_T1_T2_T3_T4_T5_mmT6_P12ihipStream_tbEUlT_E0_NS1_11comp_targetILNS1_3genE0ELNS1_11target_archE4294967295ELNS1_3gpuE0ELNS1_3repE0EEENS1_30default_config_static_selectorELNS0_4arch9wavefront6targetE0EEEvS10_,"axG",@progbits,_ZN7rocprim17ROCPRIM_400000_NS6detail17trampoline_kernelINS0_14default_configENS1_21merge_config_selectorINS0_5tupleIJddEEENS0_10empty_typeEEEZNS1_10merge_implIS3_NS0_12zip_iteratorINS5_IJN6thrust23THRUST_200600_302600_NS6detail15normal_iteratorINSC_10device_ptrIKdEEEESI_EEEEESK_NSA_INS5_IJNSE_INSF_IdEEEESM_EEEEEPS7_SP_SP_NSC_11hip_rocprim7__merge17predicate_wrapperIddNSC_7greaterIdEEEEEE10hipError_tPvRmT0_T1_T2_T3_T4_T5_mmT6_P12ihipStream_tbEUlT_E0_NS1_11comp_targetILNS1_3genE0ELNS1_11target_archE4294967295ELNS1_3gpuE0ELNS1_3repE0EEENS1_30default_config_static_selectorELNS0_4arch9wavefront6targetE0EEEvS10_,comdat
	.protected	_ZN7rocprim17ROCPRIM_400000_NS6detail17trampoline_kernelINS0_14default_configENS1_21merge_config_selectorINS0_5tupleIJddEEENS0_10empty_typeEEEZNS1_10merge_implIS3_NS0_12zip_iteratorINS5_IJN6thrust23THRUST_200600_302600_NS6detail15normal_iteratorINSC_10device_ptrIKdEEEESI_EEEEESK_NSA_INS5_IJNSE_INSF_IdEEEESM_EEEEEPS7_SP_SP_NSC_11hip_rocprim7__merge17predicate_wrapperIddNSC_7greaterIdEEEEEE10hipError_tPvRmT0_T1_T2_T3_T4_T5_mmT6_P12ihipStream_tbEUlT_E0_NS1_11comp_targetILNS1_3genE0ELNS1_11target_archE4294967295ELNS1_3gpuE0ELNS1_3repE0EEENS1_30default_config_static_selectorELNS0_4arch9wavefront6targetE0EEEvS10_ ; -- Begin function _ZN7rocprim17ROCPRIM_400000_NS6detail17trampoline_kernelINS0_14default_configENS1_21merge_config_selectorINS0_5tupleIJddEEENS0_10empty_typeEEEZNS1_10merge_implIS3_NS0_12zip_iteratorINS5_IJN6thrust23THRUST_200600_302600_NS6detail15normal_iteratorINSC_10device_ptrIKdEEEESI_EEEEESK_NSA_INS5_IJNSE_INSF_IdEEEESM_EEEEEPS7_SP_SP_NSC_11hip_rocprim7__merge17predicate_wrapperIddNSC_7greaterIdEEEEEE10hipError_tPvRmT0_T1_T2_T3_T4_T5_mmT6_P12ihipStream_tbEUlT_E0_NS1_11comp_targetILNS1_3genE0ELNS1_11target_archE4294967295ELNS1_3gpuE0ELNS1_3repE0EEENS1_30default_config_static_selectorELNS0_4arch9wavefront6targetE0EEEvS10_
	.globl	_ZN7rocprim17ROCPRIM_400000_NS6detail17trampoline_kernelINS0_14default_configENS1_21merge_config_selectorINS0_5tupleIJddEEENS0_10empty_typeEEEZNS1_10merge_implIS3_NS0_12zip_iteratorINS5_IJN6thrust23THRUST_200600_302600_NS6detail15normal_iteratorINSC_10device_ptrIKdEEEESI_EEEEESK_NSA_INS5_IJNSE_INSF_IdEEEESM_EEEEEPS7_SP_SP_NSC_11hip_rocprim7__merge17predicate_wrapperIddNSC_7greaterIdEEEEEE10hipError_tPvRmT0_T1_T2_T3_T4_T5_mmT6_P12ihipStream_tbEUlT_E0_NS1_11comp_targetILNS1_3genE0ELNS1_11target_archE4294967295ELNS1_3gpuE0ELNS1_3repE0EEENS1_30default_config_static_selectorELNS0_4arch9wavefront6targetE0EEEvS10_
	.p2align	8
	.type	_ZN7rocprim17ROCPRIM_400000_NS6detail17trampoline_kernelINS0_14default_configENS1_21merge_config_selectorINS0_5tupleIJddEEENS0_10empty_typeEEEZNS1_10merge_implIS3_NS0_12zip_iteratorINS5_IJN6thrust23THRUST_200600_302600_NS6detail15normal_iteratorINSC_10device_ptrIKdEEEESI_EEEEESK_NSA_INS5_IJNSE_INSF_IdEEEESM_EEEEEPS7_SP_SP_NSC_11hip_rocprim7__merge17predicate_wrapperIddNSC_7greaterIdEEEEEE10hipError_tPvRmT0_T1_T2_T3_T4_T5_mmT6_P12ihipStream_tbEUlT_E0_NS1_11comp_targetILNS1_3genE0ELNS1_11target_archE4294967295ELNS1_3gpuE0ELNS1_3repE0EEENS1_30default_config_static_selectorELNS0_4arch9wavefront6targetE0EEEvS10_,@function
_ZN7rocprim17ROCPRIM_400000_NS6detail17trampoline_kernelINS0_14default_configENS1_21merge_config_selectorINS0_5tupleIJddEEENS0_10empty_typeEEEZNS1_10merge_implIS3_NS0_12zip_iteratorINS5_IJN6thrust23THRUST_200600_302600_NS6detail15normal_iteratorINSC_10device_ptrIKdEEEESI_EEEEESK_NSA_INS5_IJNSE_INSF_IdEEEESM_EEEEEPS7_SP_SP_NSC_11hip_rocprim7__merge17predicate_wrapperIddNSC_7greaterIdEEEEEE10hipError_tPvRmT0_T1_T2_T3_T4_T5_mmT6_P12ihipStream_tbEUlT_E0_NS1_11comp_targetILNS1_3genE0ELNS1_11target_archE4294967295ELNS1_3gpuE0ELNS1_3repE0EEENS1_30default_config_static_selectorELNS0_4arch9wavefront6targetE0EEEvS10_: ; @_ZN7rocprim17ROCPRIM_400000_NS6detail17trampoline_kernelINS0_14default_configENS1_21merge_config_selectorINS0_5tupleIJddEEENS0_10empty_typeEEEZNS1_10merge_implIS3_NS0_12zip_iteratorINS5_IJN6thrust23THRUST_200600_302600_NS6detail15normal_iteratorINSC_10device_ptrIKdEEEESI_EEEEESK_NSA_INS5_IJNSE_INSF_IdEEEESM_EEEEEPS7_SP_SP_NSC_11hip_rocprim7__merge17predicate_wrapperIddNSC_7greaterIdEEEEEE10hipError_tPvRmT0_T1_T2_T3_T4_T5_mmT6_P12ihipStream_tbEUlT_E0_NS1_11comp_targetILNS1_3genE0ELNS1_11target_archE4294967295ELNS1_3gpuE0ELNS1_3repE0EEENS1_30default_config_static_selectorELNS0_4arch9wavefront6targetE0EEEvS10_
; %bb.0:
	.section	.rodata,"a",@progbits
	.p2align	6, 0x0
	.amdhsa_kernel _ZN7rocprim17ROCPRIM_400000_NS6detail17trampoline_kernelINS0_14default_configENS1_21merge_config_selectorINS0_5tupleIJddEEENS0_10empty_typeEEEZNS1_10merge_implIS3_NS0_12zip_iteratorINS5_IJN6thrust23THRUST_200600_302600_NS6detail15normal_iteratorINSC_10device_ptrIKdEEEESI_EEEEESK_NSA_INS5_IJNSE_INSF_IdEEEESM_EEEEEPS7_SP_SP_NSC_11hip_rocprim7__merge17predicate_wrapperIddNSC_7greaterIdEEEEEE10hipError_tPvRmT0_T1_T2_T3_T4_T5_mmT6_P12ihipStream_tbEUlT_E0_NS1_11comp_targetILNS1_3genE0ELNS1_11target_archE4294967295ELNS1_3gpuE0ELNS1_3repE0EEENS1_30default_config_static_selectorELNS0_4arch9wavefront6targetE0EEEvS10_
		.amdhsa_group_segment_fixed_size 0
		.amdhsa_private_segment_fixed_size 0
		.amdhsa_kernarg_size 112
		.amdhsa_user_sgpr_count 6
		.amdhsa_user_sgpr_private_segment_buffer 1
		.amdhsa_user_sgpr_dispatch_ptr 0
		.amdhsa_user_sgpr_queue_ptr 0
		.amdhsa_user_sgpr_kernarg_segment_ptr 1
		.amdhsa_user_sgpr_dispatch_id 0
		.amdhsa_user_sgpr_flat_scratch_init 0
		.amdhsa_user_sgpr_private_segment_size 0
		.amdhsa_wavefront_size32 1
		.amdhsa_uses_dynamic_stack 0
		.amdhsa_system_sgpr_private_segment_wavefront_offset 0
		.amdhsa_system_sgpr_workgroup_id_x 1
		.amdhsa_system_sgpr_workgroup_id_y 0
		.amdhsa_system_sgpr_workgroup_id_z 0
		.amdhsa_system_sgpr_workgroup_info 0
		.amdhsa_system_vgpr_workitem_id 0
		.amdhsa_next_free_vgpr 1
		.amdhsa_next_free_sgpr 1
		.amdhsa_reserve_vcc 0
		.amdhsa_reserve_flat_scratch 0
		.amdhsa_float_round_mode_32 0
		.amdhsa_float_round_mode_16_64 0
		.amdhsa_float_denorm_mode_32 3
		.amdhsa_float_denorm_mode_16_64 3
		.amdhsa_dx10_clamp 1
		.amdhsa_ieee_mode 1
		.amdhsa_fp16_overflow 0
		.amdhsa_workgroup_processor_mode 1
		.amdhsa_memory_ordered 1
		.amdhsa_forward_progress 1
		.amdhsa_shared_vgpr_count 0
		.amdhsa_exception_fp_ieee_invalid_op 0
		.amdhsa_exception_fp_denorm_src 0
		.amdhsa_exception_fp_ieee_div_zero 0
		.amdhsa_exception_fp_ieee_overflow 0
		.amdhsa_exception_fp_ieee_underflow 0
		.amdhsa_exception_fp_ieee_inexact 0
		.amdhsa_exception_int_div_zero 0
	.end_amdhsa_kernel
	.section	.text._ZN7rocprim17ROCPRIM_400000_NS6detail17trampoline_kernelINS0_14default_configENS1_21merge_config_selectorINS0_5tupleIJddEEENS0_10empty_typeEEEZNS1_10merge_implIS3_NS0_12zip_iteratorINS5_IJN6thrust23THRUST_200600_302600_NS6detail15normal_iteratorINSC_10device_ptrIKdEEEESI_EEEEESK_NSA_INS5_IJNSE_INSF_IdEEEESM_EEEEEPS7_SP_SP_NSC_11hip_rocprim7__merge17predicate_wrapperIddNSC_7greaterIdEEEEEE10hipError_tPvRmT0_T1_T2_T3_T4_T5_mmT6_P12ihipStream_tbEUlT_E0_NS1_11comp_targetILNS1_3genE0ELNS1_11target_archE4294967295ELNS1_3gpuE0ELNS1_3repE0EEENS1_30default_config_static_selectorELNS0_4arch9wavefront6targetE0EEEvS10_,"axG",@progbits,_ZN7rocprim17ROCPRIM_400000_NS6detail17trampoline_kernelINS0_14default_configENS1_21merge_config_selectorINS0_5tupleIJddEEENS0_10empty_typeEEEZNS1_10merge_implIS3_NS0_12zip_iteratorINS5_IJN6thrust23THRUST_200600_302600_NS6detail15normal_iteratorINSC_10device_ptrIKdEEEESI_EEEEESK_NSA_INS5_IJNSE_INSF_IdEEEESM_EEEEEPS7_SP_SP_NSC_11hip_rocprim7__merge17predicate_wrapperIddNSC_7greaterIdEEEEEE10hipError_tPvRmT0_T1_T2_T3_T4_T5_mmT6_P12ihipStream_tbEUlT_E0_NS1_11comp_targetILNS1_3genE0ELNS1_11target_archE4294967295ELNS1_3gpuE0ELNS1_3repE0EEENS1_30default_config_static_selectorELNS0_4arch9wavefront6targetE0EEEvS10_,comdat
.Lfunc_end326:
	.size	_ZN7rocprim17ROCPRIM_400000_NS6detail17trampoline_kernelINS0_14default_configENS1_21merge_config_selectorINS0_5tupleIJddEEENS0_10empty_typeEEEZNS1_10merge_implIS3_NS0_12zip_iteratorINS5_IJN6thrust23THRUST_200600_302600_NS6detail15normal_iteratorINSC_10device_ptrIKdEEEESI_EEEEESK_NSA_INS5_IJNSE_INSF_IdEEEESM_EEEEEPS7_SP_SP_NSC_11hip_rocprim7__merge17predicate_wrapperIddNSC_7greaterIdEEEEEE10hipError_tPvRmT0_T1_T2_T3_T4_T5_mmT6_P12ihipStream_tbEUlT_E0_NS1_11comp_targetILNS1_3genE0ELNS1_11target_archE4294967295ELNS1_3gpuE0ELNS1_3repE0EEENS1_30default_config_static_selectorELNS0_4arch9wavefront6targetE0EEEvS10_, .Lfunc_end326-_ZN7rocprim17ROCPRIM_400000_NS6detail17trampoline_kernelINS0_14default_configENS1_21merge_config_selectorINS0_5tupleIJddEEENS0_10empty_typeEEEZNS1_10merge_implIS3_NS0_12zip_iteratorINS5_IJN6thrust23THRUST_200600_302600_NS6detail15normal_iteratorINSC_10device_ptrIKdEEEESI_EEEEESK_NSA_INS5_IJNSE_INSF_IdEEEESM_EEEEEPS7_SP_SP_NSC_11hip_rocprim7__merge17predicate_wrapperIddNSC_7greaterIdEEEEEE10hipError_tPvRmT0_T1_T2_T3_T4_T5_mmT6_P12ihipStream_tbEUlT_E0_NS1_11comp_targetILNS1_3genE0ELNS1_11target_archE4294967295ELNS1_3gpuE0ELNS1_3repE0EEENS1_30default_config_static_selectorELNS0_4arch9wavefront6targetE0EEEvS10_
                                        ; -- End function
	.set _ZN7rocprim17ROCPRIM_400000_NS6detail17trampoline_kernelINS0_14default_configENS1_21merge_config_selectorINS0_5tupleIJddEEENS0_10empty_typeEEEZNS1_10merge_implIS3_NS0_12zip_iteratorINS5_IJN6thrust23THRUST_200600_302600_NS6detail15normal_iteratorINSC_10device_ptrIKdEEEESI_EEEEESK_NSA_INS5_IJNSE_INSF_IdEEEESM_EEEEEPS7_SP_SP_NSC_11hip_rocprim7__merge17predicate_wrapperIddNSC_7greaterIdEEEEEE10hipError_tPvRmT0_T1_T2_T3_T4_T5_mmT6_P12ihipStream_tbEUlT_E0_NS1_11comp_targetILNS1_3genE0ELNS1_11target_archE4294967295ELNS1_3gpuE0ELNS1_3repE0EEENS1_30default_config_static_selectorELNS0_4arch9wavefront6targetE0EEEvS10_.num_vgpr, 0
	.set _ZN7rocprim17ROCPRIM_400000_NS6detail17trampoline_kernelINS0_14default_configENS1_21merge_config_selectorINS0_5tupleIJddEEENS0_10empty_typeEEEZNS1_10merge_implIS3_NS0_12zip_iteratorINS5_IJN6thrust23THRUST_200600_302600_NS6detail15normal_iteratorINSC_10device_ptrIKdEEEESI_EEEEESK_NSA_INS5_IJNSE_INSF_IdEEEESM_EEEEEPS7_SP_SP_NSC_11hip_rocprim7__merge17predicate_wrapperIddNSC_7greaterIdEEEEEE10hipError_tPvRmT0_T1_T2_T3_T4_T5_mmT6_P12ihipStream_tbEUlT_E0_NS1_11comp_targetILNS1_3genE0ELNS1_11target_archE4294967295ELNS1_3gpuE0ELNS1_3repE0EEENS1_30default_config_static_selectorELNS0_4arch9wavefront6targetE0EEEvS10_.num_agpr, 0
	.set _ZN7rocprim17ROCPRIM_400000_NS6detail17trampoline_kernelINS0_14default_configENS1_21merge_config_selectorINS0_5tupleIJddEEENS0_10empty_typeEEEZNS1_10merge_implIS3_NS0_12zip_iteratorINS5_IJN6thrust23THRUST_200600_302600_NS6detail15normal_iteratorINSC_10device_ptrIKdEEEESI_EEEEESK_NSA_INS5_IJNSE_INSF_IdEEEESM_EEEEEPS7_SP_SP_NSC_11hip_rocprim7__merge17predicate_wrapperIddNSC_7greaterIdEEEEEE10hipError_tPvRmT0_T1_T2_T3_T4_T5_mmT6_P12ihipStream_tbEUlT_E0_NS1_11comp_targetILNS1_3genE0ELNS1_11target_archE4294967295ELNS1_3gpuE0ELNS1_3repE0EEENS1_30default_config_static_selectorELNS0_4arch9wavefront6targetE0EEEvS10_.numbered_sgpr, 0
	.set _ZN7rocprim17ROCPRIM_400000_NS6detail17trampoline_kernelINS0_14default_configENS1_21merge_config_selectorINS0_5tupleIJddEEENS0_10empty_typeEEEZNS1_10merge_implIS3_NS0_12zip_iteratorINS5_IJN6thrust23THRUST_200600_302600_NS6detail15normal_iteratorINSC_10device_ptrIKdEEEESI_EEEEESK_NSA_INS5_IJNSE_INSF_IdEEEESM_EEEEEPS7_SP_SP_NSC_11hip_rocprim7__merge17predicate_wrapperIddNSC_7greaterIdEEEEEE10hipError_tPvRmT0_T1_T2_T3_T4_T5_mmT6_P12ihipStream_tbEUlT_E0_NS1_11comp_targetILNS1_3genE0ELNS1_11target_archE4294967295ELNS1_3gpuE0ELNS1_3repE0EEENS1_30default_config_static_selectorELNS0_4arch9wavefront6targetE0EEEvS10_.num_named_barrier, 0
	.set _ZN7rocprim17ROCPRIM_400000_NS6detail17trampoline_kernelINS0_14default_configENS1_21merge_config_selectorINS0_5tupleIJddEEENS0_10empty_typeEEEZNS1_10merge_implIS3_NS0_12zip_iteratorINS5_IJN6thrust23THRUST_200600_302600_NS6detail15normal_iteratorINSC_10device_ptrIKdEEEESI_EEEEESK_NSA_INS5_IJNSE_INSF_IdEEEESM_EEEEEPS7_SP_SP_NSC_11hip_rocprim7__merge17predicate_wrapperIddNSC_7greaterIdEEEEEE10hipError_tPvRmT0_T1_T2_T3_T4_T5_mmT6_P12ihipStream_tbEUlT_E0_NS1_11comp_targetILNS1_3genE0ELNS1_11target_archE4294967295ELNS1_3gpuE0ELNS1_3repE0EEENS1_30default_config_static_selectorELNS0_4arch9wavefront6targetE0EEEvS10_.private_seg_size, 0
	.set _ZN7rocprim17ROCPRIM_400000_NS6detail17trampoline_kernelINS0_14default_configENS1_21merge_config_selectorINS0_5tupleIJddEEENS0_10empty_typeEEEZNS1_10merge_implIS3_NS0_12zip_iteratorINS5_IJN6thrust23THRUST_200600_302600_NS6detail15normal_iteratorINSC_10device_ptrIKdEEEESI_EEEEESK_NSA_INS5_IJNSE_INSF_IdEEEESM_EEEEEPS7_SP_SP_NSC_11hip_rocprim7__merge17predicate_wrapperIddNSC_7greaterIdEEEEEE10hipError_tPvRmT0_T1_T2_T3_T4_T5_mmT6_P12ihipStream_tbEUlT_E0_NS1_11comp_targetILNS1_3genE0ELNS1_11target_archE4294967295ELNS1_3gpuE0ELNS1_3repE0EEENS1_30default_config_static_selectorELNS0_4arch9wavefront6targetE0EEEvS10_.uses_vcc, 0
	.set _ZN7rocprim17ROCPRIM_400000_NS6detail17trampoline_kernelINS0_14default_configENS1_21merge_config_selectorINS0_5tupleIJddEEENS0_10empty_typeEEEZNS1_10merge_implIS3_NS0_12zip_iteratorINS5_IJN6thrust23THRUST_200600_302600_NS6detail15normal_iteratorINSC_10device_ptrIKdEEEESI_EEEEESK_NSA_INS5_IJNSE_INSF_IdEEEESM_EEEEEPS7_SP_SP_NSC_11hip_rocprim7__merge17predicate_wrapperIddNSC_7greaterIdEEEEEE10hipError_tPvRmT0_T1_T2_T3_T4_T5_mmT6_P12ihipStream_tbEUlT_E0_NS1_11comp_targetILNS1_3genE0ELNS1_11target_archE4294967295ELNS1_3gpuE0ELNS1_3repE0EEENS1_30default_config_static_selectorELNS0_4arch9wavefront6targetE0EEEvS10_.uses_flat_scratch, 0
	.set _ZN7rocprim17ROCPRIM_400000_NS6detail17trampoline_kernelINS0_14default_configENS1_21merge_config_selectorINS0_5tupleIJddEEENS0_10empty_typeEEEZNS1_10merge_implIS3_NS0_12zip_iteratorINS5_IJN6thrust23THRUST_200600_302600_NS6detail15normal_iteratorINSC_10device_ptrIKdEEEESI_EEEEESK_NSA_INS5_IJNSE_INSF_IdEEEESM_EEEEEPS7_SP_SP_NSC_11hip_rocprim7__merge17predicate_wrapperIddNSC_7greaterIdEEEEEE10hipError_tPvRmT0_T1_T2_T3_T4_T5_mmT6_P12ihipStream_tbEUlT_E0_NS1_11comp_targetILNS1_3genE0ELNS1_11target_archE4294967295ELNS1_3gpuE0ELNS1_3repE0EEENS1_30default_config_static_selectorELNS0_4arch9wavefront6targetE0EEEvS10_.has_dyn_sized_stack, 0
	.set _ZN7rocprim17ROCPRIM_400000_NS6detail17trampoline_kernelINS0_14default_configENS1_21merge_config_selectorINS0_5tupleIJddEEENS0_10empty_typeEEEZNS1_10merge_implIS3_NS0_12zip_iteratorINS5_IJN6thrust23THRUST_200600_302600_NS6detail15normal_iteratorINSC_10device_ptrIKdEEEESI_EEEEESK_NSA_INS5_IJNSE_INSF_IdEEEESM_EEEEEPS7_SP_SP_NSC_11hip_rocprim7__merge17predicate_wrapperIddNSC_7greaterIdEEEEEE10hipError_tPvRmT0_T1_T2_T3_T4_T5_mmT6_P12ihipStream_tbEUlT_E0_NS1_11comp_targetILNS1_3genE0ELNS1_11target_archE4294967295ELNS1_3gpuE0ELNS1_3repE0EEENS1_30default_config_static_selectorELNS0_4arch9wavefront6targetE0EEEvS10_.has_recursion, 0
	.set _ZN7rocprim17ROCPRIM_400000_NS6detail17trampoline_kernelINS0_14default_configENS1_21merge_config_selectorINS0_5tupleIJddEEENS0_10empty_typeEEEZNS1_10merge_implIS3_NS0_12zip_iteratorINS5_IJN6thrust23THRUST_200600_302600_NS6detail15normal_iteratorINSC_10device_ptrIKdEEEESI_EEEEESK_NSA_INS5_IJNSE_INSF_IdEEEESM_EEEEEPS7_SP_SP_NSC_11hip_rocprim7__merge17predicate_wrapperIddNSC_7greaterIdEEEEEE10hipError_tPvRmT0_T1_T2_T3_T4_T5_mmT6_P12ihipStream_tbEUlT_E0_NS1_11comp_targetILNS1_3genE0ELNS1_11target_archE4294967295ELNS1_3gpuE0ELNS1_3repE0EEENS1_30default_config_static_selectorELNS0_4arch9wavefront6targetE0EEEvS10_.has_indirect_call, 0
	.section	.AMDGPU.csdata,"",@progbits
; Kernel info:
; codeLenInByte = 0
; TotalNumSgprs: 0
; NumVgprs: 0
; ScratchSize: 0
; MemoryBound: 0
; FloatMode: 240
; IeeeMode: 1
; LDSByteSize: 0 bytes/workgroup (compile time only)
; SGPRBlocks: 0
; VGPRBlocks: 0
; NumSGPRsForWavesPerEU: 1
; NumVGPRsForWavesPerEU: 1
; Occupancy: 16
; WaveLimiterHint : 0
; COMPUTE_PGM_RSRC2:SCRATCH_EN: 0
; COMPUTE_PGM_RSRC2:USER_SGPR: 6
; COMPUTE_PGM_RSRC2:TRAP_HANDLER: 0
; COMPUTE_PGM_RSRC2:TGID_X_EN: 1
; COMPUTE_PGM_RSRC2:TGID_Y_EN: 0
; COMPUTE_PGM_RSRC2:TGID_Z_EN: 0
; COMPUTE_PGM_RSRC2:TIDIG_COMP_CNT: 0
	.section	.text._ZN7rocprim17ROCPRIM_400000_NS6detail17trampoline_kernelINS0_14default_configENS1_21merge_config_selectorINS0_5tupleIJddEEENS0_10empty_typeEEEZNS1_10merge_implIS3_NS0_12zip_iteratorINS5_IJN6thrust23THRUST_200600_302600_NS6detail15normal_iteratorINSC_10device_ptrIKdEEEESI_EEEEESK_NSA_INS5_IJNSE_INSF_IdEEEESM_EEEEEPS7_SP_SP_NSC_11hip_rocprim7__merge17predicate_wrapperIddNSC_7greaterIdEEEEEE10hipError_tPvRmT0_T1_T2_T3_T4_T5_mmT6_P12ihipStream_tbEUlT_E0_NS1_11comp_targetILNS1_3genE5ELNS1_11target_archE942ELNS1_3gpuE9ELNS1_3repE0EEENS1_30default_config_static_selectorELNS0_4arch9wavefront6targetE0EEEvS10_,"axG",@progbits,_ZN7rocprim17ROCPRIM_400000_NS6detail17trampoline_kernelINS0_14default_configENS1_21merge_config_selectorINS0_5tupleIJddEEENS0_10empty_typeEEEZNS1_10merge_implIS3_NS0_12zip_iteratorINS5_IJN6thrust23THRUST_200600_302600_NS6detail15normal_iteratorINSC_10device_ptrIKdEEEESI_EEEEESK_NSA_INS5_IJNSE_INSF_IdEEEESM_EEEEEPS7_SP_SP_NSC_11hip_rocprim7__merge17predicate_wrapperIddNSC_7greaterIdEEEEEE10hipError_tPvRmT0_T1_T2_T3_T4_T5_mmT6_P12ihipStream_tbEUlT_E0_NS1_11comp_targetILNS1_3genE5ELNS1_11target_archE942ELNS1_3gpuE9ELNS1_3repE0EEENS1_30default_config_static_selectorELNS0_4arch9wavefront6targetE0EEEvS10_,comdat
	.protected	_ZN7rocprim17ROCPRIM_400000_NS6detail17trampoline_kernelINS0_14default_configENS1_21merge_config_selectorINS0_5tupleIJddEEENS0_10empty_typeEEEZNS1_10merge_implIS3_NS0_12zip_iteratorINS5_IJN6thrust23THRUST_200600_302600_NS6detail15normal_iteratorINSC_10device_ptrIKdEEEESI_EEEEESK_NSA_INS5_IJNSE_INSF_IdEEEESM_EEEEEPS7_SP_SP_NSC_11hip_rocprim7__merge17predicate_wrapperIddNSC_7greaterIdEEEEEE10hipError_tPvRmT0_T1_T2_T3_T4_T5_mmT6_P12ihipStream_tbEUlT_E0_NS1_11comp_targetILNS1_3genE5ELNS1_11target_archE942ELNS1_3gpuE9ELNS1_3repE0EEENS1_30default_config_static_selectorELNS0_4arch9wavefront6targetE0EEEvS10_ ; -- Begin function _ZN7rocprim17ROCPRIM_400000_NS6detail17trampoline_kernelINS0_14default_configENS1_21merge_config_selectorINS0_5tupleIJddEEENS0_10empty_typeEEEZNS1_10merge_implIS3_NS0_12zip_iteratorINS5_IJN6thrust23THRUST_200600_302600_NS6detail15normal_iteratorINSC_10device_ptrIKdEEEESI_EEEEESK_NSA_INS5_IJNSE_INSF_IdEEEESM_EEEEEPS7_SP_SP_NSC_11hip_rocprim7__merge17predicate_wrapperIddNSC_7greaterIdEEEEEE10hipError_tPvRmT0_T1_T2_T3_T4_T5_mmT6_P12ihipStream_tbEUlT_E0_NS1_11comp_targetILNS1_3genE5ELNS1_11target_archE942ELNS1_3gpuE9ELNS1_3repE0EEENS1_30default_config_static_selectorELNS0_4arch9wavefront6targetE0EEEvS10_
	.globl	_ZN7rocprim17ROCPRIM_400000_NS6detail17trampoline_kernelINS0_14default_configENS1_21merge_config_selectorINS0_5tupleIJddEEENS0_10empty_typeEEEZNS1_10merge_implIS3_NS0_12zip_iteratorINS5_IJN6thrust23THRUST_200600_302600_NS6detail15normal_iteratorINSC_10device_ptrIKdEEEESI_EEEEESK_NSA_INS5_IJNSE_INSF_IdEEEESM_EEEEEPS7_SP_SP_NSC_11hip_rocprim7__merge17predicate_wrapperIddNSC_7greaterIdEEEEEE10hipError_tPvRmT0_T1_T2_T3_T4_T5_mmT6_P12ihipStream_tbEUlT_E0_NS1_11comp_targetILNS1_3genE5ELNS1_11target_archE942ELNS1_3gpuE9ELNS1_3repE0EEENS1_30default_config_static_selectorELNS0_4arch9wavefront6targetE0EEEvS10_
	.p2align	8
	.type	_ZN7rocprim17ROCPRIM_400000_NS6detail17trampoline_kernelINS0_14default_configENS1_21merge_config_selectorINS0_5tupleIJddEEENS0_10empty_typeEEEZNS1_10merge_implIS3_NS0_12zip_iteratorINS5_IJN6thrust23THRUST_200600_302600_NS6detail15normal_iteratorINSC_10device_ptrIKdEEEESI_EEEEESK_NSA_INS5_IJNSE_INSF_IdEEEESM_EEEEEPS7_SP_SP_NSC_11hip_rocprim7__merge17predicate_wrapperIddNSC_7greaterIdEEEEEE10hipError_tPvRmT0_T1_T2_T3_T4_T5_mmT6_P12ihipStream_tbEUlT_E0_NS1_11comp_targetILNS1_3genE5ELNS1_11target_archE942ELNS1_3gpuE9ELNS1_3repE0EEENS1_30default_config_static_selectorELNS0_4arch9wavefront6targetE0EEEvS10_,@function
_ZN7rocprim17ROCPRIM_400000_NS6detail17trampoline_kernelINS0_14default_configENS1_21merge_config_selectorINS0_5tupleIJddEEENS0_10empty_typeEEEZNS1_10merge_implIS3_NS0_12zip_iteratorINS5_IJN6thrust23THRUST_200600_302600_NS6detail15normal_iteratorINSC_10device_ptrIKdEEEESI_EEEEESK_NSA_INS5_IJNSE_INSF_IdEEEESM_EEEEEPS7_SP_SP_NSC_11hip_rocprim7__merge17predicate_wrapperIddNSC_7greaterIdEEEEEE10hipError_tPvRmT0_T1_T2_T3_T4_T5_mmT6_P12ihipStream_tbEUlT_E0_NS1_11comp_targetILNS1_3genE5ELNS1_11target_archE942ELNS1_3gpuE9ELNS1_3repE0EEENS1_30default_config_static_selectorELNS0_4arch9wavefront6targetE0EEEvS10_: ; @_ZN7rocprim17ROCPRIM_400000_NS6detail17trampoline_kernelINS0_14default_configENS1_21merge_config_selectorINS0_5tupleIJddEEENS0_10empty_typeEEEZNS1_10merge_implIS3_NS0_12zip_iteratorINS5_IJN6thrust23THRUST_200600_302600_NS6detail15normal_iteratorINSC_10device_ptrIKdEEEESI_EEEEESK_NSA_INS5_IJNSE_INSF_IdEEEESM_EEEEEPS7_SP_SP_NSC_11hip_rocprim7__merge17predicate_wrapperIddNSC_7greaterIdEEEEEE10hipError_tPvRmT0_T1_T2_T3_T4_T5_mmT6_P12ihipStream_tbEUlT_E0_NS1_11comp_targetILNS1_3genE5ELNS1_11target_archE942ELNS1_3gpuE9ELNS1_3repE0EEENS1_30default_config_static_selectorELNS0_4arch9wavefront6targetE0EEEvS10_
; %bb.0:
	.section	.rodata,"a",@progbits
	.p2align	6, 0x0
	.amdhsa_kernel _ZN7rocprim17ROCPRIM_400000_NS6detail17trampoline_kernelINS0_14default_configENS1_21merge_config_selectorINS0_5tupleIJddEEENS0_10empty_typeEEEZNS1_10merge_implIS3_NS0_12zip_iteratorINS5_IJN6thrust23THRUST_200600_302600_NS6detail15normal_iteratorINSC_10device_ptrIKdEEEESI_EEEEESK_NSA_INS5_IJNSE_INSF_IdEEEESM_EEEEEPS7_SP_SP_NSC_11hip_rocprim7__merge17predicate_wrapperIddNSC_7greaterIdEEEEEE10hipError_tPvRmT0_T1_T2_T3_T4_T5_mmT6_P12ihipStream_tbEUlT_E0_NS1_11comp_targetILNS1_3genE5ELNS1_11target_archE942ELNS1_3gpuE9ELNS1_3repE0EEENS1_30default_config_static_selectorELNS0_4arch9wavefront6targetE0EEEvS10_
		.amdhsa_group_segment_fixed_size 0
		.amdhsa_private_segment_fixed_size 0
		.amdhsa_kernarg_size 112
		.amdhsa_user_sgpr_count 6
		.amdhsa_user_sgpr_private_segment_buffer 1
		.amdhsa_user_sgpr_dispatch_ptr 0
		.amdhsa_user_sgpr_queue_ptr 0
		.amdhsa_user_sgpr_kernarg_segment_ptr 1
		.amdhsa_user_sgpr_dispatch_id 0
		.amdhsa_user_sgpr_flat_scratch_init 0
		.amdhsa_user_sgpr_private_segment_size 0
		.amdhsa_wavefront_size32 1
		.amdhsa_uses_dynamic_stack 0
		.amdhsa_system_sgpr_private_segment_wavefront_offset 0
		.amdhsa_system_sgpr_workgroup_id_x 1
		.amdhsa_system_sgpr_workgroup_id_y 0
		.amdhsa_system_sgpr_workgroup_id_z 0
		.amdhsa_system_sgpr_workgroup_info 0
		.amdhsa_system_vgpr_workitem_id 0
		.amdhsa_next_free_vgpr 1
		.amdhsa_next_free_sgpr 1
		.amdhsa_reserve_vcc 0
		.amdhsa_reserve_flat_scratch 0
		.amdhsa_float_round_mode_32 0
		.amdhsa_float_round_mode_16_64 0
		.amdhsa_float_denorm_mode_32 3
		.amdhsa_float_denorm_mode_16_64 3
		.amdhsa_dx10_clamp 1
		.amdhsa_ieee_mode 1
		.amdhsa_fp16_overflow 0
		.amdhsa_workgroup_processor_mode 1
		.amdhsa_memory_ordered 1
		.amdhsa_forward_progress 1
		.amdhsa_shared_vgpr_count 0
		.amdhsa_exception_fp_ieee_invalid_op 0
		.amdhsa_exception_fp_denorm_src 0
		.amdhsa_exception_fp_ieee_div_zero 0
		.amdhsa_exception_fp_ieee_overflow 0
		.amdhsa_exception_fp_ieee_underflow 0
		.amdhsa_exception_fp_ieee_inexact 0
		.amdhsa_exception_int_div_zero 0
	.end_amdhsa_kernel
	.section	.text._ZN7rocprim17ROCPRIM_400000_NS6detail17trampoline_kernelINS0_14default_configENS1_21merge_config_selectorINS0_5tupleIJddEEENS0_10empty_typeEEEZNS1_10merge_implIS3_NS0_12zip_iteratorINS5_IJN6thrust23THRUST_200600_302600_NS6detail15normal_iteratorINSC_10device_ptrIKdEEEESI_EEEEESK_NSA_INS5_IJNSE_INSF_IdEEEESM_EEEEEPS7_SP_SP_NSC_11hip_rocprim7__merge17predicate_wrapperIddNSC_7greaterIdEEEEEE10hipError_tPvRmT0_T1_T2_T3_T4_T5_mmT6_P12ihipStream_tbEUlT_E0_NS1_11comp_targetILNS1_3genE5ELNS1_11target_archE942ELNS1_3gpuE9ELNS1_3repE0EEENS1_30default_config_static_selectorELNS0_4arch9wavefront6targetE0EEEvS10_,"axG",@progbits,_ZN7rocprim17ROCPRIM_400000_NS6detail17trampoline_kernelINS0_14default_configENS1_21merge_config_selectorINS0_5tupleIJddEEENS0_10empty_typeEEEZNS1_10merge_implIS3_NS0_12zip_iteratorINS5_IJN6thrust23THRUST_200600_302600_NS6detail15normal_iteratorINSC_10device_ptrIKdEEEESI_EEEEESK_NSA_INS5_IJNSE_INSF_IdEEEESM_EEEEEPS7_SP_SP_NSC_11hip_rocprim7__merge17predicate_wrapperIddNSC_7greaterIdEEEEEE10hipError_tPvRmT0_T1_T2_T3_T4_T5_mmT6_P12ihipStream_tbEUlT_E0_NS1_11comp_targetILNS1_3genE5ELNS1_11target_archE942ELNS1_3gpuE9ELNS1_3repE0EEENS1_30default_config_static_selectorELNS0_4arch9wavefront6targetE0EEEvS10_,comdat
.Lfunc_end327:
	.size	_ZN7rocprim17ROCPRIM_400000_NS6detail17trampoline_kernelINS0_14default_configENS1_21merge_config_selectorINS0_5tupleIJddEEENS0_10empty_typeEEEZNS1_10merge_implIS3_NS0_12zip_iteratorINS5_IJN6thrust23THRUST_200600_302600_NS6detail15normal_iteratorINSC_10device_ptrIKdEEEESI_EEEEESK_NSA_INS5_IJNSE_INSF_IdEEEESM_EEEEEPS7_SP_SP_NSC_11hip_rocprim7__merge17predicate_wrapperIddNSC_7greaterIdEEEEEE10hipError_tPvRmT0_T1_T2_T3_T4_T5_mmT6_P12ihipStream_tbEUlT_E0_NS1_11comp_targetILNS1_3genE5ELNS1_11target_archE942ELNS1_3gpuE9ELNS1_3repE0EEENS1_30default_config_static_selectorELNS0_4arch9wavefront6targetE0EEEvS10_, .Lfunc_end327-_ZN7rocprim17ROCPRIM_400000_NS6detail17trampoline_kernelINS0_14default_configENS1_21merge_config_selectorINS0_5tupleIJddEEENS0_10empty_typeEEEZNS1_10merge_implIS3_NS0_12zip_iteratorINS5_IJN6thrust23THRUST_200600_302600_NS6detail15normal_iteratorINSC_10device_ptrIKdEEEESI_EEEEESK_NSA_INS5_IJNSE_INSF_IdEEEESM_EEEEEPS7_SP_SP_NSC_11hip_rocprim7__merge17predicate_wrapperIddNSC_7greaterIdEEEEEE10hipError_tPvRmT0_T1_T2_T3_T4_T5_mmT6_P12ihipStream_tbEUlT_E0_NS1_11comp_targetILNS1_3genE5ELNS1_11target_archE942ELNS1_3gpuE9ELNS1_3repE0EEENS1_30default_config_static_selectorELNS0_4arch9wavefront6targetE0EEEvS10_
                                        ; -- End function
	.set _ZN7rocprim17ROCPRIM_400000_NS6detail17trampoline_kernelINS0_14default_configENS1_21merge_config_selectorINS0_5tupleIJddEEENS0_10empty_typeEEEZNS1_10merge_implIS3_NS0_12zip_iteratorINS5_IJN6thrust23THRUST_200600_302600_NS6detail15normal_iteratorINSC_10device_ptrIKdEEEESI_EEEEESK_NSA_INS5_IJNSE_INSF_IdEEEESM_EEEEEPS7_SP_SP_NSC_11hip_rocprim7__merge17predicate_wrapperIddNSC_7greaterIdEEEEEE10hipError_tPvRmT0_T1_T2_T3_T4_T5_mmT6_P12ihipStream_tbEUlT_E0_NS1_11comp_targetILNS1_3genE5ELNS1_11target_archE942ELNS1_3gpuE9ELNS1_3repE0EEENS1_30default_config_static_selectorELNS0_4arch9wavefront6targetE0EEEvS10_.num_vgpr, 0
	.set _ZN7rocprim17ROCPRIM_400000_NS6detail17trampoline_kernelINS0_14default_configENS1_21merge_config_selectorINS0_5tupleIJddEEENS0_10empty_typeEEEZNS1_10merge_implIS3_NS0_12zip_iteratorINS5_IJN6thrust23THRUST_200600_302600_NS6detail15normal_iteratorINSC_10device_ptrIKdEEEESI_EEEEESK_NSA_INS5_IJNSE_INSF_IdEEEESM_EEEEEPS7_SP_SP_NSC_11hip_rocprim7__merge17predicate_wrapperIddNSC_7greaterIdEEEEEE10hipError_tPvRmT0_T1_T2_T3_T4_T5_mmT6_P12ihipStream_tbEUlT_E0_NS1_11comp_targetILNS1_3genE5ELNS1_11target_archE942ELNS1_3gpuE9ELNS1_3repE0EEENS1_30default_config_static_selectorELNS0_4arch9wavefront6targetE0EEEvS10_.num_agpr, 0
	.set _ZN7rocprim17ROCPRIM_400000_NS6detail17trampoline_kernelINS0_14default_configENS1_21merge_config_selectorINS0_5tupleIJddEEENS0_10empty_typeEEEZNS1_10merge_implIS3_NS0_12zip_iteratorINS5_IJN6thrust23THRUST_200600_302600_NS6detail15normal_iteratorINSC_10device_ptrIKdEEEESI_EEEEESK_NSA_INS5_IJNSE_INSF_IdEEEESM_EEEEEPS7_SP_SP_NSC_11hip_rocprim7__merge17predicate_wrapperIddNSC_7greaterIdEEEEEE10hipError_tPvRmT0_T1_T2_T3_T4_T5_mmT6_P12ihipStream_tbEUlT_E0_NS1_11comp_targetILNS1_3genE5ELNS1_11target_archE942ELNS1_3gpuE9ELNS1_3repE0EEENS1_30default_config_static_selectorELNS0_4arch9wavefront6targetE0EEEvS10_.numbered_sgpr, 0
	.set _ZN7rocprim17ROCPRIM_400000_NS6detail17trampoline_kernelINS0_14default_configENS1_21merge_config_selectorINS0_5tupleIJddEEENS0_10empty_typeEEEZNS1_10merge_implIS3_NS0_12zip_iteratorINS5_IJN6thrust23THRUST_200600_302600_NS6detail15normal_iteratorINSC_10device_ptrIKdEEEESI_EEEEESK_NSA_INS5_IJNSE_INSF_IdEEEESM_EEEEEPS7_SP_SP_NSC_11hip_rocprim7__merge17predicate_wrapperIddNSC_7greaterIdEEEEEE10hipError_tPvRmT0_T1_T2_T3_T4_T5_mmT6_P12ihipStream_tbEUlT_E0_NS1_11comp_targetILNS1_3genE5ELNS1_11target_archE942ELNS1_3gpuE9ELNS1_3repE0EEENS1_30default_config_static_selectorELNS0_4arch9wavefront6targetE0EEEvS10_.num_named_barrier, 0
	.set _ZN7rocprim17ROCPRIM_400000_NS6detail17trampoline_kernelINS0_14default_configENS1_21merge_config_selectorINS0_5tupleIJddEEENS0_10empty_typeEEEZNS1_10merge_implIS3_NS0_12zip_iteratorINS5_IJN6thrust23THRUST_200600_302600_NS6detail15normal_iteratorINSC_10device_ptrIKdEEEESI_EEEEESK_NSA_INS5_IJNSE_INSF_IdEEEESM_EEEEEPS7_SP_SP_NSC_11hip_rocprim7__merge17predicate_wrapperIddNSC_7greaterIdEEEEEE10hipError_tPvRmT0_T1_T2_T3_T4_T5_mmT6_P12ihipStream_tbEUlT_E0_NS1_11comp_targetILNS1_3genE5ELNS1_11target_archE942ELNS1_3gpuE9ELNS1_3repE0EEENS1_30default_config_static_selectorELNS0_4arch9wavefront6targetE0EEEvS10_.private_seg_size, 0
	.set _ZN7rocprim17ROCPRIM_400000_NS6detail17trampoline_kernelINS0_14default_configENS1_21merge_config_selectorINS0_5tupleIJddEEENS0_10empty_typeEEEZNS1_10merge_implIS3_NS0_12zip_iteratorINS5_IJN6thrust23THRUST_200600_302600_NS6detail15normal_iteratorINSC_10device_ptrIKdEEEESI_EEEEESK_NSA_INS5_IJNSE_INSF_IdEEEESM_EEEEEPS7_SP_SP_NSC_11hip_rocprim7__merge17predicate_wrapperIddNSC_7greaterIdEEEEEE10hipError_tPvRmT0_T1_T2_T3_T4_T5_mmT6_P12ihipStream_tbEUlT_E0_NS1_11comp_targetILNS1_3genE5ELNS1_11target_archE942ELNS1_3gpuE9ELNS1_3repE0EEENS1_30default_config_static_selectorELNS0_4arch9wavefront6targetE0EEEvS10_.uses_vcc, 0
	.set _ZN7rocprim17ROCPRIM_400000_NS6detail17trampoline_kernelINS0_14default_configENS1_21merge_config_selectorINS0_5tupleIJddEEENS0_10empty_typeEEEZNS1_10merge_implIS3_NS0_12zip_iteratorINS5_IJN6thrust23THRUST_200600_302600_NS6detail15normal_iteratorINSC_10device_ptrIKdEEEESI_EEEEESK_NSA_INS5_IJNSE_INSF_IdEEEESM_EEEEEPS7_SP_SP_NSC_11hip_rocprim7__merge17predicate_wrapperIddNSC_7greaterIdEEEEEE10hipError_tPvRmT0_T1_T2_T3_T4_T5_mmT6_P12ihipStream_tbEUlT_E0_NS1_11comp_targetILNS1_3genE5ELNS1_11target_archE942ELNS1_3gpuE9ELNS1_3repE0EEENS1_30default_config_static_selectorELNS0_4arch9wavefront6targetE0EEEvS10_.uses_flat_scratch, 0
	.set _ZN7rocprim17ROCPRIM_400000_NS6detail17trampoline_kernelINS0_14default_configENS1_21merge_config_selectorINS0_5tupleIJddEEENS0_10empty_typeEEEZNS1_10merge_implIS3_NS0_12zip_iteratorINS5_IJN6thrust23THRUST_200600_302600_NS6detail15normal_iteratorINSC_10device_ptrIKdEEEESI_EEEEESK_NSA_INS5_IJNSE_INSF_IdEEEESM_EEEEEPS7_SP_SP_NSC_11hip_rocprim7__merge17predicate_wrapperIddNSC_7greaterIdEEEEEE10hipError_tPvRmT0_T1_T2_T3_T4_T5_mmT6_P12ihipStream_tbEUlT_E0_NS1_11comp_targetILNS1_3genE5ELNS1_11target_archE942ELNS1_3gpuE9ELNS1_3repE0EEENS1_30default_config_static_selectorELNS0_4arch9wavefront6targetE0EEEvS10_.has_dyn_sized_stack, 0
	.set _ZN7rocprim17ROCPRIM_400000_NS6detail17trampoline_kernelINS0_14default_configENS1_21merge_config_selectorINS0_5tupleIJddEEENS0_10empty_typeEEEZNS1_10merge_implIS3_NS0_12zip_iteratorINS5_IJN6thrust23THRUST_200600_302600_NS6detail15normal_iteratorINSC_10device_ptrIKdEEEESI_EEEEESK_NSA_INS5_IJNSE_INSF_IdEEEESM_EEEEEPS7_SP_SP_NSC_11hip_rocprim7__merge17predicate_wrapperIddNSC_7greaterIdEEEEEE10hipError_tPvRmT0_T1_T2_T3_T4_T5_mmT6_P12ihipStream_tbEUlT_E0_NS1_11comp_targetILNS1_3genE5ELNS1_11target_archE942ELNS1_3gpuE9ELNS1_3repE0EEENS1_30default_config_static_selectorELNS0_4arch9wavefront6targetE0EEEvS10_.has_recursion, 0
	.set _ZN7rocprim17ROCPRIM_400000_NS6detail17trampoline_kernelINS0_14default_configENS1_21merge_config_selectorINS0_5tupleIJddEEENS0_10empty_typeEEEZNS1_10merge_implIS3_NS0_12zip_iteratorINS5_IJN6thrust23THRUST_200600_302600_NS6detail15normal_iteratorINSC_10device_ptrIKdEEEESI_EEEEESK_NSA_INS5_IJNSE_INSF_IdEEEESM_EEEEEPS7_SP_SP_NSC_11hip_rocprim7__merge17predicate_wrapperIddNSC_7greaterIdEEEEEE10hipError_tPvRmT0_T1_T2_T3_T4_T5_mmT6_P12ihipStream_tbEUlT_E0_NS1_11comp_targetILNS1_3genE5ELNS1_11target_archE942ELNS1_3gpuE9ELNS1_3repE0EEENS1_30default_config_static_selectorELNS0_4arch9wavefront6targetE0EEEvS10_.has_indirect_call, 0
	.section	.AMDGPU.csdata,"",@progbits
; Kernel info:
; codeLenInByte = 0
; TotalNumSgprs: 0
; NumVgprs: 0
; ScratchSize: 0
; MemoryBound: 0
; FloatMode: 240
; IeeeMode: 1
; LDSByteSize: 0 bytes/workgroup (compile time only)
; SGPRBlocks: 0
; VGPRBlocks: 0
; NumSGPRsForWavesPerEU: 1
; NumVGPRsForWavesPerEU: 1
; Occupancy: 16
; WaveLimiterHint : 0
; COMPUTE_PGM_RSRC2:SCRATCH_EN: 0
; COMPUTE_PGM_RSRC2:USER_SGPR: 6
; COMPUTE_PGM_RSRC2:TRAP_HANDLER: 0
; COMPUTE_PGM_RSRC2:TGID_X_EN: 1
; COMPUTE_PGM_RSRC2:TGID_Y_EN: 0
; COMPUTE_PGM_RSRC2:TGID_Z_EN: 0
; COMPUTE_PGM_RSRC2:TIDIG_COMP_CNT: 0
	.section	.text._ZN7rocprim17ROCPRIM_400000_NS6detail17trampoline_kernelINS0_14default_configENS1_21merge_config_selectorINS0_5tupleIJddEEENS0_10empty_typeEEEZNS1_10merge_implIS3_NS0_12zip_iteratorINS5_IJN6thrust23THRUST_200600_302600_NS6detail15normal_iteratorINSC_10device_ptrIKdEEEESI_EEEEESK_NSA_INS5_IJNSE_INSF_IdEEEESM_EEEEEPS7_SP_SP_NSC_11hip_rocprim7__merge17predicate_wrapperIddNSC_7greaterIdEEEEEE10hipError_tPvRmT0_T1_T2_T3_T4_T5_mmT6_P12ihipStream_tbEUlT_E0_NS1_11comp_targetILNS1_3genE4ELNS1_11target_archE910ELNS1_3gpuE8ELNS1_3repE0EEENS1_30default_config_static_selectorELNS0_4arch9wavefront6targetE0EEEvS10_,"axG",@progbits,_ZN7rocprim17ROCPRIM_400000_NS6detail17trampoline_kernelINS0_14default_configENS1_21merge_config_selectorINS0_5tupleIJddEEENS0_10empty_typeEEEZNS1_10merge_implIS3_NS0_12zip_iteratorINS5_IJN6thrust23THRUST_200600_302600_NS6detail15normal_iteratorINSC_10device_ptrIKdEEEESI_EEEEESK_NSA_INS5_IJNSE_INSF_IdEEEESM_EEEEEPS7_SP_SP_NSC_11hip_rocprim7__merge17predicate_wrapperIddNSC_7greaterIdEEEEEE10hipError_tPvRmT0_T1_T2_T3_T4_T5_mmT6_P12ihipStream_tbEUlT_E0_NS1_11comp_targetILNS1_3genE4ELNS1_11target_archE910ELNS1_3gpuE8ELNS1_3repE0EEENS1_30default_config_static_selectorELNS0_4arch9wavefront6targetE0EEEvS10_,comdat
	.protected	_ZN7rocprim17ROCPRIM_400000_NS6detail17trampoline_kernelINS0_14default_configENS1_21merge_config_selectorINS0_5tupleIJddEEENS0_10empty_typeEEEZNS1_10merge_implIS3_NS0_12zip_iteratorINS5_IJN6thrust23THRUST_200600_302600_NS6detail15normal_iteratorINSC_10device_ptrIKdEEEESI_EEEEESK_NSA_INS5_IJNSE_INSF_IdEEEESM_EEEEEPS7_SP_SP_NSC_11hip_rocprim7__merge17predicate_wrapperIddNSC_7greaterIdEEEEEE10hipError_tPvRmT0_T1_T2_T3_T4_T5_mmT6_P12ihipStream_tbEUlT_E0_NS1_11comp_targetILNS1_3genE4ELNS1_11target_archE910ELNS1_3gpuE8ELNS1_3repE0EEENS1_30default_config_static_selectorELNS0_4arch9wavefront6targetE0EEEvS10_ ; -- Begin function _ZN7rocprim17ROCPRIM_400000_NS6detail17trampoline_kernelINS0_14default_configENS1_21merge_config_selectorINS0_5tupleIJddEEENS0_10empty_typeEEEZNS1_10merge_implIS3_NS0_12zip_iteratorINS5_IJN6thrust23THRUST_200600_302600_NS6detail15normal_iteratorINSC_10device_ptrIKdEEEESI_EEEEESK_NSA_INS5_IJNSE_INSF_IdEEEESM_EEEEEPS7_SP_SP_NSC_11hip_rocprim7__merge17predicate_wrapperIddNSC_7greaterIdEEEEEE10hipError_tPvRmT0_T1_T2_T3_T4_T5_mmT6_P12ihipStream_tbEUlT_E0_NS1_11comp_targetILNS1_3genE4ELNS1_11target_archE910ELNS1_3gpuE8ELNS1_3repE0EEENS1_30default_config_static_selectorELNS0_4arch9wavefront6targetE0EEEvS10_
	.globl	_ZN7rocprim17ROCPRIM_400000_NS6detail17trampoline_kernelINS0_14default_configENS1_21merge_config_selectorINS0_5tupleIJddEEENS0_10empty_typeEEEZNS1_10merge_implIS3_NS0_12zip_iteratorINS5_IJN6thrust23THRUST_200600_302600_NS6detail15normal_iteratorINSC_10device_ptrIKdEEEESI_EEEEESK_NSA_INS5_IJNSE_INSF_IdEEEESM_EEEEEPS7_SP_SP_NSC_11hip_rocprim7__merge17predicate_wrapperIddNSC_7greaterIdEEEEEE10hipError_tPvRmT0_T1_T2_T3_T4_T5_mmT6_P12ihipStream_tbEUlT_E0_NS1_11comp_targetILNS1_3genE4ELNS1_11target_archE910ELNS1_3gpuE8ELNS1_3repE0EEENS1_30default_config_static_selectorELNS0_4arch9wavefront6targetE0EEEvS10_
	.p2align	8
	.type	_ZN7rocprim17ROCPRIM_400000_NS6detail17trampoline_kernelINS0_14default_configENS1_21merge_config_selectorINS0_5tupleIJddEEENS0_10empty_typeEEEZNS1_10merge_implIS3_NS0_12zip_iteratorINS5_IJN6thrust23THRUST_200600_302600_NS6detail15normal_iteratorINSC_10device_ptrIKdEEEESI_EEEEESK_NSA_INS5_IJNSE_INSF_IdEEEESM_EEEEEPS7_SP_SP_NSC_11hip_rocprim7__merge17predicate_wrapperIddNSC_7greaterIdEEEEEE10hipError_tPvRmT0_T1_T2_T3_T4_T5_mmT6_P12ihipStream_tbEUlT_E0_NS1_11comp_targetILNS1_3genE4ELNS1_11target_archE910ELNS1_3gpuE8ELNS1_3repE0EEENS1_30default_config_static_selectorELNS0_4arch9wavefront6targetE0EEEvS10_,@function
_ZN7rocprim17ROCPRIM_400000_NS6detail17trampoline_kernelINS0_14default_configENS1_21merge_config_selectorINS0_5tupleIJddEEENS0_10empty_typeEEEZNS1_10merge_implIS3_NS0_12zip_iteratorINS5_IJN6thrust23THRUST_200600_302600_NS6detail15normal_iteratorINSC_10device_ptrIKdEEEESI_EEEEESK_NSA_INS5_IJNSE_INSF_IdEEEESM_EEEEEPS7_SP_SP_NSC_11hip_rocprim7__merge17predicate_wrapperIddNSC_7greaterIdEEEEEE10hipError_tPvRmT0_T1_T2_T3_T4_T5_mmT6_P12ihipStream_tbEUlT_E0_NS1_11comp_targetILNS1_3genE4ELNS1_11target_archE910ELNS1_3gpuE8ELNS1_3repE0EEENS1_30default_config_static_selectorELNS0_4arch9wavefront6targetE0EEEvS10_: ; @_ZN7rocprim17ROCPRIM_400000_NS6detail17trampoline_kernelINS0_14default_configENS1_21merge_config_selectorINS0_5tupleIJddEEENS0_10empty_typeEEEZNS1_10merge_implIS3_NS0_12zip_iteratorINS5_IJN6thrust23THRUST_200600_302600_NS6detail15normal_iteratorINSC_10device_ptrIKdEEEESI_EEEEESK_NSA_INS5_IJNSE_INSF_IdEEEESM_EEEEEPS7_SP_SP_NSC_11hip_rocprim7__merge17predicate_wrapperIddNSC_7greaterIdEEEEEE10hipError_tPvRmT0_T1_T2_T3_T4_T5_mmT6_P12ihipStream_tbEUlT_E0_NS1_11comp_targetILNS1_3genE4ELNS1_11target_archE910ELNS1_3gpuE8ELNS1_3repE0EEENS1_30default_config_static_selectorELNS0_4arch9wavefront6targetE0EEEvS10_
; %bb.0:
	.section	.rodata,"a",@progbits
	.p2align	6, 0x0
	.amdhsa_kernel _ZN7rocprim17ROCPRIM_400000_NS6detail17trampoline_kernelINS0_14default_configENS1_21merge_config_selectorINS0_5tupleIJddEEENS0_10empty_typeEEEZNS1_10merge_implIS3_NS0_12zip_iteratorINS5_IJN6thrust23THRUST_200600_302600_NS6detail15normal_iteratorINSC_10device_ptrIKdEEEESI_EEEEESK_NSA_INS5_IJNSE_INSF_IdEEEESM_EEEEEPS7_SP_SP_NSC_11hip_rocprim7__merge17predicate_wrapperIddNSC_7greaterIdEEEEEE10hipError_tPvRmT0_T1_T2_T3_T4_T5_mmT6_P12ihipStream_tbEUlT_E0_NS1_11comp_targetILNS1_3genE4ELNS1_11target_archE910ELNS1_3gpuE8ELNS1_3repE0EEENS1_30default_config_static_selectorELNS0_4arch9wavefront6targetE0EEEvS10_
		.amdhsa_group_segment_fixed_size 0
		.amdhsa_private_segment_fixed_size 0
		.amdhsa_kernarg_size 112
		.amdhsa_user_sgpr_count 6
		.amdhsa_user_sgpr_private_segment_buffer 1
		.amdhsa_user_sgpr_dispatch_ptr 0
		.amdhsa_user_sgpr_queue_ptr 0
		.amdhsa_user_sgpr_kernarg_segment_ptr 1
		.amdhsa_user_sgpr_dispatch_id 0
		.amdhsa_user_sgpr_flat_scratch_init 0
		.amdhsa_user_sgpr_private_segment_size 0
		.amdhsa_wavefront_size32 1
		.amdhsa_uses_dynamic_stack 0
		.amdhsa_system_sgpr_private_segment_wavefront_offset 0
		.amdhsa_system_sgpr_workgroup_id_x 1
		.amdhsa_system_sgpr_workgroup_id_y 0
		.amdhsa_system_sgpr_workgroup_id_z 0
		.amdhsa_system_sgpr_workgroup_info 0
		.amdhsa_system_vgpr_workitem_id 0
		.amdhsa_next_free_vgpr 1
		.amdhsa_next_free_sgpr 1
		.amdhsa_reserve_vcc 0
		.amdhsa_reserve_flat_scratch 0
		.amdhsa_float_round_mode_32 0
		.amdhsa_float_round_mode_16_64 0
		.amdhsa_float_denorm_mode_32 3
		.amdhsa_float_denorm_mode_16_64 3
		.amdhsa_dx10_clamp 1
		.amdhsa_ieee_mode 1
		.amdhsa_fp16_overflow 0
		.amdhsa_workgroup_processor_mode 1
		.amdhsa_memory_ordered 1
		.amdhsa_forward_progress 1
		.amdhsa_shared_vgpr_count 0
		.amdhsa_exception_fp_ieee_invalid_op 0
		.amdhsa_exception_fp_denorm_src 0
		.amdhsa_exception_fp_ieee_div_zero 0
		.amdhsa_exception_fp_ieee_overflow 0
		.amdhsa_exception_fp_ieee_underflow 0
		.amdhsa_exception_fp_ieee_inexact 0
		.amdhsa_exception_int_div_zero 0
	.end_amdhsa_kernel
	.section	.text._ZN7rocprim17ROCPRIM_400000_NS6detail17trampoline_kernelINS0_14default_configENS1_21merge_config_selectorINS0_5tupleIJddEEENS0_10empty_typeEEEZNS1_10merge_implIS3_NS0_12zip_iteratorINS5_IJN6thrust23THRUST_200600_302600_NS6detail15normal_iteratorINSC_10device_ptrIKdEEEESI_EEEEESK_NSA_INS5_IJNSE_INSF_IdEEEESM_EEEEEPS7_SP_SP_NSC_11hip_rocprim7__merge17predicate_wrapperIddNSC_7greaterIdEEEEEE10hipError_tPvRmT0_T1_T2_T3_T4_T5_mmT6_P12ihipStream_tbEUlT_E0_NS1_11comp_targetILNS1_3genE4ELNS1_11target_archE910ELNS1_3gpuE8ELNS1_3repE0EEENS1_30default_config_static_selectorELNS0_4arch9wavefront6targetE0EEEvS10_,"axG",@progbits,_ZN7rocprim17ROCPRIM_400000_NS6detail17trampoline_kernelINS0_14default_configENS1_21merge_config_selectorINS0_5tupleIJddEEENS0_10empty_typeEEEZNS1_10merge_implIS3_NS0_12zip_iteratorINS5_IJN6thrust23THRUST_200600_302600_NS6detail15normal_iteratorINSC_10device_ptrIKdEEEESI_EEEEESK_NSA_INS5_IJNSE_INSF_IdEEEESM_EEEEEPS7_SP_SP_NSC_11hip_rocprim7__merge17predicate_wrapperIddNSC_7greaterIdEEEEEE10hipError_tPvRmT0_T1_T2_T3_T4_T5_mmT6_P12ihipStream_tbEUlT_E0_NS1_11comp_targetILNS1_3genE4ELNS1_11target_archE910ELNS1_3gpuE8ELNS1_3repE0EEENS1_30default_config_static_selectorELNS0_4arch9wavefront6targetE0EEEvS10_,comdat
.Lfunc_end328:
	.size	_ZN7rocprim17ROCPRIM_400000_NS6detail17trampoline_kernelINS0_14default_configENS1_21merge_config_selectorINS0_5tupleIJddEEENS0_10empty_typeEEEZNS1_10merge_implIS3_NS0_12zip_iteratorINS5_IJN6thrust23THRUST_200600_302600_NS6detail15normal_iteratorINSC_10device_ptrIKdEEEESI_EEEEESK_NSA_INS5_IJNSE_INSF_IdEEEESM_EEEEEPS7_SP_SP_NSC_11hip_rocprim7__merge17predicate_wrapperIddNSC_7greaterIdEEEEEE10hipError_tPvRmT0_T1_T2_T3_T4_T5_mmT6_P12ihipStream_tbEUlT_E0_NS1_11comp_targetILNS1_3genE4ELNS1_11target_archE910ELNS1_3gpuE8ELNS1_3repE0EEENS1_30default_config_static_selectorELNS0_4arch9wavefront6targetE0EEEvS10_, .Lfunc_end328-_ZN7rocprim17ROCPRIM_400000_NS6detail17trampoline_kernelINS0_14default_configENS1_21merge_config_selectorINS0_5tupleIJddEEENS0_10empty_typeEEEZNS1_10merge_implIS3_NS0_12zip_iteratorINS5_IJN6thrust23THRUST_200600_302600_NS6detail15normal_iteratorINSC_10device_ptrIKdEEEESI_EEEEESK_NSA_INS5_IJNSE_INSF_IdEEEESM_EEEEEPS7_SP_SP_NSC_11hip_rocprim7__merge17predicate_wrapperIddNSC_7greaterIdEEEEEE10hipError_tPvRmT0_T1_T2_T3_T4_T5_mmT6_P12ihipStream_tbEUlT_E0_NS1_11comp_targetILNS1_3genE4ELNS1_11target_archE910ELNS1_3gpuE8ELNS1_3repE0EEENS1_30default_config_static_selectorELNS0_4arch9wavefront6targetE0EEEvS10_
                                        ; -- End function
	.set _ZN7rocprim17ROCPRIM_400000_NS6detail17trampoline_kernelINS0_14default_configENS1_21merge_config_selectorINS0_5tupleIJddEEENS0_10empty_typeEEEZNS1_10merge_implIS3_NS0_12zip_iteratorINS5_IJN6thrust23THRUST_200600_302600_NS6detail15normal_iteratorINSC_10device_ptrIKdEEEESI_EEEEESK_NSA_INS5_IJNSE_INSF_IdEEEESM_EEEEEPS7_SP_SP_NSC_11hip_rocprim7__merge17predicate_wrapperIddNSC_7greaterIdEEEEEE10hipError_tPvRmT0_T1_T2_T3_T4_T5_mmT6_P12ihipStream_tbEUlT_E0_NS1_11comp_targetILNS1_3genE4ELNS1_11target_archE910ELNS1_3gpuE8ELNS1_3repE0EEENS1_30default_config_static_selectorELNS0_4arch9wavefront6targetE0EEEvS10_.num_vgpr, 0
	.set _ZN7rocprim17ROCPRIM_400000_NS6detail17trampoline_kernelINS0_14default_configENS1_21merge_config_selectorINS0_5tupleIJddEEENS0_10empty_typeEEEZNS1_10merge_implIS3_NS0_12zip_iteratorINS5_IJN6thrust23THRUST_200600_302600_NS6detail15normal_iteratorINSC_10device_ptrIKdEEEESI_EEEEESK_NSA_INS5_IJNSE_INSF_IdEEEESM_EEEEEPS7_SP_SP_NSC_11hip_rocprim7__merge17predicate_wrapperIddNSC_7greaterIdEEEEEE10hipError_tPvRmT0_T1_T2_T3_T4_T5_mmT6_P12ihipStream_tbEUlT_E0_NS1_11comp_targetILNS1_3genE4ELNS1_11target_archE910ELNS1_3gpuE8ELNS1_3repE0EEENS1_30default_config_static_selectorELNS0_4arch9wavefront6targetE0EEEvS10_.num_agpr, 0
	.set _ZN7rocprim17ROCPRIM_400000_NS6detail17trampoline_kernelINS0_14default_configENS1_21merge_config_selectorINS0_5tupleIJddEEENS0_10empty_typeEEEZNS1_10merge_implIS3_NS0_12zip_iteratorINS5_IJN6thrust23THRUST_200600_302600_NS6detail15normal_iteratorINSC_10device_ptrIKdEEEESI_EEEEESK_NSA_INS5_IJNSE_INSF_IdEEEESM_EEEEEPS7_SP_SP_NSC_11hip_rocprim7__merge17predicate_wrapperIddNSC_7greaterIdEEEEEE10hipError_tPvRmT0_T1_T2_T3_T4_T5_mmT6_P12ihipStream_tbEUlT_E0_NS1_11comp_targetILNS1_3genE4ELNS1_11target_archE910ELNS1_3gpuE8ELNS1_3repE0EEENS1_30default_config_static_selectorELNS0_4arch9wavefront6targetE0EEEvS10_.numbered_sgpr, 0
	.set _ZN7rocprim17ROCPRIM_400000_NS6detail17trampoline_kernelINS0_14default_configENS1_21merge_config_selectorINS0_5tupleIJddEEENS0_10empty_typeEEEZNS1_10merge_implIS3_NS0_12zip_iteratorINS5_IJN6thrust23THRUST_200600_302600_NS6detail15normal_iteratorINSC_10device_ptrIKdEEEESI_EEEEESK_NSA_INS5_IJNSE_INSF_IdEEEESM_EEEEEPS7_SP_SP_NSC_11hip_rocprim7__merge17predicate_wrapperIddNSC_7greaterIdEEEEEE10hipError_tPvRmT0_T1_T2_T3_T4_T5_mmT6_P12ihipStream_tbEUlT_E0_NS1_11comp_targetILNS1_3genE4ELNS1_11target_archE910ELNS1_3gpuE8ELNS1_3repE0EEENS1_30default_config_static_selectorELNS0_4arch9wavefront6targetE0EEEvS10_.num_named_barrier, 0
	.set _ZN7rocprim17ROCPRIM_400000_NS6detail17trampoline_kernelINS0_14default_configENS1_21merge_config_selectorINS0_5tupleIJddEEENS0_10empty_typeEEEZNS1_10merge_implIS3_NS0_12zip_iteratorINS5_IJN6thrust23THRUST_200600_302600_NS6detail15normal_iteratorINSC_10device_ptrIKdEEEESI_EEEEESK_NSA_INS5_IJNSE_INSF_IdEEEESM_EEEEEPS7_SP_SP_NSC_11hip_rocprim7__merge17predicate_wrapperIddNSC_7greaterIdEEEEEE10hipError_tPvRmT0_T1_T2_T3_T4_T5_mmT6_P12ihipStream_tbEUlT_E0_NS1_11comp_targetILNS1_3genE4ELNS1_11target_archE910ELNS1_3gpuE8ELNS1_3repE0EEENS1_30default_config_static_selectorELNS0_4arch9wavefront6targetE0EEEvS10_.private_seg_size, 0
	.set _ZN7rocprim17ROCPRIM_400000_NS6detail17trampoline_kernelINS0_14default_configENS1_21merge_config_selectorINS0_5tupleIJddEEENS0_10empty_typeEEEZNS1_10merge_implIS3_NS0_12zip_iteratorINS5_IJN6thrust23THRUST_200600_302600_NS6detail15normal_iteratorINSC_10device_ptrIKdEEEESI_EEEEESK_NSA_INS5_IJNSE_INSF_IdEEEESM_EEEEEPS7_SP_SP_NSC_11hip_rocprim7__merge17predicate_wrapperIddNSC_7greaterIdEEEEEE10hipError_tPvRmT0_T1_T2_T3_T4_T5_mmT6_P12ihipStream_tbEUlT_E0_NS1_11comp_targetILNS1_3genE4ELNS1_11target_archE910ELNS1_3gpuE8ELNS1_3repE0EEENS1_30default_config_static_selectorELNS0_4arch9wavefront6targetE0EEEvS10_.uses_vcc, 0
	.set _ZN7rocprim17ROCPRIM_400000_NS6detail17trampoline_kernelINS0_14default_configENS1_21merge_config_selectorINS0_5tupleIJddEEENS0_10empty_typeEEEZNS1_10merge_implIS3_NS0_12zip_iteratorINS5_IJN6thrust23THRUST_200600_302600_NS6detail15normal_iteratorINSC_10device_ptrIKdEEEESI_EEEEESK_NSA_INS5_IJNSE_INSF_IdEEEESM_EEEEEPS7_SP_SP_NSC_11hip_rocprim7__merge17predicate_wrapperIddNSC_7greaterIdEEEEEE10hipError_tPvRmT0_T1_T2_T3_T4_T5_mmT6_P12ihipStream_tbEUlT_E0_NS1_11comp_targetILNS1_3genE4ELNS1_11target_archE910ELNS1_3gpuE8ELNS1_3repE0EEENS1_30default_config_static_selectorELNS0_4arch9wavefront6targetE0EEEvS10_.uses_flat_scratch, 0
	.set _ZN7rocprim17ROCPRIM_400000_NS6detail17trampoline_kernelINS0_14default_configENS1_21merge_config_selectorINS0_5tupleIJddEEENS0_10empty_typeEEEZNS1_10merge_implIS3_NS0_12zip_iteratorINS5_IJN6thrust23THRUST_200600_302600_NS6detail15normal_iteratorINSC_10device_ptrIKdEEEESI_EEEEESK_NSA_INS5_IJNSE_INSF_IdEEEESM_EEEEEPS7_SP_SP_NSC_11hip_rocprim7__merge17predicate_wrapperIddNSC_7greaterIdEEEEEE10hipError_tPvRmT0_T1_T2_T3_T4_T5_mmT6_P12ihipStream_tbEUlT_E0_NS1_11comp_targetILNS1_3genE4ELNS1_11target_archE910ELNS1_3gpuE8ELNS1_3repE0EEENS1_30default_config_static_selectorELNS0_4arch9wavefront6targetE0EEEvS10_.has_dyn_sized_stack, 0
	.set _ZN7rocprim17ROCPRIM_400000_NS6detail17trampoline_kernelINS0_14default_configENS1_21merge_config_selectorINS0_5tupleIJddEEENS0_10empty_typeEEEZNS1_10merge_implIS3_NS0_12zip_iteratorINS5_IJN6thrust23THRUST_200600_302600_NS6detail15normal_iteratorINSC_10device_ptrIKdEEEESI_EEEEESK_NSA_INS5_IJNSE_INSF_IdEEEESM_EEEEEPS7_SP_SP_NSC_11hip_rocprim7__merge17predicate_wrapperIddNSC_7greaterIdEEEEEE10hipError_tPvRmT0_T1_T2_T3_T4_T5_mmT6_P12ihipStream_tbEUlT_E0_NS1_11comp_targetILNS1_3genE4ELNS1_11target_archE910ELNS1_3gpuE8ELNS1_3repE0EEENS1_30default_config_static_selectorELNS0_4arch9wavefront6targetE0EEEvS10_.has_recursion, 0
	.set _ZN7rocprim17ROCPRIM_400000_NS6detail17trampoline_kernelINS0_14default_configENS1_21merge_config_selectorINS0_5tupleIJddEEENS0_10empty_typeEEEZNS1_10merge_implIS3_NS0_12zip_iteratorINS5_IJN6thrust23THRUST_200600_302600_NS6detail15normal_iteratorINSC_10device_ptrIKdEEEESI_EEEEESK_NSA_INS5_IJNSE_INSF_IdEEEESM_EEEEEPS7_SP_SP_NSC_11hip_rocprim7__merge17predicate_wrapperIddNSC_7greaterIdEEEEEE10hipError_tPvRmT0_T1_T2_T3_T4_T5_mmT6_P12ihipStream_tbEUlT_E0_NS1_11comp_targetILNS1_3genE4ELNS1_11target_archE910ELNS1_3gpuE8ELNS1_3repE0EEENS1_30default_config_static_selectorELNS0_4arch9wavefront6targetE0EEEvS10_.has_indirect_call, 0
	.section	.AMDGPU.csdata,"",@progbits
; Kernel info:
; codeLenInByte = 0
; TotalNumSgprs: 0
; NumVgprs: 0
; ScratchSize: 0
; MemoryBound: 0
; FloatMode: 240
; IeeeMode: 1
; LDSByteSize: 0 bytes/workgroup (compile time only)
; SGPRBlocks: 0
; VGPRBlocks: 0
; NumSGPRsForWavesPerEU: 1
; NumVGPRsForWavesPerEU: 1
; Occupancy: 16
; WaveLimiterHint : 0
; COMPUTE_PGM_RSRC2:SCRATCH_EN: 0
; COMPUTE_PGM_RSRC2:USER_SGPR: 6
; COMPUTE_PGM_RSRC2:TRAP_HANDLER: 0
; COMPUTE_PGM_RSRC2:TGID_X_EN: 1
; COMPUTE_PGM_RSRC2:TGID_Y_EN: 0
; COMPUTE_PGM_RSRC2:TGID_Z_EN: 0
; COMPUTE_PGM_RSRC2:TIDIG_COMP_CNT: 0
	.section	.text._ZN7rocprim17ROCPRIM_400000_NS6detail17trampoline_kernelINS0_14default_configENS1_21merge_config_selectorINS0_5tupleIJddEEENS0_10empty_typeEEEZNS1_10merge_implIS3_NS0_12zip_iteratorINS5_IJN6thrust23THRUST_200600_302600_NS6detail15normal_iteratorINSC_10device_ptrIKdEEEESI_EEEEESK_NSA_INS5_IJNSE_INSF_IdEEEESM_EEEEEPS7_SP_SP_NSC_11hip_rocprim7__merge17predicate_wrapperIddNSC_7greaterIdEEEEEE10hipError_tPvRmT0_T1_T2_T3_T4_T5_mmT6_P12ihipStream_tbEUlT_E0_NS1_11comp_targetILNS1_3genE3ELNS1_11target_archE908ELNS1_3gpuE7ELNS1_3repE0EEENS1_30default_config_static_selectorELNS0_4arch9wavefront6targetE0EEEvS10_,"axG",@progbits,_ZN7rocprim17ROCPRIM_400000_NS6detail17trampoline_kernelINS0_14default_configENS1_21merge_config_selectorINS0_5tupleIJddEEENS0_10empty_typeEEEZNS1_10merge_implIS3_NS0_12zip_iteratorINS5_IJN6thrust23THRUST_200600_302600_NS6detail15normal_iteratorINSC_10device_ptrIKdEEEESI_EEEEESK_NSA_INS5_IJNSE_INSF_IdEEEESM_EEEEEPS7_SP_SP_NSC_11hip_rocprim7__merge17predicate_wrapperIddNSC_7greaterIdEEEEEE10hipError_tPvRmT0_T1_T2_T3_T4_T5_mmT6_P12ihipStream_tbEUlT_E0_NS1_11comp_targetILNS1_3genE3ELNS1_11target_archE908ELNS1_3gpuE7ELNS1_3repE0EEENS1_30default_config_static_selectorELNS0_4arch9wavefront6targetE0EEEvS10_,comdat
	.protected	_ZN7rocprim17ROCPRIM_400000_NS6detail17trampoline_kernelINS0_14default_configENS1_21merge_config_selectorINS0_5tupleIJddEEENS0_10empty_typeEEEZNS1_10merge_implIS3_NS0_12zip_iteratorINS5_IJN6thrust23THRUST_200600_302600_NS6detail15normal_iteratorINSC_10device_ptrIKdEEEESI_EEEEESK_NSA_INS5_IJNSE_INSF_IdEEEESM_EEEEEPS7_SP_SP_NSC_11hip_rocprim7__merge17predicate_wrapperIddNSC_7greaterIdEEEEEE10hipError_tPvRmT0_T1_T2_T3_T4_T5_mmT6_P12ihipStream_tbEUlT_E0_NS1_11comp_targetILNS1_3genE3ELNS1_11target_archE908ELNS1_3gpuE7ELNS1_3repE0EEENS1_30default_config_static_selectorELNS0_4arch9wavefront6targetE0EEEvS10_ ; -- Begin function _ZN7rocprim17ROCPRIM_400000_NS6detail17trampoline_kernelINS0_14default_configENS1_21merge_config_selectorINS0_5tupleIJddEEENS0_10empty_typeEEEZNS1_10merge_implIS3_NS0_12zip_iteratorINS5_IJN6thrust23THRUST_200600_302600_NS6detail15normal_iteratorINSC_10device_ptrIKdEEEESI_EEEEESK_NSA_INS5_IJNSE_INSF_IdEEEESM_EEEEEPS7_SP_SP_NSC_11hip_rocprim7__merge17predicate_wrapperIddNSC_7greaterIdEEEEEE10hipError_tPvRmT0_T1_T2_T3_T4_T5_mmT6_P12ihipStream_tbEUlT_E0_NS1_11comp_targetILNS1_3genE3ELNS1_11target_archE908ELNS1_3gpuE7ELNS1_3repE0EEENS1_30default_config_static_selectorELNS0_4arch9wavefront6targetE0EEEvS10_
	.globl	_ZN7rocprim17ROCPRIM_400000_NS6detail17trampoline_kernelINS0_14default_configENS1_21merge_config_selectorINS0_5tupleIJddEEENS0_10empty_typeEEEZNS1_10merge_implIS3_NS0_12zip_iteratorINS5_IJN6thrust23THRUST_200600_302600_NS6detail15normal_iteratorINSC_10device_ptrIKdEEEESI_EEEEESK_NSA_INS5_IJNSE_INSF_IdEEEESM_EEEEEPS7_SP_SP_NSC_11hip_rocprim7__merge17predicate_wrapperIddNSC_7greaterIdEEEEEE10hipError_tPvRmT0_T1_T2_T3_T4_T5_mmT6_P12ihipStream_tbEUlT_E0_NS1_11comp_targetILNS1_3genE3ELNS1_11target_archE908ELNS1_3gpuE7ELNS1_3repE0EEENS1_30default_config_static_selectorELNS0_4arch9wavefront6targetE0EEEvS10_
	.p2align	8
	.type	_ZN7rocprim17ROCPRIM_400000_NS6detail17trampoline_kernelINS0_14default_configENS1_21merge_config_selectorINS0_5tupleIJddEEENS0_10empty_typeEEEZNS1_10merge_implIS3_NS0_12zip_iteratorINS5_IJN6thrust23THRUST_200600_302600_NS6detail15normal_iteratorINSC_10device_ptrIKdEEEESI_EEEEESK_NSA_INS5_IJNSE_INSF_IdEEEESM_EEEEEPS7_SP_SP_NSC_11hip_rocprim7__merge17predicate_wrapperIddNSC_7greaterIdEEEEEE10hipError_tPvRmT0_T1_T2_T3_T4_T5_mmT6_P12ihipStream_tbEUlT_E0_NS1_11comp_targetILNS1_3genE3ELNS1_11target_archE908ELNS1_3gpuE7ELNS1_3repE0EEENS1_30default_config_static_selectorELNS0_4arch9wavefront6targetE0EEEvS10_,@function
_ZN7rocprim17ROCPRIM_400000_NS6detail17trampoline_kernelINS0_14default_configENS1_21merge_config_selectorINS0_5tupleIJddEEENS0_10empty_typeEEEZNS1_10merge_implIS3_NS0_12zip_iteratorINS5_IJN6thrust23THRUST_200600_302600_NS6detail15normal_iteratorINSC_10device_ptrIKdEEEESI_EEEEESK_NSA_INS5_IJNSE_INSF_IdEEEESM_EEEEEPS7_SP_SP_NSC_11hip_rocprim7__merge17predicate_wrapperIddNSC_7greaterIdEEEEEE10hipError_tPvRmT0_T1_T2_T3_T4_T5_mmT6_P12ihipStream_tbEUlT_E0_NS1_11comp_targetILNS1_3genE3ELNS1_11target_archE908ELNS1_3gpuE7ELNS1_3repE0EEENS1_30default_config_static_selectorELNS0_4arch9wavefront6targetE0EEEvS10_: ; @_ZN7rocprim17ROCPRIM_400000_NS6detail17trampoline_kernelINS0_14default_configENS1_21merge_config_selectorINS0_5tupleIJddEEENS0_10empty_typeEEEZNS1_10merge_implIS3_NS0_12zip_iteratorINS5_IJN6thrust23THRUST_200600_302600_NS6detail15normal_iteratorINSC_10device_ptrIKdEEEESI_EEEEESK_NSA_INS5_IJNSE_INSF_IdEEEESM_EEEEEPS7_SP_SP_NSC_11hip_rocprim7__merge17predicate_wrapperIddNSC_7greaterIdEEEEEE10hipError_tPvRmT0_T1_T2_T3_T4_T5_mmT6_P12ihipStream_tbEUlT_E0_NS1_11comp_targetILNS1_3genE3ELNS1_11target_archE908ELNS1_3gpuE7ELNS1_3repE0EEENS1_30default_config_static_selectorELNS0_4arch9wavefront6targetE0EEEvS10_
; %bb.0:
	.section	.rodata,"a",@progbits
	.p2align	6, 0x0
	.amdhsa_kernel _ZN7rocprim17ROCPRIM_400000_NS6detail17trampoline_kernelINS0_14default_configENS1_21merge_config_selectorINS0_5tupleIJddEEENS0_10empty_typeEEEZNS1_10merge_implIS3_NS0_12zip_iteratorINS5_IJN6thrust23THRUST_200600_302600_NS6detail15normal_iteratorINSC_10device_ptrIKdEEEESI_EEEEESK_NSA_INS5_IJNSE_INSF_IdEEEESM_EEEEEPS7_SP_SP_NSC_11hip_rocprim7__merge17predicate_wrapperIddNSC_7greaterIdEEEEEE10hipError_tPvRmT0_T1_T2_T3_T4_T5_mmT6_P12ihipStream_tbEUlT_E0_NS1_11comp_targetILNS1_3genE3ELNS1_11target_archE908ELNS1_3gpuE7ELNS1_3repE0EEENS1_30default_config_static_selectorELNS0_4arch9wavefront6targetE0EEEvS10_
		.amdhsa_group_segment_fixed_size 0
		.amdhsa_private_segment_fixed_size 0
		.amdhsa_kernarg_size 112
		.amdhsa_user_sgpr_count 6
		.amdhsa_user_sgpr_private_segment_buffer 1
		.amdhsa_user_sgpr_dispatch_ptr 0
		.amdhsa_user_sgpr_queue_ptr 0
		.amdhsa_user_sgpr_kernarg_segment_ptr 1
		.amdhsa_user_sgpr_dispatch_id 0
		.amdhsa_user_sgpr_flat_scratch_init 0
		.amdhsa_user_sgpr_private_segment_size 0
		.amdhsa_wavefront_size32 1
		.amdhsa_uses_dynamic_stack 0
		.amdhsa_system_sgpr_private_segment_wavefront_offset 0
		.amdhsa_system_sgpr_workgroup_id_x 1
		.amdhsa_system_sgpr_workgroup_id_y 0
		.amdhsa_system_sgpr_workgroup_id_z 0
		.amdhsa_system_sgpr_workgroup_info 0
		.amdhsa_system_vgpr_workitem_id 0
		.amdhsa_next_free_vgpr 1
		.amdhsa_next_free_sgpr 1
		.amdhsa_reserve_vcc 0
		.amdhsa_reserve_flat_scratch 0
		.amdhsa_float_round_mode_32 0
		.amdhsa_float_round_mode_16_64 0
		.amdhsa_float_denorm_mode_32 3
		.amdhsa_float_denorm_mode_16_64 3
		.amdhsa_dx10_clamp 1
		.amdhsa_ieee_mode 1
		.amdhsa_fp16_overflow 0
		.amdhsa_workgroup_processor_mode 1
		.amdhsa_memory_ordered 1
		.amdhsa_forward_progress 1
		.amdhsa_shared_vgpr_count 0
		.amdhsa_exception_fp_ieee_invalid_op 0
		.amdhsa_exception_fp_denorm_src 0
		.amdhsa_exception_fp_ieee_div_zero 0
		.amdhsa_exception_fp_ieee_overflow 0
		.amdhsa_exception_fp_ieee_underflow 0
		.amdhsa_exception_fp_ieee_inexact 0
		.amdhsa_exception_int_div_zero 0
	.end_amdhsa_kernel
	.section	.text._ZN7rocprim17ROCPRIM_400000_NS6detail17trampoline_kernelINS0_14default_configENS1_21merge_config_selectorINS0_5tupleIJddEEENS0_10empty_typeEEEZNS1_10merge_implIS3_NS0_12zip_iteratorINS5_IJN6thrust23THRUST_200600_302600_NS6detail15normal_iteratorINSC_10device_ptrIKdEEEESI_EEEEESK_NSA_INS5_IJNSE_INSF_IdEEEESM_EEEEEPS7_SP_SP_NSC_11hip_rocprim7__merge17predicate_wrapperIddNSC_7greaterIdEEEEEE10hipError_tPvRmT0_T1_T2_T3_T4_T5_mmT6_P12ihipStream_tbEUlT_E0_NS1_11comp_targetILNS1_3genE3ELNS1_11target_archE908ELNS1_3gpuE7ELNS1_3repE0EEENS1_30default_config_static_selectorELNS0_4arch9wavefront6targetE0EEEvS10_,"axG",@progbits,_ZN7rocprim17ROCPRIM_400000_NS6detail17trampoline_kernelINS0_14default_configENS1_21merge_config_selectorINS0_5tupleIJddEEENS0_10empty_typeEEEZNS1_10merge_implIS3_NS0_12zip_iteratorINS5_IJN6thrust23THRUST_200600_302600_NS6detail15normal_iteratorINSC_10device_ptrIKdEEEESI_EEEEESK_NSA_INS5_IJNSE_INSF_IdEEEESM_EEEEEPS7_SP_SP_NSC_11hip_rocprim7__merge17predicate_wrapperIddNSC_7greaterIdEEEEEE10hipError_tPvRmT0_T1_T2_T3_T4_T5_mmT6_P12ihipStream_tbEUlT_E0_NS1_11comp_targetILNS1_3genE3ELNS1_11target_archE908ELNS1_3gpuE7ELNS1_3repE0EEENS1_30default_config_static_selectorELNS0_4arch9wavefront6targetE0EEEvS10_,comdat
.Lfunc_end329:
	.size	_ZN7rocprim17ROCPRIM_400000_NS6detail17trampoline_kernelINS0_14default_configENS1_21merge_config_selectorINS0_5tupleIJddEEENS0_10empty_typeEEEZNS1_10merge_implIS3_NS0_12zip_iteratorINS5_IJN6thrust23THRUST_200600_302600_NS6detail15normal_iteratorINSC_10device_ptrIKdEEEESI_EEEEESK_NSA_INS5_IJNSE_INSF_IdEEEESM_EEEEEPS7_SP_SP_NSC_11hip_rocprim7__merge17predicate_wrapperIddNSC_7greaterIdEEEEEE10hipError_tPvRmT0_T1_T2_T3_T4_T5_mmT6_P12ihipStream_tbEUlT_E0_NS1_11comp_targetILNS1_3genE3ELNS1_11target_archE908ELNS1_3gpuE7ELNS1_3repE0EEENS1_30default_config_static_selectorELNS0_4arch9wavefront6targetE0EEEvS10_, .Lfunc_end329-_ZN7rocprim17ROCPRIM_400000_NS6detail17trampoline_kernelINS0_14default_configENS1_21merge_config_selectorINS0_5tupleIJddEEENS0_10empty_typeEEEZNS1_10merge_implIS3_NS0_12zip_iteratorINS5_IJN6thrust23THRUST_200600_302600_NS6detail15normal_iteratorINSC_10device_ptrIKdEEEESI_EEEEESK_NSA_INS5_IJNSE_INSF_IdEEEESM_EEEEEPS7_SP_SP_NSC_11hip_rocprim7__merge17predicate_wrapperIddNSC_7greaterIdEEEEEE10hipError_tPvRmT0_T1_T2_T3_T4_T5_mmT6_P12ihipStream_tbEUlT_E0_NS1_11comp_targetILNS1_3genE3ELNS1_11target_archE908ELNS1_3gpuE7ELNS1_3repE0EEENS1_30default_config_static_selectorELNS0_4arch9wavefront6targetE0EEEvS10_
                                        ; -- End function
	.set _ZN7rocprim17ROCPRIM_400000_NS6detail17trampoline_kernelINS0_14default_configENS1_21merge_config_selectorINS0_5tupleIJddEEENS0_10empty_typeEEEZNS1_10merge_implIS3_NS0_12zip_iteratorINS5_IJN6thrust23THRUST_200600_302600_NS6detail15normal_iteratorINSC_10device_ptrIKdEEEESI_EEEEESK_NSA_INS5_IJNSE_INSF_IdEEEESM_EEEEEPS7_SP_SP_NSC_11hip_rocprim7__merge17predicate_wrapperIddNSC_7greaterIdEEEEEE10hipError_tPvRmT0_T1_T2_T3_T4_T5_mmT6_P12ihipStream_tbEUlT_E0_NS1_11comp_targetILNS1_3genE3ELNS1_11target_archE908ELNS1_3gpuE7ELNS1_3repE0EEENS1_30default_config_static_selectorELNS0_4arch9wavefront6targetE0EEEvS10_.num_vgpr, 0
	.set _ZN7rocprim17ROCPRIM_400000_NS6detail17trampoline_kernelINS0_14default_configENS1_21merge_config_selectorINS0_5tupleIJddEEENS0_10empty_typeEEEZNS1_10merge_implIS3_NS0_12zip_iteratorINS5_IJN6thrust23THRUST_200600_302600_NS6detail15normal_iteratorINSC_10device_ptrIKdEEEESI_EEEEESK_NSA_INS5_IJNSE_INSF_IdEEEESM_EEEEEPS7_SP_SP_NSC_11hip_rocprim7__merge17predicate_wrapperIddNSC_7greaterIdEEEEEE10hipError_tPvRmT0_T1_T2_T3_T4_T5_mmT6_P12ihipStream_tbEUlT_E0_NS1_11comp_targetILNS1_3genE3ELNS1_11target_archE908ELNS1_3gpuE7ELNS1_3repE0EEENS1_30default_config_static_selectorELNS0_4arch9wavefront6targetE0EEEvS10_.num_agpr, 0
	.set _ZN7rocprim17ROCPRIM_400000_NS6detail17trampoline_kernelINS0_14default_configENS1_21merge_config_selectorINS0_5tupleIJddEEENS0_10empty_typeEEEZNS1_10merge_implIS3_NS0_12zip_iteratorINS5_IJN6thrust23THRUST_200600_302600_NS6detail15normal_iteratorINSC_10device_ptrIKdEEEESI_EEEEESK_NSA_INS5_IJNSE_INSF_IdEEEESM_EEEEEPS7_SP_SP_NSC_11hip_rocprim7__merge17predicate_wrapperIddNSC_7greaterIdEEEEEE10hipError_tPvRmT0_T1_T2_T3_T4_T5_mmT6_P12ihipStream_tbEUlT_E0_NS1_11comp_targetILNS1_3genE3ELNS1_11target_archE908ELNS1_3gpuE7ELNS1_3repE0EEENS1_30default_config_static_selectorELNS0_4arch9wavefront6targetE0EEEvS10_.numbered_sgpr, 0
	.set _ZN7rocprim17ROCPRIM_400000_NS6detail17trampoline_kernelINS0_14default_configENS1_21merge_config_selectorINS0_5tupleIJddEEENS0_10empty_typeEEEZNS1_10merge_implIS3_NS0_12zip_iteratorINS5_IJN6thrust23THRUST_200600_302600_NS6detail15normal_iteratorINSC_10device_ptrIKdEEEESI_EEEEESK_NSA_INS5_IJNSE_INSF_IdEEEESM_EEEEEPS7_SP_SP_NSC_11hip_rocprim7__merge17predicate_wrapperIddNSC_7greaterIdEEEEEE10hipError_tPvRmT0_T1_T2_T3_T4_T5_mmT6_P12ihipStream_tbEUlT_E0_NS1_11comp_targetILNS1_3genE3ELNS1_11target_archE908ELNS1_3gpuE7ELNS1_3repE0EEENS1_30default_config_static_selectorELNS0_4arch9wavefront6targetE0EEEvS10_.num_named_barrier, 0
	.set _ZN7rocprim17ROCPRIM_400000_NS6detail17trampoline_kernelINS0_14default_configENS1_21merge_config_selectorINS0_5tupleIJddEEENS0_10empty_typeEEEZNS1_10merge_implIS3_NS0_12zip_iteratorINS5_IJN6thrust23THRUST_200600_302600_NS6detail15normal_iteratorINSC_10device_ptrIKdEEEESI_EEEEESK_NSA_INS5_IJNSE_INSF_IdEEEESM_EEEEEPS7_SP_SP_NSC_11hip_rocprim7__merge17predicate_wrapperIddNSC_7greaterIdEEEEEE10hipError_tPvRmT0_T1_T2_T3_T4_T5_mmT6_P12ihipStream_tbEUlT_E0_NS1_11comp_targetILNS1_3genE3ELNS1_11target_archE908ELNS1_3gpuE7ELNS1_3repE0EEENS1_30default_config_static_selectorELNS0_4arch9wavefront6targetE0EEEvS10_.private_seg_size, 0
	.set _ZN7rocprim17ROCPRIM_400000_NS6detail17trampoline_kernelINS0_14default_configENS1_21merge_config_selectorINS0_5tupleIJddEEENS0_10empty_typeEEEZNS1_10merge_implIS3_NS0_12zip_iteratorINS5_IJN6thrust23THRUST_200600_302600_NS6detail15normal_iteratorINSC_10device_ptrIKdEEEESI_EEEEESK_NSA_INS5_IJNSE_INSF_IdEEEESM_EEEEEPS7_SP_SP_NSC_11hip_rocprim7__merge17predicate_wrapperIddNSC_7greaterIdEEEEEE10hipError_tPvRmT0_T1_T2_T3_T4_T5_mmT6_P12ihipStream_tbEUlT_E0_NS1_11comp_targetILNS1_3genE3ELNS1_11target_archE908ELNS1_3gpuE7ELNS1_3repE0EEENS1_30default_config_static_selectorELNS0_4arch9wavefront6targetE0EEEvS10_.uses_vcc, 0
	.set _ZN7rocprim17ROCPRIM_400000_NS6detail17trampoline_kernelINS0_14default_configENS1_21merge_config_selectorINS0_5tupleIJddEEENS0_10empty_typeEEEZNS1_10merge_implIS3_NS0_12zip_iteratorINS5_IJN6thrust23THRUST_200600_302600_NS6detail15normal_iteratorINSC_10device_ptrIKdEEEESI_EEEEESK_NSA_INS5_IJNSE_INSF_IdEEEESM_EEEEEPS7_SP_SP_NSC_11hip_rocprim7__merge17predicate_wrapperIddNSC_7greaterIdEEEEEE10hipError_tPvRmT0_T1_T2_T3_T4_T5_mmT6_P12ihipStream_tbEUlT_E0_NS1_11comp_targetILNS1_3genE3ELNS1_11target_archE908ELNS1_3gpuE7ELNS1_3repE0EEENS1_30default_config_static_selectorELNS0_4arch9wavefront6targetE0EEEvS10_.uses_flat_scratch, 0
	.set _ZN7rocprim17ROCPRIM_400000_NS6detail17trampoline_kernelINS0_14default_configENS1_21merge_config_selectorINS0_5tupleIJddEEENS0_10empty_typeEEEZNS1_10merge_implIS3_NS0_12zip_iteratorINS5_IJN6thrust23THRUST_200600_302600_NS6detail15normal_iteratorINSC_10device_ptrIKdEEEESI_EEEEESK_NSA_INS5_IJNSE_INSF_IdEEEESM_EEEEEPS7_SP_SP_NSC_11hip_rocprim7__merge17predicate_wrapperIddNSC_7greaterIdEEEEEE10hipError_tPvRmT0_T1_T2_T3_T4_T5_mmT6_P12ihipStream_tbEUlT_E0_NS1_11comp_targetILNS1_3genE3ELNS1_11target_archE908ELNS1_3gpuE7ELNS1_3repE0EEENS1_30default_config_static_selectorELNS0_4arch9wavefront6targetE0EEEvS10_.has_dyn_sized_stack, 0
	.set _ZN7rocprim17ROCPRIM_400000_NS6detail17trampoline_kernelINS0_14default_configENS1_21merge_config_selectorINS0_5tupleIJddEEENS0_10empty_typeEEEZNS1_10merge_implIS3_NS0_12zip_iteratorINS5_IJN6thrust23THRUST_200600_302600_NS6detail15normal_iteratorINSC_10device_ptrIKdEEEESI_EEEEESK_NSA_INS5_IJNSE_INSF_IdEEEESM_EEEEEPS7_SP_SP_NSC_11hip_rocprim7__merge17predicate_wrapperIddNSC_7greaterIdEEEEEE10hipError_tPvRmT0_T1_T2_T3_T4_T5_mmT6_P12ihipStream_tbEUlT_E0_NS1_11comp_targetILNS1_3genE3ELNS1_11target_archE908ELNS1_3gpuE7ELNS1_3repE0EEENS1_30default_config_static_selectorELNS0_4arch9wavefront6targetE0EEEvS10_.has_recursion, 0
	.set _ZN7rocprim17ROCPRIM_400000_NS6detail17trampoline_kernelINS0_14default_configENS1_21merge_config_selectorINS0_5tupleIJddEEENS0_10empty_typeEEEZNS1_10merge_implIS3_NS0_12zip_iteratorINS5_IJN6thrust23THRUST_200600_302600_NS6detail15normal_iteratorINSC_10device_ptrIKdEEEESI_EEEEESK_NSA_INS5_IJNSE_INSF_IdEEEESM_EEEEEPS7_SP_SP_NSC_11hip_rocprim7__merge17predicate_wrapperIddNSC_7greaterIdEEEEEE10hipError_tPvRmT0_T1_T2_T3_T4_T5_mmT6_P12ihipStream_tbEUlT_E0_NS1_11comp_targetILNS1_3genE3ELNS1_11target_archE908ELNS1_3gpuE7ELNS1_3repE0EEENS1_30default_config_static_selectorELNS0_4arch9wavefront6targetE0EEEvS10_.has_indirect_call, 0
	.section	.AMDGPU.csdata,"",@progbits
; Kernel info:
; codeLenInByte = 0
; TotalNumSgprs: 0
; NumVgprs: 0
; ScratchSize: 0
; MemoryBound: 0
; FloatMode: 240
; IeeeMode: 1
; LDSByteSize: 0 bytes/workgroup (compile time only)
; SGPRBlocks: 0
; VGPRBlocks: 0
; NumSGPRsForWavesPerEU: 1
; NumVGPRsForWavesPerEU: 1
; Occupancy: 16
; WaveLimiterHint : 0
; COMPUTE_PGM_RSRC2:SCRATCH_EN: 0
; COMPUTE_PGM_RSRC2:USER_SGPR: 6
; COMPUTE_PGM_RSRC2:TRAP_HANDLER: 0
; COMPUTE_PGM_RSRC2:TGID_X_EN: 1
; COMPUTE_PGM_RSRC2:TGID_Y_EN: 0
; COMPUTE_PGM_RSRC2:TGID_Z_EN: 0
; COMPUTE_PGM_RSRC2:TIDIG_COMP_CNT: 0
	.section	.text._ZN7rocprim17ROCPRIM_400000_NS6detail17trampoline_kernelINS0_14default_configENS1_21merge_config_selectorINS0_5tupleIJddEEENS0_10empty_typeEEEZNS1_10merge_implIS3_NS0_12zip_iteratorINS5_IJN6thrust23THRUST_200600_302600_NS6detail15normal_iteratorINSC_10device_ptrIKdEEEESI_EEEEESK_NSA_INS5_IJNSE_INSF_IdEEEESM_EEEEEPS7_SP_SP_NSC_11hip_rocprim7__merge17predicate_wrapperIddNSC_7greaterIdEEEEEE10hipError_tPvRmT0_T1_T2_T3_T4_T5_mmT6_P12ihipStream_tbEUlT_E0_NS1_11comp_targetILNS1_3genE2ELNS1_11target_archE906ELNS1_3gpuE6ELNS1_3repE0EEENS1_30default_config_static_selectorELNS0_4arch9wavefront6targetE0EEEvS10_,"axG",@progbits,_ZN7rocprim17ROCPRIM_400000_NS6detail17trampoline_kernelINS0_14default_configENS1_21merge_config_selectorINS0_5tupleIJddEEENS0_10empty_typeEEEZNS1_10merge_implIS3_NS0_12zip_iteratorINS5_IJN6thrust23THRUST_200600_302600_NS6detail15normal_iteratorINSC_10device_ptrIKdEEEESI_EEEEESK_NSA_INS5_IJNSE_INSF_IdEEEESM_EEEEEPS7_SP_SP_NSC_11hip_rocprim7__merge17predicate_wrapperIddNSC_7greaterIdEEEEEE10hipError_tPvRmT0_T1_T2_T3_T4_T5_mmT6_P12ihipStream_tbEUlT_E0_NS1_11comp_targetILNS1_3genE2ELNS1_11target_archE906ELNS1_3gpuE6ELNS1_3repE0EEENS1_30default_config_static_selectorELNS0_4arch9wavefront6targetE0EEEvS10_,comdat
	.protected	_ZN7rocprim17ROCPRIM_400000_NS6detail17trampoline_kernelINS0_14default_configENS1_21merge_config_selectorINS0_5tupleIJddEEENS0_10empty_typeEEEZNS1_10merge_implIS3_NS0_12zip_iteratorINS5_IJN6thrust23THRUST_200600_302600_NS6detail15normal_iteratorINSC_10device_ptrIKdEEEESI_EEEEESK_NSA_INS5_IJNSE_INSF_IdEEEESM_EEEEEPS7_SP_SP_NSC_11hip_rocprim7__merge17predicate_wrapperIddNSC_7greaterIdEEEEEE10hipError_tPvRmT0_T1_T2_T3_T4_T5_mmT6_P12ihipStream_tbEUlT_E0_NS1_11comp_targetILNS1_3genE2ELNS1_11target_archE906ELNS1_3gpuE6ELNS1_3repE0EEENS1_30default_config_static_selectorELNS0_4arch9wavefront6targetE0EEEvS10_ ; -- Begin function _ZN7rocprim17ROCPRIM_400000_NS6detail17trampoline_kernelINS0_14default_configENS1_21merge_config_selectorINS0_5tupleIJddEEENS0_10empty_typeEEEZNS1_10merge_implIS3_NS0_12zip_iteratorINS5_IJN6thrust23THRUST_200600_302600_NS6detail15normal_iteratorINSC_10device_ptrIKdEEEESI_EEEEESK_NSA_INS5_IJNSE_INSF_IdEEEESM_EEEEEPS7_SP_SP_NSC_11hip_rocprim7__merge17predicate_wrapperIddNSC_7greaterIdEEEEEE10hipError_tPvRmT0_T1_T2_T3_T4_T5_mmT6_P12ihipStream_tbEUlT_E0_NS1_11comp_targetILNS1_3genE2ELNS1_11target_archE906ELNS1_3gpuE6ELNS1_3repE0EEENS1_30default_config_static_selectorELNS0_4arch9wavefront6targetE0EEEvS10_
	.globl	_ZN7rocprim17ROCPRIM_400000_NS6detail17trampoline_kernelINS0_14default_configENS1_21merge_config_selectorINS0_5tupleIJddEEENS0_10empty_typeEEEZNS1_10merge_implIS3_NS0_12zip_iteratorINS5_IJN6thrust23THRUST_200600_302600_NS6detail15normal_iteratorINSC_10device_ptrIKdEEEESI_EEEEESK_NSA_INS5_IJNSE_INSF_IdEEEESM_EEEEEPS7_SP_SP_NSC_11hip_rocprim7__merge17predicate_wrapperIddNSC_7greaterIdEEEEEE10hipError_tPvRmT0_T1_T2_T3_T4_T5_mmT6_P12ihipStream_tbEUlT_E0_NS1_11comp_targetILNS1_3genE2ELNS1_11target_archE906ELNS1_3gpuE6ELNS1_3repE0EEENS1_30default_config_static_selectorELNS0_4arch9wavefront6targetE0EEEvS10_
	.p2align	8
	.type	_ZN7rocprim17ROCPRIM_400000_NS6detail17trampoline_kernelINS0_14default_configENS1_21merge_config_selectorINS0_5tupleIJddEEENS0_10empty_typeEEEZNS1_10merge_implIS3_NS0_12zip_iteratorINS5_IJN6thrust23THRUST_200600_302600_NS6detail15normal_iteratorINSC_10device_ptrIKdEEEESI_EEEEESK_NSA_INS5_IJNSE_INSF_IdEEEESM_EEEEEPS7_SP_SP_NSC_11hip_rocprim7__merge17predicate_wrapperIddNSC_7greaterIdEEEEEE10hipError_tPvRmT0_T1_T2_T3_T4_T5_mmT6_P12ihipStream_tbEUlT_E0_NS1_11comp_targetILNS1_3genE2ELNS1_11target_archE906ELNS1_3gpuE6ELNS1_3repE0EEENS1_30default_config_static_selectorELNS0_4arch9wavefront6targetE0EEEvS10_,@function
_ZN7rocprim17ROCPRIM_400000_NS6detail17trampoline_kernelINS0_14default_configENS1_21merge_config_selectorINS0_5tupleIJddEEENS0_10empty_typeEEEZNS1_10merge_implIS3_NS0_12zip_iteratorINS5_IJN6thrust23THRUST_200600_302600_NS6detail15normal_iteratorINSC_10device_ptrIKdEEEESI_EEEEESK_NSA_INS5_IJNSE_INSF_IdEEEESM_EEEEEPS7_SP_SP_NSC_11hip_rocprim7__merge17predicate_wrapperIddNSC_7greaterIdEEEEEE10hipError_tPvRmT0_T1_T2_T3_T4_T5_mmT6_P12ihipStream_tbEUlT_E0_NS1_11comp_targetILNS1_3genE2ELNS1_11target_archE906ELNS1_3gpuE6ELNS1_3repE0EEENS1_30default_config_static_selectorELNS0_4arch9wavefront6targetE0EEEvS10_: ; @_ZN7rocprim17ROCPRIM_400000_NS6detail17trampoline_kernelINS0_14default_configENS1_21merge_config_selectorINS0_5tupleIJddEEENS0_10empty_typeEEEZNS1_10merge_implIS3_NS0_12zip_iteratorINS5_IJN6thrust23THRUST_200600_302600_NS6detail15normal_iteratorINSC_10device_ptrIKdEEEESI_EEEEESK_NSA_INS5_IJNSE_INSF_IdEEEESM_EEEEEPS7_SP_SP_NSC_11hip_rocprim7__merge17predicate_wrapperIddNSC_7greaterIdEEEEEE10hipError_tPvRmT0_T1_T2_T3_T4_T5_mmT6_P12ihipStream_tbEUlT_E0_NS1_11comp_targetILNS1_3genE2ELNS1_11target_archE906ELNS1_3gpuE6ELNS1_3repE0EEENS1_30default_config_static_selectorELNS0_4arch9wavefront6targetE0EEEvS10_
; %bb.0:
	.section	.rodata,"a",@progbits
	.p2align	6, 0x0
	.amdhsa_kernel _ZN7rocprim17ROCPRIM_400000_NS6detail17trampoline_kernelINS0_14default_configENS1_21merge_config_selectorINS0_5tupleIJddEEENS0_10empty_typeEEEZNS1_10merge_implIS3_NS0_12zip_iteratorINS5_IJN6thrust23THRUST_200600_302600_NS6detail15normal_iteratorINSC_10device_ptrIKdEEEESI_EEEEESK_NSA_INS5_IJNSE_INSF_IdEEEESM_EEEEEPS7_SP_SP_NSC_11hip_rocprim7__merge17predicate_wrapperIddNSC_7greaterIdEEEEEE10hipError_tPvRmT0_T1_T2_T3_T4_T5_mmT6_P12ihipStream_tbEUlT_E0_NS1_11comp_targetILNS1_3genE2ELNS1_11target_archE906ELNS1_3gpuE6ELNS1_3repE0EEENS1_30default_config_static_selectorELNS0_4arch9wavefront6targetE0EEEvS10_
		.amdhsa_group_segment_fixed_size 0
		.amdhsa_private_segment_fixed_size 0
		.amdhsa_kernarg_size 112
		.amdhsa_user_sgpr_count 6
		.amdhsa_user_sgpr_private_segment_buffer 1
		.amdhsa_user_sgpr_dispatch_ptr 0
		.amdhsa_user_sgpr_queue_ptr 0
		.amdhsa_user_sgpr_kernarg_segment_ptr 1
		.amdhsa_user_sgpr_dispatch_id 0
		.amdhsa_user_sgpr_flat_scratch_init 0
		.amdhsa_user_sgpr_private_segment_size 0
		.amdhsa_wavefront_size32 1
		.amdhsa_uses_dynamic_stack 0
		.amdhsa_system_sgpr_private_segment_wavefront_offset 0
		.amdhsa_system_sgpr_workgroup_id_x 1
		.amdhsa_system_sgpr_workgroup_id_y 0
		.amdhsa_system_sgpr_workgroup_id_z 0
		.amdhsa_system_sgpr_workgroup_info 0
		.amdhsa_system_vgpr_workitem_id 0
		.amdhsa_next_free_vgpr 1
		.amdhsa_next_free_sgpr 1
		.amdhsa_reserve_vcc 0
		.amdhsa_reserve_flat_scratch 0
		.amdhsa_float_round_mode_32 0
		.amdhsa_float_round_mode_16_64 0
		.amdhsa_float_denorm_mode_32 3
		.amdhsa_float_denorm_mode_16_64 3
		.amdhsa_dx10_clamp 1
		.amdhsa_ieee_mode 1
		.amdhsa_fp16_overflow 0
		.amdhsa_workgroup_processor_mode 1
		.amdhsa_memory_ordered 1
		.amdhsa_forward_progress 1
		.amdhsa_shared_vgpr_count 0
		.amdhsa_exception_fp_ieee_invalid_op 0
		.amdhsa_exception_fp_denorm_src 0
		.amdhsa_exception_fp_ieee_div_zero 0
		.amdhsa_exception_fp_ieee_overflow 0
		.amdhsa_exception_fp_ieee_underflow 0
		.amdhsa_exception_fp_ieee_inexact 0
		.amdhsa_exception_int_div_zero 0
	.end_amdhsa_kernel
	.section	.text._ZN7rocprim17ROCPRIM_400000_NS6detail17trampoline_kernelINS0_14default_configENS1_21merge_config_selectorINS0_5tupleIJddEEENS0_10empty_typeEEEZNS1_10merge_implIS3_NS0_12zip_iteratorINS5_IJN6thrust23THRUST_200600_302600_NS6detail15normal_iteratorINSC_10device_ptrIKdEEEESI_EEEEESK_NSA_INS5_IJNSE_INSF_IdEEEESM_EEEEEPS7_SP_SP_NSC_11hip_rocprim7__merge17predicate_wrapperIddNSC_7greaterIdEEEEEE10hipError_tPvRmT0_T1_T2_T3_T4_T5_mmT6_P12ihipStream_tbEUlT_E0_NS1_11comp_targetILNS1_3genE2ELNS1_11target_archE906ELNS1_3gpuE6ELNS1_3repE0EEENS1_30default_config_static_selectorELNS0_4arch9wavefront6targetE0EEEvS10_,"axG",@progbits,_ZN7rocprim17ROCPRIM_400000_NS6detail17trampoline_kernelINS0_14default_configENS1_21merge_config_selectorINS0_5tupleIJddEEENS0_10empty_typeEEEZNS1_10merge_implIS3_NS0_12zip_iteratorINS5_IJN6thrust23THRUST_200600_302600_NS6detail15normal_iteratorINSC_10device_ptrIKdEEEESI_EEEEESK_NSA_INS5_IJNSE_INSF_IdEEEESM_EEEEEPS7_SP_SP_NSC_11hip_rocprim7__merge17predicate_wrapperIddNSC_7greaterIdEEEEEE10hipError_tPvRmT0_T1_T2_T3_T4_T5_mmT6_P12ihipStream_tbEUlT_E0_NS1_11comp_targetILNS1_3genE2ELNS1_11target_archE906ELNS1_3gpuE6ELNS1_3repE0EEENS1_30default_config_static_selectorELNS0_4arch9wavefront6targetE0EEEvS10_,comdat
.Lfunc_end330:
	.size	_ZN7rocprim17ROCPRIM_400000_NS6detail17trampoline_kernelINS0_14default_configENS1_21merge_config_selectorINS0_5tupleIJddEEENS0_10empty_typeEEEZNS1_10merge_implIS3_NS0_12zip_iteratorINS5_IJN6thrust23THRUST_200600_302600_NS6detail15normal_iteratorINSC_10device_ptrIKdEEEESI_EEEEESK_NSA_INS5_IJNSE_INSF_IdEEEESM_EEEEEPS7_SP_SP_NSC_11hip_rocprim7__merge17predicate_wrapperIddNSC_7greaterIdEEEEEE10hipError_tPvRmT0_T1_T2_T3_T4_T5_mmT6_P12ihipStream_tbEUlT_E0_NS1_11comp_targetILNS1_3genE2ELNS1_11target_archE906ELNS1_3gpuE6ELNS1_3repE0EEENS1_30default_config_static_selectorELNS0_4arch9wavefront6targetE0EEEvS10_, .Lfunc_end330-_ZN7rocprim17ROCPRIM_400000_NS6detail17trampoline_kernelINS0_14default_configENS1_21merge_config_selectorINS0_5tupleIJddEEENS0_10empty_typeEEEZNS1_10merge_implIS3_NS0_12zip_iteratorINS5_IJN6thrust23THRUST_200600_302600_NS6detail15normal_iteratorINSC_10device_ptrIKdEEEESI_EEEEESK_NSA_INS5_IJNSE_INSF_IdEEEESM_EEEEEPS7_SP_SP_NSC_11hip_rocprim7__merge17predicate_wrapperIddNSC_7greaterIdEEEEEE10hipError_tPvRmT0_T1_T2_T3_T4_T5_mmT6_P12ihipStream_tbEUlT_E0_NS1_11comp_targetILNS1_3genE2ELNS1_11target_archE906ELNS1_3gpuE6ELNS1_3repE0EEENS1_30default_config_static_selectorELNS0_4arch9wavefront6targetE0EEEvS10_
                                        ; -- End function
	.set _ZN7rocprim17ROCPRIM_400000_NS6detail17trampoline_kernelINS0_14default_configENS1_21merge_config_selectorINS0_5tupleIJddEEENS0_10empty_typeEEEZNS1_10merge_implIS3_NS0_12zip_iteratorINS5_IJN6thrust23THRUST_200600_302600_NS6detail15normal_iteratorINSC_10device_ptrIKdEEEESI_EEEEESK_NSA_INS5_IJNSE_INSF_IdEEEESM_EEEEEPS7_SP_SP_NSC_11hip_rocprim7__merge17predicate_wrapperIddNSC_7greaterIdEEEEEE10hipError_tPvRmT0_T1_T2_T3_T4_T5_mmT6_P12ihipStream_tbEUlT_E0_NS1_11comp_targetILNS1_3genE2ELNS1_11target_archE906ELNS1_3gpuE6ELNS1_3repE0EEENS1_30default_config_static_selectorELNS0_4arch9wavefront6targetE0EEEvS10_.num_vgpr, 0
	.set _ZN7rocprim17ROCPRIM_400000_NS6detail17trampoline_kernelINS0_14default_configENS1_21merge_config_selectorINS0_5tupleIJddEEENS0_10empty_typeEEEZNS1_10merge_implIS3_NS0_12zip_iteratorINS5_IJN6thrust23THRUST_200600_302600_NS6detail15normal_iteratorINSC_10device_ptrIKdEEEESI_EEEEESK_NSA_INS5_IJNSE_INSF_IdEEEESM_EEEEEPS7_SP_SP_NSC_11hip_rocprim7__merge17predicate_wrapperIddNSC_7greaterIdEEEEEE10hipError_tPvRmT0_T1_T2_T3_T4_T5_mmT6_P12ihipStream_tbEUlT_E0_NS1_11comp_targetILNS1_3genE2ELNS1_11target_archE906ELNS1_3gpuE6ELNS1_3repE0EEENS1_30default_config_static_selectorELNS0_4arch9wavefront6targetE0EEEvS10_.num_agpr, 0
	.set _ZN7rocprim17ROCPRIM_400000_NS6detail17trampoline_kernelINS0_14default_configENS1_21merge_config_selectorINS0_5tupleIJddEEENS0_10empty_typeEEEZNS1_10merge_implIS3_NS0_12zip_iteratorINS5_IJN6thrust23THRUST_200600_302600_NS6detail15normal_iteratorINSC_10device_ptrIKdEEEESI_EEEEESK_NSA_INS5_IJNSE_INSF_IdEEEESM_EEEEEPS7_SP_SP_NSC_11hip_rocprim7__merge17predicate_wrapperIddNSC_7greaterIdEEEEEE10hipError_tPvRmT0_T1_T2_T3_T4_T5_mmT6_P12ihipStream_tbEUlT_E0_NS1_11comp_targetILNS1_3genE2ELNS1_11target_archE906ELNS1_3gpuE6ELNS1_3repE0EEENS1_30default_config_static_selectorELNS0_4arch9wavefront6targetE0EEEvS10_.numbered_sgpr, 0
	.set _ZN7rocprim17ROCPRIM_400000_NS6detail17trampoline_kernelINS0_14default_configENS1_21merge_config_selectorINS0_5tupleIJddEEENS0_10empty_typeEEEZNS1_10merge_implIS3_NS0_12zip_iteratorINS5_IJN6thrust23THRUST_200600_302600_NS6detail15normal_iteratorINSC_10device_ptrIKdEEEESI_EEEEESK_NSA_INS5_IJNSE_INSF_IdEEEESM_EEEEEPS7_SP_SP_NSC_11hip_rocprim7__merge17predicate_wrapperIddNSC_7greaterIdEEEEEE10hipError_tPvRmT0_T1_T2_T3_T4_T5_mmT6_P12ihipStream_tbEUlT_E0_NS1_11comp_targetILNS1_3genE2ELNS1_11target_archE906ELNS1_3gpuE6ELNS1_3repE0EEENS1_30default_config_static_selectorELNS0_4arch9wavefront6targetE0EEEvS10_.num_named_barrier, 0
	.set _ZN7rocprim17ROCPRIM_400000_NS6detail17trampoline_kernelINS0_14default_configENS1_21merge_config_selectorINS0_5tupleIJddEEENS0_10empty_typeEEEZNS1_10merge_implIS3_NS0_12zip_iteratorINS5_IJN6thrust23THRUST_200600_302600_NS6detail15normal_iteratorINSC_10device_ptrIKdEEEESI_EEEEESK_NSA_INS5_IJNSE_INSF_IdEEEESM_EEEEEPS7_SP_SP_NSC_11hip_rocprim7__merge17predicate_wrapperIddNSC_7greaterIdEEEEEE10hipError_tPvRmT0_T1_T2_T3_T4_T5_mmT6_P12ihipStream_tbEUlT_E0_NS1_11comp_targetILNS1_3genE2ELNS1_11target_archE906ELNS1_3gpuE6ELNS1_3repE0EEENS1_30default_config_static_selectorELNS0_4arch9wavefront6targetE0EEEvS10_.private_seg_size, 0
	.set _ZN7rocprim17ROCPRIM_400000_NS6detail17trampoline_kernelINS0_14default_configENS1_21merge_config_selectorINS0_5tupleIJddEEENS0_10empty_typeEEEZNS1_10merge_implIS3_NS0_12zip_iteratorINS5_IJN6thrust23THRUST_200600_302600_NS6detail15normal_iteratorINSC_10device_ptrIKdEEEESI_EEEEESK_NSA_INS5_IJNSE_INSF_IdEEEESM_EEEEEPS7_SP_SP_NSC_11hip_rocprim7__merge17predicate_wrapperIddNSC_7greaterIdEEEEEE10hipError_tPvRmT0_T1_T2_T3_T4_T5_mmT6_P12ihipStream_tbEUlT_E0_NS1_11comp_targetILNS1_3genE2ELNS1_11target_archE906ELNS1_3gpuE6ELNS1_3repE0EEENS1_30default_config_static_selectorELNS0_4arch9wavefront6targetE0EEEvS10_.uses_vcc, 0
	.set _ZN7rocprim17ROCPRIM_400000_NS6detail17trampoline_kernelINS0_14default_configENS1_21merge_config_selectorINS0_5tupleIJddEEENS0_10empty_typeEEEZNS1_10merge_implIS3_NS0_12zip_iteratorINS5_IJN6thrust23THRUST_200600_302600_NS6detail15normal_iteratorINSC_10device_ptrIKdEEEESI_EEEEESK_NSA_INS5_IJNSE_INSF_IdEEEESM_EEEEEPS7_SP_SP_NSC_11hip_rocprim7__merge17predicate_wrapperIddNSC_7greaterIdEEEEEE10hipError_tPvRmT0_T1_T2_T3_T4_T5_mmT6_P12ihipStream_tbEUlT_E0_NS1_11comp_targetILNS1_3genE2ELNS1_11target_archE906ELNS1_3gpuE6ELNS1_3repE0EEENS1_30default_config_static_selectorELNS0_4arch9wavefront6targetE0EEEvS10_.uses_flat_scratch, 0
	.set _ZN7rocprim17ROCPRIM_400000_NS6detail17trampoline_kernelINS0_14default_configENS1_21merge_config_selectorINS0_5tupleIJddEEENS0_10empty_typeEEEZNS1_10merge_implIS3_NS0_12zip_iteratorINS5_IJN6thrust23THRUST_200600_302600_NS6detail15normal_iteratorINSC_10device_ptrIKdEEEESI_EEEEESK_NSA_INS5_IJNSE_INSF_IdEEEESM_EEEEEPS7_SP_SP_NSC_11hip_rocprim7__merge17predicate_wrapperIddNSC_7greaterIdEEEEEE10hipError_tPvRmT0_T1_T2_T3_T4_T5_mmT6_P12ihipStream_tbEUlT_E0_NS1_11comp_targetILNS1_3genE2ELNS1_11target_archE906ELNS1_3gpuE6ELNS1_3repE0EEENS1_30default_config_static_selectorELNS0_4arch9wavefront6targetE0EEEvS10_.has_dyn_sized_stack, 0
	.set _ZN7rocprim17ROCPRIM_400000_NS6detail17trampoline_kernelINS0_14default_configENS1_21merge_config_selectorINS0_5tupleIJddEEENS0_10empty_typeEEEZNS1_10merge_implIS3_NS0_12zip_iteratorINS5_IJN6thrust23THRUST_200600_302600_NS6detail15normal_iteratorINSC_10device_ptrIKdEEEESI_EEEEESK_NSA_INS5_IJNSE_INSF_IdEEEESM_EEEEEPS7_SP_SP_NSC_11hip_rocprim7__merge17predicate_wrapperIddNSC_7greaterIdEEEEEE10hipError_tPvRmT0_T1_T2_T3_T4_T5_mmT6_P12ihipStream_tbEUlT_E0_NS1_11comp_targetILNS1_3genE2ELNS1_11target_archE906ELNS1_3gpuE6ELNS1_3repE0EEENS1_30default_config_static_selectorELNS0_4arch9wavefront6targetE0EEEvS10_.has_recursion, 0
	.set _ZN7rocprim17ROCPRIM_400000_NS6detail17trampoline_kernelINS0_14default_configENS1_21merge_config_selectorINS0_5tupleIJddEEENS0_10empty_typeEEEZNS1_10merge_implIS3_NS0_12zip_iteratorINS5_IJN6thrust23THRUST_200600_302600_NS6detail15normal_iteratorINSC_10device_ptrIKdEEEESI_EEEEESK_NSA_INS5_IJNSE_INSF_IdEEEESM_EEEEEPS7_SP_SP_NSC_11hip_rocprim7__merge17predicate_wrapperIddNSC_7greaterIdEEEEEE10hipError_tPvRmT0_T1_T2_T3_T4_T5_mmT6_P12ihipStream_tbEUlT_E0_NS1_11comp_targetILNS1_3genE2ELNS1_11target_archE906ELNS1_3gpuE6ELNS1_3repE0EEENS1_30default_config_static_selectorELNS0_4arch9wavefront6targetE0EEEvS10_.has_indirect_call, 0
	.section	.AMDGPU.csdata,"",@progbits
; Kernel info:
; codeLenInByte = 0
; TotalNumSgprs: 0
; NumVgprs: 0
; ScratchSize: 0
; MemoryBound: 0
; FloatMode: 240
; IeeeMode: 1
; LDSByteSize: 0 bytes/workgroup (compile time only)
; SGPRBlocks: 0
; VGPRBlocks: 0
; NumSGPRsForWavesPerEU: 1
; NumVGPRsForWavesPerEU: 1
; Occupancy: 16
; WaveLimiterHint : 0
; COMPUTE_PGM_RSRC2:SCRATCH_EN: 0
; COMPUTE_PGM_RSRC2:USER_SGPR: 6
; COMPUTE_PGM_RSRC2:TRAP_HANDLER: 0
; COMPUTE_PGM_RSRC2:TGID_X_EN: 1
; COMPUTE_PGM_RSRC2:TGID_Y_EN: 0
; COMPUTE_PGM_RSRC2:TGID_Z_EN: 0
; COMPUTE_PGM_RSRC2:TIDIG_COMP_CNT: 0
	.section	.text._ZN7rocprim17ROCPRIM_400000_NS6detail17trampoline_kernelINS0_14default_configENS1_21merge_config_selectorINS0_5tupleIJddEEENS0_10empty_typeEEEZNS1_10merge_implIS3_NS0_12zip_iteratorINS5_IJN6thrust23THRUST_200600_302600_NS6detail15normal_iteratorINSC_10device_ptrIKdEEEESI_EEEEESK_NSA_INS5_IJNSE_INSF_IdEEEESM_EEEEEPS7_SP_SP_NSC_11hip_rocprim7__merge17predicate_wrapperIddNSC_7greaterIdEEEEEE10hipError_tPvRmT0_T1_T2_T3_T4_T5_mmT6_P12ihipStream_tbEUlT_E0_NS1_11comp_targetILNS1_3genE10ELNS1_11target_archE1201ELNS1_3gpuE5ELNS1_3repE0EEENS1_30default_config_static_selectorELNS0_4arch9wavefront6targetE0EEEvS10_,"axG",@progbits,_ZN7rocprim17ROCPRIM_400000_NS6detail17trampoline_kernelINS0_14default_configENS1_21merge_config_selectorINS0_5tupleIJddEEENS0_10empty_typeEEEZNS1_10merge_implIS3_NS0_12zip_iteratorINS5_IJN6thrust23THRUST_200600_302600_NS6detail15normal_iteratorINSC_10device_ptrIKdEEEESI_EEEEESK_NSA_INS5_IJNSE_INSF_IdEEEESM_EEEEEPS7_SP_SP_NSC_11hip_rocprim7__merge17predicate_wrapperIddNSC_7greaterIdEEEEEE10hipError_tPvRmT0_T1_T2_T3_T4_T5_mmT6_P12ihipStream_tbEUlT_E0_NS1_11comp_targetILNS1_3genE10ELNS1_11target_archE1201ELNS1_3gpuE5ELNS1_3repE0EEENS1_30default_config_static_selectorELNS0_4arch9wavefront6targetE0EEEvS10_,comdat
	.protected	_ZN7rocprim17ROCPRIM_400000_NS6detail17trampoline_kernelINS0_14default_configENS1_21merge_config_selectorINS0_5tupleIJddEEENS0_10empty_typeEEEZNS1_10merge_implIS3_NS0_12zip_iteratorINS5_IJN6thrust23THRUST_200600_302600_NS6detail15normal_iteratorINSC_10device_ptrIKdEEEESI_EEEEESK_NSA_INS5_IJNSE_INSF_IdEEEESM_EEEEEPS7_SP_SP_NSC_11hip_rocprim7__merge17predicate_wrapperIddNSC_7greaterIdEEEEEE10hipError_tPvRmT0_T1_T2_T3_T4_T5_mmT6_P12ihipStream_tbEUlT_E0_NS1_11comp_targetILNS1_3genE10ELNS1_11target_archE1201ELNS1_3gpuE5ELNS1_3repE0EEENS1_30default_config_static_selectorELNS0_4arch9wavefront6targetE0EEEvS10_ ; -- Begin function _ZN7rocprim17ROCPRIM_400000_NS6detail17trampoline_kernelINS0_14default_configENS1_21merge_config_selectorINS0_5tupleIJddEEENS0_10empty_typeEEEZNS1_10merge_implIS3_NS0_12zip_iteratorINS5_IJN6thrust23THRUST_200600_302600_NS6detail15normal_iteratorINSC_10device_ptrIKdEEEESI_EEEEESK_NSA_INS5_IJNSE_INSF_IdEEEESM_EEEEEPS7_SP_SP_NSC_11hip_rocprim7__merge17predicate_wrapperIddNSC_7greaterIdEEEEEE10hipError_tPvRmT0_T1_T2_T3_T4_T5_mmT6_P12ihipStream_tbEUlT_E0_NS1_11comp_targetILNS1_3genE10ELNS1_11target_archE1201ELNS1_3gpuE5ELNS1_3repE0EEENS1_30default_config_static_selectorELNS0_4arch9wavefront6targetE0EEEvS10_
	.globl	_ZN7rocprim17ROCPRIM_400000_NS6detail17trampoline_kernelINS0_14default_configENS1_21merge_config_selectorINS0_5tupleIJddEEENS0_10empty_typeEEEZNS1_10merge_implIS3_NS0_12zip_iteratorINS5_IJN6thrust23THRUST_200600_302600_NS6detail15normal_iteratorINSC_10device_ptrIKdEEEESI_EEEEESK_NSA_INS5_IJNSE_INSF_IdEEEESM_EEEEEPS7_SP_SP_NSC_11hip_rocprim7__merge17predicate_wrapperIddNSC_7greaterIdEEEEEE10hipError_tPvRmT0_T1_T2_T3_T4_T5_mmT6_P12ihipStream_tbEUlT_E0_NS1_11comp_targetILNS1_3genE10ELNS1_11target_archE1201ELNS1_3gpuE5ELNS1_3repE0EEENS1_30default_config_static_selectorELNS0_4arch9wavefront6targetE0EEEvS10_
	.p2align	8
	.type	_ZN7rocprim17ROCPRIM_400000_NS6detail17trampoline_kernelINS0_14default_configENS1_21merge_config_selectorINS0_5tupleIJddEEENS0_10empty_typeEEEZNS1_10merge_implIS3_NS0_12zip_iteratorINS5_IJN6thrust23THRUST_200600_302600_NS6detail15normal_iteratorINSC_10device_ptrIKdEEEESI_EEEEESK_NSA_INS5_IJNSE_INSF_IdEEEESM_EEEEEPS7_SP_SP_NSC_11hip_rocprim7__merge17predicate_wrapperIddNSC_7greaterIdEEEEEE10hipError_tPvRmT0_T1_T2_T3_T4_T5_mmT6_P12ihipStream_tbEUlT_E0_NS1_11comp_targetILNS1_3genE10ELNS1_11target_archE1201ELNS1_3gpuE5ELNS1_3repE0EEENS1_30default_config_static_selectorELNS0_4arch9wavefront6targetE0EEEvS10_,@function
_ZN7rocprim17ROCPRIM_400000_NS6detail17trampoline_kernelINS0_14default_configENS1_21merge_config_selectorINS0_5tupleIJddEEENS0_10empty_typeEEEZNS1_10merge_implIS3_NS0_12zip_iteratorINS5_IJN6thrust23THRUST_200600_302600_NS6detail15normal_iteratorINSC_10device_ptrIKdEEEESI_EEEEESK_NSA_INS5_IJNSE_INSF_IdEEEESM_EEEEEPS7_SP_SP_NSC_11hip_rocprim7__merge17predicate_wrapperIddNSC_7greaterIdEEEEEE10hipError_tPvRmT0_T1_T2_T3_T4_T5_mmT6_P12ihipStream_tbEUlT_E0_NS1_11comp_targetILNS1_3genE10ELNS1_11target_archE1201ELNS1_3gpuE5ELNS1_3repE0EEENS1_30default_config_static_selectorELNS0_4arch9wavefront6targetE0EEEvS10_: ; @_ZN7rocprim17ROCPRIM_400000_NS6detail17trampoline_kernelINS0_14default_configENS1_21merge_config_selectorINS0_5tupleIJddEEENS0_10empty_typeEEEZNS1_10merge_implIS3_NS0_12zip_iteratorINS5_IJN6thrust23THRUST_200600_302600_NS6detail15normal_iteratorINSC_10device_ptrIKdEEEESI_EEEEESK_NSA_INS5_IJNSE_INSF_IdEEEESM_EEEEEPS7_SP_SP_NSC_11hip_rocprim7__merge17predicate_wrapperIddNSC_7greaterIdEEEEEE10hipError_tPvRmT0_T1_T2_T3_T4_T5_mmT6_P12ihipStream_tbEUlT_E0_NS1_11comp_targetILNS1_3genE10ELNS1_11target_archE1201ELNS1_3gpuE5ELNS1_3repE0EEENS1_30default_config_static_selectorELNS0_4arch9wavefront6targetE0EEEvS10_
; %bb.0:
	.section	.rodata,"a",@progbits
	.p2align	6, 0x0
	.amdhsa_kernel _ZN7rocprim17ROCPRIM_400000_NS6detail17trampoline_kernelINS0_14default_configENS1_21merge_config_selectorINS0_5tupleIJddEEENS0_10empty_typeEEEZNS1_10merge_implIS3_NS0_12zip_iteratorINS5_IJN6thrust23THRUST_200600_302600_NS6detail15normal_iteratorINSC_10device_ptrIKdEEEESI_EEEEESK_NSA_INS5_IJNSE_INSF_IdEEEESM_EEEEEPS7_SP_SP_NSC_11hip_rocprim7__merge17predicate_wrapperIddNSC_7greaterIdEEEEEE10hipError_tPvRmT0_T1_T2_T3_T4_T5_mmT6_P12ihipStream_tbEUlT_E0_NS1_11comp_targetILNS1_3genE10ELNS1_11target_archE1201ELNS1_3gpuE5ELNS1_3repE0EEENS1_30default_config_static_selectorELNS0_4arch9wavefront6targetE0EEEvS10_
		.amdhsa_group_segment_fixed_size 0
		.amdhsa_private_segment_fixed_size 0
		.amdhsa_kernarg_size 112
		.amdhsa_user_sgpr_count 6
		.amdhsa_user_sgpr_private_segment_buffer 1
		.amdhsa_user_sgpr_dispatch_ptr 0
		.amdhsa_user_sgpr_queue_ptr 0
		.amdhsa_user_sgpr_kernarg_segment_ptr 1
		.amdhsa_user_sgpr_dispatch_id 0
		.amdhsa_user_sgpr_flat_scratch_init 0
		.amdhsa_user_sgpr_private_segment_size 0
		.amdhsa_wavefront_size32 1
		.amdhsa_uses_dynamic_stack 0
		.amdhsa_system_sgpr_private_segment_wavefront_offset 0
		.amdhsa_system_sgpr_workgroup_id_x 1
		.amdhsa_system_sgpr_workgroup_id_y 0
		.amdhsa_system_sgpr_workgroup_id_z 0
		.amdhsa_system_sgpr_workgroup_info 0
		.amdhsa_system_vgpr_workitem_id 0
		.amdhsa_next_free_vgpr 1
		.amdhsa_next_free_sgpr 1
		.amdhsa_reserve_vcc 0
		.amdhsa_reserve_flat_scratch 0
		.amdhsa_float_round_mode_32 0
		.amdhsa_float_round_mode_16_64 0
		.amdhsa_float_denorm_mode_32 3
		.amdhsa_float_denorm_mode_16_64 3
		.amdhsa_dx10_clamp 1
		.amdhsa_ieee_mode 1
		.amdhsa_fp16_overflow 0
		.amdhsa_workgroup_processor_mode 1
		.amdhsa_memory_ordered 1
		.amdhsa_forward_progress 1
		.amdhsa_shared_vgpr_count 0
		.amdhsa_exception_fp_ieee_invalid_op 0
		.amdhsa_exception_fp_denorm_src 0
		.amdhsa_exception_fp_ieee_div_zero 0
		.amdhsa_exception_fp_ieee_overflow 0
		.amdhsa_exception_fp_ieee_underflow 0
		.amdhsa_exception_fp_ieee_inexact 0
		.amdhsa_exception_int_div_zero 0
	.end_amdhsa_kernel
	.section	.text._ZN7rocprim17ROCPRIM_400000_NS6detail17trampoline_kernelINS0_14default_configENS1_21merge_config_selectorINS0_5tupleIJddEEENS0_10empty_typeEEEZNS1_10merge_implIS3_NS0_12zip_iteratorINS5_IJN6thrust23THRUST_200600_302600_NS6detail15normal_iteratorINSC_10device_ptrIKdEEEESI_EEEEESK_NSA_INS5_IJNSE_INSF_IdEEEESM_EEEEEPS7_SP_SP_NSC_11hip_rocprim7__merge17predicate_wrapperIddNSC_7greaterIdEEEEEE10hipError_tPvRmT0_T1_T2_T3_T4_T5_mmT6_P12ihipStream_tbEUlT_E0_NS1_11comp_targetILNS1_3genE10ELNS1_11target_archE1201ELNS1_3gpuE5ELNS1_3repE0EEENS1_30default_config_static_selectorELNS0_4arch9wavefront6targetE0EEEvS10_,"axG",@progbits,_ZN7rocprim17ROCPRIM_400000_NS6detail17trampoline_kernelINS0_14default_configENS1_21merge_config_selectorINS0_5tupleIJddEEENS0_10empty_typeEEEZNS1_10merge_implIS3_NS0_12zip_iteratorINS5_IJN6thrust23THRUST_200600_302600_NS6detail15normal_iteratorINSC_10device_ptrIKdEEEESI_EEEEESK_NSA_INS5_IJNSE_INSF_IdEEEESM_EEEEEPS7_SP_SP_NSC_11hip_rocprim7__merge17predicate_wrapperIddNSC_7greaterIdEEEEEE10hipError_tPvRmT0_T1_T2_T3_T4_T5_mmT6_P12ihipStream_tbEUlT_E0_NS1_11comp_targetILNS1_3genE10ELNS1_11target_archE1201ELNS1_3gpuE5ELNS1_3repE0EEENS1_30default_config_static_selectorELNS0_4arch9wavefront6targetE0EEEvS10_,comdat
.Lfunc_end331:
	.size	_ZN7rocprim17ROCPRIM_400000_NS6detail17trampoline_kernelINS0_14default_configENS1_21merge_config_selectorINS0_5tupleIJddEEENS0_10empty_typeEEEZNS1_10merge_implIS3_NS0_12zip_iteratorINS5_IJN6thrust23THRUST_200600_302600_NS6detail15normal_iteratorINSC_10device_ptrIKdEEEESI_EEEEESK_NSA_INS5_IJNSE_INSF_IdEEEESM_EEEEEPS7_SP_SP_NSC_11hip_rocprim7__merge17predicate_wrapperIddNSC_7greaterIdEEEEEE10hipError_tPvRmT0_T1_T2_T3_T4_T5_mmT6_P12ihipStream_tbEUlT_E0_NS1_11comp_targetILNS1_3genE10ELNS1_11target_archE1201ELNS1_3gpuE5ELNS1_3repE0EEENS1_30default_config_static_selectorELNS0_4arch9wavefront6targetE0EEEvS10_, .Lfunc_end331-_ZN7rocprim17ROCPRIM_400000_NS6detail17trampoline_kernelINS0_14default_configENS1_21merge_config_selectorINS0_5tupleIJddEEENS0_10empty_typeEEEZNS1_10merge_implIS3_NS0_12zip_iteratorINS5_IJN6thrust23THRUST_200600_302600_NS6detail15normal_iteratorINSC_10device_ptrIKdEEEESI_EEEEESK_NSA_INS5_IJNSE_INSF_IdEEEESM_EEEEEPS7_SP_SP_NSC_11hip_rocprim7__merge17predicate_wrapperIddNSC_7greaterIdEEEEEE10hipError_tPvRmT0_T1_T2_T3_T4_T5_mmT6_P12ihipStream_tbEUlT_E0_NS1_11comp_targetILNS1_3genE10ELNS1_11target_archE1201ELNS1_3gpuE5ELNS1_3repE0EEENS1_30default_config_static_selectorELNS0_4arch9wavefront6targetE0EEEvS10_
                                        ; -- End function
	.set _ZN7rocprim17ROCPRIM_400000_NS6detail17trampoline_kernelINS0_14default_configENS1_21merge_config_selectorINS0_5tupleIJddEEENS0_10empty_typeEEEZNS1_10merge_implIS3_NS0_12zip_iteratorINS5_IJN6thrust23THRUST_200600_302600_NS6detail15normal_iteratorINSC_10device_ptrIKdEEEESI_EEEEESK_NSA_INS5_IJNSE_INSF_IdEEEESM_EEEEEPS7_SP_SP_NSC_11hip_rocprim7__merge17predicate_wrapperIddNSC_7greaterIdEEEEEE10hipError_tPvRmT0_T1_T2_T3_T4_T5_mmT6_P12ihipStream_tbEUlT_E0_NS1_11comp_targetILNS1_3genE10ELNS1_11target_archE1201ELNS1_3gpuE5ELNS1_3repE0EEENS1_30default_config_static_selectorELNS0_4arch9wavefront6targetE0EEEvS10_.num_vgpr, 0
	.set _ZN7rocprim17ROCPRIM_400000_NS6detail17trampoline_kernelINS0_14default_configENS1_21merge_config_selectorINS0_5tupleIJddEEENS0_10empty_typeEEEZNS1_10merge_implIS3_NS0_12zip_iteratorINS5_IJN6thrust23THRUST_200600_302600_NS6detail15normal_iteratorINSC_10device_ptrIKdEEEESI_EEEEESK_NSA_INS5_IJNSE_INSF_IdEEEESM_EEEEEPS7_SP_SP_NSC_11hip_rocprim7__merge17predicate_wrapperIddNSC_7greaterIdEEEEEE10hipError_tPvRmT0_T1_T2_T3_T4_T5_mmT6_P12ihipStream_tbEUlT_E0_NS1_11comp_targetILNS1_3genE10ELNS1_11target_archE1201ELNS1_3gpuE5ELNS1_3repE0EEENS1_30default_config_static_selectorELNS0_4arch9wavefront6targetE0EEEvS10_.num_agpr, 0
	.set _ZN7rocprim17ROCPRIM_400000_NS6detail17trampoline_kernelINS0_14default_configENS1_21merge_config_selectorINS0_5tupleIJddEEENS0_10empty_typeEEEZNS1_10merge_implIS3_NS0_12zip_iteratorINS5_IJN6thrust23THRUST_200600_302600_NS6detail15normal_iteratorINSC_10device_ptrIKdEEEESI_EEEEESK_NSA_INS5_IJNSE_INSF_IdEEEESM_EEEEEPS7_SP_SP_NSC_11hip_rocprim7__merge17predicate_wrapperIddNSC_7greaterIdEEEEEE10hipError_tPvRmT0_T1_T2_T3_T4_T5_mmT6_P12ihipStream_tbEUlT_E0_NS1_11comp_targetILNS1_3genE10ELNS1_11target_archE1201ELNS1_3gpuE5ELNS1_3repE0EEENS1_30default_config_static_selectorELNS0_4arch9wavefront6targetE0EEEvS10_.numbered_sgpr, 0
	.set _ZN7rocprim17ROCPRIM_400000_NS6detail17trampoline_kernelINS0_14default_configENS1_21merge_config_selectorINS0_5tupleIJddEEENS0_10empty_typeEEEZNS1_10merge_implIS3_NS0_12zip_iteratorINS5_IJN6thrust23THRUST_200600_302600_NS6detail15normal_iteratorINSC_10device_ptrIKdEEEESI_EEEEESK_NSA_INS5_IJNSE_INSF_IdEEEESM_EEEEEPS7_SP_SP_NSC_11hip_rocprim7__merge17predicate_wrapperIddNSC_7greaterIdEEEEEE10hipError_tPvRmT0_T1_T2_T3_T4_T5_mmT6_P12ihipStream_tbEUlT_E0_NS1_11comp_targetILNS1_3genE10ELNS1_11target_archE1201ELNS1_3gpuE5ELNS1_3repE0EEENS1_30default_config_static_selectorELNS0_4arch9wavefront6targetE0EEEvS10_.num_named_barrier, 0
	.set _ZN7rocprim17ROCPRIM_400000_NS6detail17trampoline_kernelINS0_14default_configENS1_21merge_config_selectorINS0_5tupleIJddEEENS0_10empty_typeEEEZNS1_10merge_implIS3_NS0_12zip_iteratorINS5_IJN6thrust23THRUST_200600_302600_NS6detail15normal_iteratorINSC_10device_ptrIKdEEEESI_EEEEESK_NSA_INS5_IJNSE_INSF_IdEEEESM_EEEEEPS7_SP_SP_NSC_11hip_rocprim7__merge17predicate_wrapperIddNSC_7greaterIdEEEEEE10hipError_tPvRmT0_T1_T2_T3_T4_T5_mmT6_P12ihipStream_tbEUlT_E0_NS1_11comp_targetILNS1_3genE10ELNS1_11target_archE1201ELNS1_3gpuE5ELNS1_3repE0EEENS1_30default_config_static_selectorELNS0_4arch9wavefront6targetE0EEEvS10_.private_seg_size, 0
	.set _ZN7rocprim17ROCPRIM_400000_NS6detail17trampoline_kernelINS0_14default_configENS1_21merge_config_selectorINS0_5tupleIJddEEENS0_10empty_typeEEEZNS1_10merge_implIS3_NS0_12zip_iteratorINS5_IJN6thrust23THRUST_200600_302600_NS6detail15normal_iteratorINSC_10device_ptrIKdEEEESI_EEEEESK_NSA_INS5_IJNSE_INSF_IdEEEESM_EEEEEPS7_SP_SP_NSC_11hip_rocprim7__merge17predicate_wrapperIddNSC_7greaterIdEEEEEE10hipError_tPvRmT0_T1_T2_T3_T4_T5_mmT6_P12ihipStream_tbEUlT_E0_NS1_11comp_targetILNS1_3genE10ELNS1_11target_archE1201ELNS1_3gpuE5ELNS1_3repE0EEENS1_30default_config_static_selectorELNS0_4arch9wavefront6targetE0EEEvS10_.uses_vcc, 0
	.set _ZN7rocprim17ROCPRIM_400000_NS6detail17trampoline_kernelINS0_14default_configENS1_21merge_config_selectorINS0_5tupleIJddEEENS0_10empty_typeEEEZNS1_10merge_implIS3_NS0_12zip_iteratorINS5_IJN6thrust23THRUST_200600_302600_NS6detail15normal_iteratorINSC_10device_ptrIKdEEEESI_EEEEESK_NSA_INS5_IJNSE_INSF_IdEEEESM_EEEEEPS7_SP_SP_NSC_11hip_rocprim7__merge17predicate_wrapperIddNSC_7greaterIdEEEEEE10hipError_tPvRmT0_T1_T2_T3_T4_T5_mmT6_P12ihipStream_tbEUlT_E0_NS1_11comp_targetILNS1_3genE10ELNS1_11target_archE1201ELNS1_3gpuE5ELNS1_3repE0EEENS1_30default_config_static_selectorELNS0_4arch9wavefront6targetE0EEEvS10_.uses_flat_scratch, 0
	.set _ZN7rocprim17ROCPRIM_400000_NS6detail17trampoline_kernelINS0_14default_configENS1_21merge_config_selectorINS0_5tupleIJddEEENS0_10empty_typeEEEZNS1_10merge_implIS3_NS0_12zip_iteratorINS5_IJN6thrust23THRUST_200600_302600_NS6detail15normal_iteratorINSC_10device_ptrIKdEEEESI_EEEEESK_NSA_INS5_IJNSE_INSF_IdEEEESM_EEEEEPS7_SP_SP_NSC_11hip_rocprim7__merge17predicate_wrapperIddNSC_7greaterIdEEEEEE10hipError_tPvRmT0_T1_T2_T3_T4_T5_mmT6_P12ihipStream_tbEUlT_E0_NS1_11comp_targetILNS1_3genE10ELNS1_11target_archE1201ELNS1_3gpuE5ELNS1_3repE0EEENS1_30default_config_static_selectorELNS0_4arch9wavefront6targetE0EEEvS10_.has_dyn_sized_stack, 0
	.set _ZN7rocprim17ROCPRIM_400000_NS6detail17trampoline_kernelINS0_14default_configENS1_21merge_config_selectorINS0_5tupleIJddEEENS0_10empty_typeEEEZNS1_10merge_implIS3_NS0_12zip_iteratorINS5_IJN6thrust23THRUST_200600_302600_NS6detail15normal_iteratorINSC_10device_ptrIKdEEEESI_EEEEESK_NSA_INS5_IJNSE_INSF_IdEEEESM_EEEEEPS7_SP_SP_NSC_11hip_rocprim7__merge17predicate_wrapperIddNSC_7greaterIdEEEEEE10hipError_tPvRmT0_T1_T2_T3_T4_T5_mmT6_P12ihipStream_tbEUlT_E0_NS1_11comp_targetILNS1_3genE10ELNS1_11target_archE1201ELNS1_3gpuE5ELNS1_3repE0EEENS1_30default_config_static_selectorELNS0_4arch9wavefront6targetE0EEEvS10_.has_recursion, 0
	.set _ZN7rocprim17ROCPRIM_400000_NS6detail17trampoline_kernelINS0_14default_configENS1_21merge_config_selectorINS0_5tupleIJddEEENS0_10empty_typeEEEZNS1_10merge_implIS3_NS0_12zip_iteratorINS5_IJN6thrust23THRUST_200600_302600_NS6detail15normal_iteratorINSC_10device_ptrIKdEEEESI_EEEEESK_NSA_INS5_IJNSE_INSF_IdEEEESM_EEEEEPS7_SP_SP_NSC_11hip_rocprim7__merge17predicate_wrapperIddNSC_7greaterIdEEEEEE10hipError_tPvRmT0_T1_T2_T3_T4_T5_mmT6_P12ihipStream_tbEUlT_E0_NS1_11comp_targetILNS1_3genE10ELNS1_11target_archE1201ELNS1_3gpuE5ELNS1_3repE0EEENS1_30default_config_static_selectorELNS0_4arch9wavefront6targetE0EEEvS10_.has_indirect_call, 0
	.section	.AMDGPU.csdata,"",@progbits
; Kernel info:
; codeLenInByte = 0
; TotalNumSgprs: 0
; NumVgprs: 0
; ScratchSize: 0
; MemoryBound: 0
; FloatMode: 240
; IeeeMode: 1
; LDSByteSize: 0 bytes/workgroup (compile time only)
; SGPRBlocks: 0
; VGPRBlocks: 0
; NumSGPRsForWavesPerEU: 1
; NumVGPRsForWavesPerEU: 1
; Occupancy: 16
; WaveLimiterHint : 0
; COMPUTE_PGM_RSRC2:SCRATCH_EN: 0
; COMPUTE_PGM_RSRC2:USER_SGPR: 6
; COMPUTE_PGM_RSRC2:TRAP_HANDLER: 0
; COMPUTE_PGM_RSRC2:TGID_X_EN: 1
; COMPUTE_PGM_RSRC2:TGID_Y_EN: 0
; COMPUTE_PGM_RSRC2:TGID_Z_EN: 0
; COMPUTE_PGM_RSRC2:TIDIG_COMP_CNT: 0
	.section	.text._ZN7rocprim17ROCPRIM_400000_NS6detail17trampoline_kernelINS0_14default_configENS1_21merge_config_selectorINS0_5tupleIJddEEENS0_10empty_typeEEEZNS1_10merge_implIS3_NS0_12zip_iteratorINS5_IJN6thrust23THRUST_200600_302600_NS6detail15normal_iteratorINSC_10device_ptrIKdEEEESI_EEEEESK_NSA_INS5_IJNSE_INSF_IdEEEESM_EEEEEPS7_SP_SP_NSC_11hip_rocprim7__merge17predicate_wrapperIddNSC_7greaterIdEEEEEE10hipError_tPvRmT0_T1_T2_T3_T4_T5_mmT6_P12ihipStream_tbEUlT_E0_NS1_11comp_targetILNS1_3genE10ELNS1_11target_archE1200ELNS1_3gpuE4ELNS1_3repE0EEENS1_30default_config_static_selectorELNS0_4arch9wavefront6targetE0EEEvS10_,"axG",@progbits,_ZN7rocprim17ROCPRIM_400000_NS6detail17trampoline_kernelINS0_14default_configENS1_21merge_config_selectorINS0_5tupleIJddEEENS0_10empty_typeEEEZNS1_10merge_implIS3_NS0_12zip_iteratorINS5_IJN6thrust23THRUST_200600_302600_NS6detail15normal_iteratorINSC_10device_ptrIKdEEEESI_EEEEESK_NSA_INS5_IJNSE_INSF_IdEEEESM_EEEEEPS7_SP_SP_NSC_11hip_rocprim7__merge17predicate_wrapperIddNSC_7greaterIdEEEEEE10hipError_tPvRmT0_T1_T2_T3_T4_T5_mmT6_P12ihipStream_tbEUlT_E0_NS1_11comp_targetILNS1_3genE10ELNS1_11target_archE1200ELNS1_3gpuE4ELNS1_3repE0EEENS1_30default_config_static_selectorELNS0_4arch9wavefront6targetE0EEEvS10_,comdat
	.protected	_ZN7rocprim17ROCPRIM_400000_NS6detail17trampoline_kernelINS0_14default_configENS1_21merge_config_selectorINS0_5tupleIJddEEENS0_10empty_typeEEEZNS1_10merge_implIS3_NS0_12zip_iteratorINS5_IJN6thrust23THRUST_200600_302600_NS6detail15normal_iteratorINSC_10device_ptrIKdEEEESI_EEEEESK_NSA_INS5_IJNSE_INSF_IdEEEESM_EEEEEPS7_SP_SP_NSC_11hip_rocprim7__merge17predicate_wrapperIddNSC_7greaterIdEEEEEE10hipError_tPvRmT0_T1_T2_T3_T4_T5_mmT6_P12ihipStream_tbEUlT_E0_NS1_11comp_targetILNS1_3genE10ELNS1_11target_archE1200ELNS1_3gpuE4ELNS1_3repE0EEENS1_30default_config_static_selectorELNS0_4arch9wavefront6targetE0EEEvS10_ ; -- Begin function _ZN7rocprim17ROCPRIM_400000_NS6detail17trampoline_kernelINS0_14default_configENS1_21merge_config_selectorINS0_5tupleIJddEEENS0_10empty_typeEEEZNS1_10merge_implIS3_NS0_12zip_iteratorINS5_IJN6thrust23THRUST_200600_302600_NS6detail15normal_iteratorINSC_10device_ptrIKdEEEESI_EEEEESK_NSA_INS5_IJNSE_INSF_IdEEEESM_EEEEEPS7_SP_SP_NSC_11hip_rocprim7__merge17predicate_wrapperIddNSC_7greaterIdEEEEEE10hipError_tPvRmT0_T1_T2_T3_T4_T5_mmT6_P12ihipStream_tbEUlT_E0_NS1_11comp_targetILNS1_3genE10ELNS1_11target_archE1200ELNS1_3gpuE4ELNS1_3repE0EEENS1_30default_config_static_selectorELNS0_4arch9wavefront6targetE0EEEvS10_
	.globl	_ZN7rocprim17ROCPRIM_400000_NS6detail17trampoline_kernelINS0_14default_configENS1_21merge_config_selectorINS0_5tupleIJddEEENS0_10empty_typeEEEZNS1_10merge_implIS3_NS0_12zip_iteratorINS5_IJN6thrust23THRUST_200600_302600_NS6detail15normal_iteratorINSC_10device_ptrIKdEEEESI_EEEEESK_NSA_INS5_IJNSE_INSF_IdEEEESM_EEEEEPS7_SP_SP_NSC_11hip_rocprim7__merge17predicate_wrapperIddNSC_7greaterIdEEEEEE10hipError_tPvRmT0_T1_T2_T3_T4_T5_mmT6_P12ihipStream_tbEUlT_E0_NS1_11comp_targetILNS1_3genE10ELNS1_11target_archE1200ELNS1_3gpuE4ELNS1_3repE0EEENS1_30default_config_static_selectorELNS0_4arch9wavefront6targetE0EEEvS10_
	.p2align	8
	.type	_ZN7rocprim17ROCPRIM_400000_NS6detail17trampoline_kernelINS0_14default_configENS1_21merge_config_selectorINS0_5tupleIJddEEENS0_10empty_typeEEEZNS1_10merge_implIS3_NS0_12zip_iteratorINS5_IJN6thrust23THRUST_200600_302600_NS6detail15normal_iteratorINSC_10device_ptrIKdEEEESI_EEEEESK_NSA_INS5_IJNSE_INSF_IdEEEESM_EEEEEPS7_SP_SP_NSC_11hip_rocprim7__merge17predicate_wrapperIddNSC_7greaterIdEEEEEE10hipError_tPvRmT0_T1_T2_T3_T4_T5_mmT6_P12ihipStream_tbEUlT_E0_NS1_11comp_targetILNS1_3genE10ELNS1_11target_archE1200ELNS1_3gpuE4ELNS1_3repE0EEENS1_30default_config_static_selectorELNS0_4arch9wavefront6targetE0EEEvS10_,@function
_ZN7rocprim17ROCPRIM_400000_NS6detail17trampoline_kernelINS0_14default_configENS1_21merge_config_selectorINS0_5tupleIJddEEENS0_10empty_typeEEEZNS1_10merge_implIS3_NS0_12zip_iteratorINS5_IJN6thrust23THRUST_200600_302600_NS6detail15normal_iteratorINSC_10device_ptrIKdEEEESI_EEEEESK_NSA_INS5_IJNSE_INSF_IdEEEESM_EEEEEPS7_SP_SP_NSC_11hip_rocprim7__merge17predicate_wrapperIddNSC_7greaterIdEEEEEE10hipError_tPvRmT0_T1_T2_T3_T4_T5_mmT6_P12ihipStream_tbEUlT_E0_NS1_11comp_targetILNS1_3genE10ELNS1_11target_archE1200ELNS1_3gpuE4ELNS1_3repE0EEENS1_30default_config_static_selectorELNS0_4arch9wavefront6targetE0EEEvS10_: ; @_ZN7rocprim17ROCPRIM_400000_NS6detail17trampoline_kernelINS0_14default_configENS1_21merge_config_selectorINS0_5tupleIJddEEENS0_10empty_typeEEEZNS1_10merge_implIS3_NS0_12zip_iteratorINS5_IJN6thrust23THRUST_200600_302600_NS6detail15normal_iteratorINSC_10device_ptrIKdEEEESI_EEEEESK_NSA_INS5_IJNSE_INSF_IdEEEESM_EEEEEPS7_SP_SP_NSC_11hip_rocprim7__merge17predicate_wrapperIddNSC_7greaterIdEEEEEE10hipError_tPvRmT0_T1_T2_T3_T4_T5_mmT6_P12ihipStream_tbEUlT_E0_NS1_11comp_targetILNS1_3genE10ELNS1_11target_archE1200ELNS1_3gpuE4ELNS1_3repE0EEENS1_30default_config_static_selectorELNS0_4arch9wavefront6targetE0EEEvS10_
; %bb.0:
	.section	.rodata,"a",@progbits
	.p2align	6, 0x0
	.amdhsa_kernel _ZN7rocprim17ROCPRIM_400000_NS6detail17trampoline_kernelINS0_14default_configENS1_21merge_config_selectorINS0_5tupleIJddEEENS0_10empty_typeEEEZNS1_10merge_implIS3_NS0_12zip_iteratorINS5_IJN6thrust23THRUST_200600_302600_NS6detail15normal_iteratorINSC_10device_ptrIKdEEEESI_EEEEESK_NSA_INS5_IJNSE_INSF_IdEEEESM_EEEEEPS7_SP_SP_NSC_11hip_rocprim7__merge17predicate_wrapperIddNSC_7greaterIdEEEEEE10hipError_tPvRmT0_T1_T2_T3_T4_T5_mmT6_P12ihipStream_tbEUlT_E0_NS1_11comp_targetILNS1_3genE10ELNS1_11target_archE1200ELNS1_3gpuE4ELNS1_3repE0EEENS1_30default_config_static_selectorELNS0_4arch9wavefront6targetE0EEEvS10_
		.amdhsa_group_segment_fixed_size 0
		.amdhsa_private_segment_fixed_size 0
		.amdhsa_kernarg_size 112
		.amdhsa_user_sgpr_count 6
		.amdhsa_user_sgpr_private_segment_buffer 1
		.amdhsa_user_sgpr_dispatch_ptr 0
		.amdhsa_user_sgpr_queue_ptr 0
		.amdhsa_user_sgpr_kernarg_segment_ptr 1
		.amdhsa_user_sgpr_dispatch_id 0
		.amdhsa_user_sgpr_flat_scratch_init 0
		.amdhsa_user_sgpr_private_segment_size 0
		.amdhsa_wavefront_size32 1
		.amdhsa_uses_dynamic_stack 0
		.amdhsa_system_sgpr_private_segment_wavefront_offset 0
		.amdhsa_system_sgpr_workgroup_id_x 1
		.amdhsa_system_sgpr_workgroup_id_y 0
		.amdhsa_system_sgpr_workgroup_id_z 0
		.amdhsa_system_sgpr_workgroup_info 0
		.amdhsa_system_vgpr_workitem_id 0
		.amdhsa_next_free_vgpr 1
		.amdhsa_next_free_sgpr 1
		.amdhsa_reserve_vcc 0
		.amdhsa_reserve_flat_scratch 0
		.amdhsa_float_round_mode_32 0
		.amdhsa_float_round_mode_16_64 0
		.amdhsa_float_denorm_mode_32 3
		.amdhsa_float_denorm_mode_16_64 3
		.amdhsa_dx10_clamp 1
		.amdhsa_ieee_mode 1
		.amdhsa_fp16_overflow 0
		.amdhsa_workgroup_processor_mode 1
		.amdhsa_memory_ordered 1
		.amdhsa_forward_progress 1
		.amdhsa_shared_vgpr_count 0
		.amdhsa_exception_fp_ieee_invalid_op 0
		.amdhsa_exception_fp_denorm_src 0
		.amdhsa_exception_fp_ieee_div_zero 0
		.amdhsa_exception_fp_ieee_overflow 0
		.amdhsa_exception_fp_ieee_underflow 0
		.amdhsa_exception_fp_ieee_inexact 0
		.amdhsa_exception_int_div_zero 0
	.end_amdhsa_kernel
	.section	.text._ZN7rocprim17ROCPRIM_400000_NS6detail17trampoline_kernelINS0_14default_configENS1_21merge_config_selectorINS0_5tupleIJddEEENS0_10empty_typeEEEZNS1_10merge_implIS3_NS0_12zip_iteratorINS5_IJN6thrust23THRUST_200600_302600_NS6detail15normal_iteratorINSC_10device_ptrIKdEEEESI_EEEEESK_NSA_INS5_IJNSE_INSF_IdEEEESM_EEEEEPS7_SP_SP_NSC_11hip_rocprim7__merge17predicate_wrapperIddNSC_7greaterIdEEEEEE10hipError_tPvRmT0_T1_T2_T3_T4_T5_mmT6_P12ihipStream_tbEUlT_E0_NS1_11comp_targetILNS1_3genE10ELNS1_11target_archE1200ELNS1_3gpuE4ELNS1_3repE0EEENS1_30default_config_static_selectorELNS0_4arch9wavefront6targetE0EEEvS10_,"axG",@progbits,_ZN7rocprim17ROCPRIM_400000_NS6detail17trampoline_kernelINS0_14default_configENS1_21merge_config_selectorINS0_5tupleIJddEEENS0_10empty_typeEEEZNS1_10merge_implIS3_NS0_12zip_iteratorINS5_IJN6thrust23THRUST_200600_302600_NS6detail15normal_iteratorINSC_10device_ptrIKdEEEESI_EEEEESK_NSA_INS5_IJNSE_INSF_IdEEEESM_EEEEEPS7_SP_SP_NSC_11hip_rocprim7__merge17predicate_wrapperIddNSC_7greaterIdEEEEEE10hipError_tPvRmT0_T1_T2_T3_T4_T5_mmT6_P12ihipStream_tbEUlT_E0_NS1_11comp_targetILNS1_3genE10ELNS1_11target_archE1200ELNS1_3gpuE4ELNS1_3repE0EEENS1_30default_config_static_selectorELNS0_4arch9wavefront6targetE0EEEvS10_,comdat
.Lfunc_end332:
	.size	_ZN7rocprim17ROCPRIM_400000_NS6detail17trampoline_kernelINS0_14default_configENS1_21merge_config_selectorINS0_5tupleIJddEEENS0_10empty_typeEEEZNS1_10merge_implIS3_NS0_12zip_iteratorINS5_IJN6thrust23THRUST_200600_302600_NS6detail15normal_iteratorINSC_10device_ptrIKdEEEESI_EEEEESK_NSA_INS5_IJNSE_INSF_IdEEEESM_EEEEEPS7_SP_SP_NSC_11hip_rocprim7__merge17predicate_wrapperIddNSC_7greaterIdEEEEEE10hipError_tPvRmT0_T1_T2_T3_T4_T5_mmT6_P12ihipStream_tbEUlT_E0_NS1_11comp_targetILNS1_3genE10ELNS1_11target_archE1200ELNS1_3gpuE4ELNS1_3repE0EEENS1_30default_config_static_selectorELNS0_4arch9wavefront6targetE0EEEvS10_, .Lfunc_end332-_ZN7rocprim17ROCPRIM_400000_NS6detail17trampoline_kernelINS0_14default_configENS1_21merge_config_selectorINS0_5tupleIJddEEENS0_10empty_typeEEEZNS1_10merge_implIS3_NS0_12zip_iteratorINS5_IJN6thrust23THRUST_200600_302600_NS6detail15normal_iteratorINSC_10device_ptrIKdEEEESI_EEEEESK_NSA_INS5_IJNSE_INSF_IdEEEESM_EEEEEPS7_SP_SP_NSC_11hip_rocprim7__merge17predicate_wrapperIddNSC_7greaterIdEEEEEE10hipError_tPvRmT0_T1_T2_T3_T4_T5_mmT6_P12ihipStream_tbEUlT_E0_NS1_11comp_targetILNS1_3genE10ELNS1_11target_archE1200ELNS1_3gpuE4ELNS1_3repE0EEENS1_30default_config_static_selectorELNS0_4arch9wavefront6targetE0EEEvS10_
                                        ; -- End function
	.set _ZN7rocprim17ROCPRIM_400000_NS6detail17trampoline_kernelINS0_14default_configENS1_21merge_config_selectorINS0_5tupleIJddEEENS0_10empty_typeEEEZNS1_10merge_implIS3_NS0_12zip_iteratorINS5_IJN6thrust23THRUST_200600_302600_NS6detail15normal_iteratorINSC_10device_ptrIKdEEEESI_EEEEESK_NSA_INS5_IJNSE_INSF_IdEEEESM_EEEEEPS7_SP_SP_NSC_11hip_rocprim7__merge17predicate_wrapperIddNSC_7greaterIdEEEEEE10hipError_tPvRmT0_T1_T2_T3_T4_T5_mmT6_P12ihipStream_tbEUlT_E0_NS1_11comp_targetILNS1_3genE10ELNS1_11target_archE1200ELNS1_3gpuE4ELNS1_3repE0EEENS1_30default_config_static_selectorELNS0_4arch9wavefront6targetE0EEEvS10_.num_vgpr, 0
	.set _ZN7rocprim17ROCPRIM_400000_NS6detail17trampoline_kernelINS0_14default_configENS1_21merge_config_selectorINS0_5tupleIJddEEENS0_10empty_typeEEEZNS1_10merge_implIS3_NS0_12zip_iteratorINS5_IJN6thrust23THRUST_200600_302600_NS6detail15normal_iteratorINSC_10device_ptrIKdEEEESI_EEEEESK_NSA_INS5_IJNSE_INSF_IdEEEESM_EEEEEPS7_SP_SP_NSC_11hip_rocprim7__merge17predicate_wrapperIddNSC_7greaterIdEEEEEE10hipError_tPvRmT0_T1_T2_T3_T4_T5_mmT6_P12ihipStream_tbEUlT_E0_NS1_11comp_targetILNS1_3genE10ELNS1_11target_archE1200ELNS1_3gpuE4ELNS1_3repE0EEENS1_30default_config_static_selectorELNS0_4arch9wavefront6targetE0EEEvS10_.num_agpr, 0
	.set _ZN7rocprim17ROCPRIM_400000_NS6detail17trampoline_kernelINS0_14default_configENS1_21merge_config_selectorINS0_5tupleIJddEEENS0_10empty_typeEEEZNS1_10merge_implIS3_NS0_12zip_iteratorINS5_IJN6thrust23THRUST_200600_302600_NS6detail15normal_iteratorINSC_10device_ptrIKdEEEESI_EEEEESK_NSA_INS5_IJNSE_INSF_IdEEEESM_EEEEEPS7_SP_SP_NSC_11hip_rocprim7__merge17predicate_wrapperIddNSC_7greaterIdEEEEEE10hipError_tPvRmT0_T1_T2_T3_T4_T5_mmT6_P12ihipStream_tbEUlT_E0_NS1_11comp_targetILNS1_3genE10ELNS1_11target_archE1200ELNS1_3gpuE4ELNS1_3repE0EEENS1_30default_config_static_selectorELNS0_4arch9wavefront6targetE0EEEvS10_.numbered_sgpr, 0
	.set _ZN7rocprim17ROCPRIM_400000_NS6detail17trampoline_kernelINS0_14default_configENS1_21merge_config_selectorINS0_5tupleIJddEEENS0_10empty_typeEEEZNS1_10merge_implIS3_NS0_12zip_iteratorINS5_IJN6thrust23THRUST_200600_302600_NS6detail15normal_iteratorINSC_10device_ptrIKdEEEESI_EEEEESK_NSA_INS5_IJNSE_INSF_IdEEEESM_EEEEEPS7_SP_SP_NSC_11hip_rocprim7__merge17predicate_wrapperIddNSC_7greaterIdEEEEEE10hipError_tPvRmT0_T1_T2_T3_T4_T5_mmT6_P12ihipStream_tbEUlT_E0_NS1_11comp_targetILNS1_3genE10ELNS1_11target_archE1200ELNS1_3gpuE4ELNS1_3repE0EEENS1_30default_config_static_selectorELNS0_4arch9wavefront6targetE0EEEvS10_.num_named_barrier, 0
	.set _ZN7rocprim17ROCPRIM_400000_NS6detail17trampoline_kernelINS0_14default_configENS1_21merge_config_selectorINS0_5tupleIJddEEENS0_10empty_typeEEEZNS1_10merge_implIS3_NS0_12zip_iteratorINS5_IJN6thrust23THRUST_200600_302600_NS6detail15normal_iteratorINSC_10device_ptrIKdEEEESI_EEEEESK_NSA_INS5_IJNSE_INSF_IdEEEESM_EEEEEPS7_SP_SP_NSC_11hip_rocprim7__merge17predicate_wrapperIddNSC_7greaterIdEEEEEE10hipError_tPvRmT0_T1_T2_T3_T4_T5_mmT6_P12ihipStream_tbEUlT_E0_NS1_11comp_targetILNS1_3genE10ELNS1_11target_archE1200ELNS1_3gpuE4ELNS1_3repE0EEENS1_30default_config_static_selectorELNS0_4arch9wavefront6targetE0EEEvS10_.private_seg_size, 0
	.set _ZN7rocprim17ROCPRIM_400000_NS6detail17trampoline_kernelINS0_14default_configENS1_21merge_config_selectorINS0_5tupleIJddEEENS0_10empty_typeEEEZNS1_10merge_implIS3_NS0_12zip_iteratorINS5_IJN6thrust23THRUST_200600_302600_NS6detail15normal_iteratorINSC_10device_ptrIKdEEEESI_EEEEESK_NSA_INS5_IJNSE_INSF_IdEEEESM_EEEEEPS7_SP_SP_NSC_11hip_rocprim7__merge17predicate_wrapperIddNSC_7greaterIdEEEEEE10hipError_tPvRmT0_T1_T2_T3_T4_T5_mmT6_P12ihipStream_tbEUlT_E0_NS1_11comp_targetILNS1_3genE10ELNS1_11target_archE1200ELNS1_3gpuE4ELNS1_3repE0EEENS1_30default_config_static_selectorELNS0_4arch9wavefront6targetE0EEEvS10_.uses_vcc, 0
	.set _ZN7rocprim17ROCPRIM_400000_NS6detail17trampoline_kernelINS0_14default_configENS1_21merge_config_selectorINS0_5tupleIJddEEENS0_10empty_typeEEEZNS1_10merge_implIS3_NS0_12zip_iteratorINS5_IJN6thrust23THRUST_200600_302600_NS6detail15normal_iteratorINSC_10device_ptrIKdEEEESI_EEEEESK_NSA_INS5_IJNSE_INSF_IdEEEESM_EEEEEPS7_SP_SP_NSC_11hip_rocprim7__merge17predicate_wrapperIddNSC_7greaterIdEEEEEE10hipError_tPvRmT0_T1_T2_T3_T4_T5_mmT6_P12ihipStream_tbEUlT_E0_NS1_11comp_targetILNS1_3genE10ELNS1_11target_archE1200ELNS1_3gpuE4ELNS1_3repE0EEENS1_30default_config_static_selectorELNS0_4arch9wavefront6targetE0EEEvS10_.uses_flat_scratch, 0
	.set _ZN7rocprim17ROCPRIM_400000_NS6detail17trampoline_kernelINS0_14default_configENS1_21merge_config_selectorINS0_5tupleIJddEEENS0_10empty_typeEEEZNS1_10merge_implIS3_NS0_12zip_iteratorINS5_IJN6thrust23THRUST_200600_302600_NS6detail15normal_iteratorINSC_10device_ptrIKdEEEESI_EEEEESK_NSA_INS5_IJNSE_INSF_IdEEEESM_EEEEEPS7_SP_SP_NSC_11hip_rocprim7__merge17predicate_wrapperIddNSC_7greaterIdEEEEEE10hipError_tPvRmT0_T1_T2_T3_T4_T5_mmT6_P12ihipStream_tbEUlT_E0_NS1_11comp_targetILNS1_3genE10ELNS1_11target_archE1200ELNS1_3gpuE4ELNS1_3repE0EEENS1_30default_config_static_selectorELNS0_4arch9wavefront6targetE0EEEvS10_.has_dyn_sized_stack, 0
	.set _ZN7rocprim17ROCPRIM_400000_NS6detail17trampoline_kernelINS0_14default_configENS1_21merge_config_selectorINS0_5tupleIJddEEENS0_10empty_typeEEEZNS1_10merge_implIS3_NS0_12zip_iteratorINS5_IJN6thrust23THRUST_200600_302600_NS6detail15normal_iteratorINSC_10device_ptrIKdEEEESI_EEEEESK_NSA_INS5_IJNSE_INSF_IdEEEESM_EEEEEPS7_SP_SP_NSC_11hip_rocprim7__merge17predicate_wrapperIddNSC_7greaterIdEEEEEE10hipError_tPvRmT0_T1_T2_T3_T4_T5_mmT6_P12ihipStream_tbEUlT_E0_NS1_11comp_targetILNS1_3genE10ELNS1_11target_archE1200ELNS1_3gpuE4ELNS1_3repE0EEENS1_30default_config_static_selectorELNS0_4arch9wavefront6targetE0EEEvS10_.has_recursion, 0
	.set _ZN7rocprim17ROCPRIM_400000_NS6detail17trampoline_kernelINS0_14default_configENS1_21merge_config_selectorINS0_5tupleIJddEEENS0_10empty_typeEEEZNS1_10merge_implIS3_NS0_12zip_iteratorINS5_IJN6thrust23THRUST_200600_302600_NS6detail15normal_iteratorINSC_10device_ptrIKdEEEESI_EEEEESK_NSA_INS5_IJNSE_INSF_IdEEEESM_EEEEEPS7_SP_SP_NSC_11hip_rocprim7__merge17predicate_wrapperIddNSC_7greaterIdEEEEEE10hipError_tPvRmT0_T1_T2_T3_T4_T5_mmT6_P12ihipStream_tbEUlT_E0_NS1_11comp_targetILNS1_3genE10ELNS1_11target_archE1200ELNS1_3gpuE4ELNS1_3repE0EEENS1_30default_config_static_selectorELNS0_4arch9wavefront6targetE0EEEvS10_.has_indirect_call, 0
	.section	.AMDGPU.csdata,"",@progbits
; Kernel info:
; codeLenInByte = 0
; TotalNumSgprs: 0
; NumVgprs: 0
; ScratchSize: 0
; MemoryBound: 0
; FloatMode: 240
; IeeeMode: 1
; LDSByteSize: 0 bytes/workgroup (compile time only)
; SGPRBlocks: 0
; VGPRBlocks: 0
; NumSGPRsForWavesPerEU: 1
; NumVGPRsForWavesPerEU: 1
; Occupancy: 16
; WaveLimiterHint : 0
; COMPUTE_PGM_RSRC2:SCRATCH_EN: 0
; COMPUTE_PGM_RSRC2:USER_SGPR: 6
; COMPUTE_PGM_RSRC2:TRAP_HANDLER: 0
; COMPUTE_PGM_RSRC2:TGID_X_EN: 1
; COMPUTE_PGM_RSRC2:TGID_Y_EN: 0
; COMPUTE_PGM_RSRC2:TGID_Z_EN: 0
; COMPUTE_PGM_RSRC2:TIDIG_COMP_CNT: 0
	.section	.text._ZN7rocprim17ROCPRIM_400000_NS6detail17trampoline_kernelINS0_14default_configENS1_21merge_config_selectorINS0_5tupleIJddEEENS0_10empty_typeEEEZNS1_10merge_implIS3_NS0_12zip_iteratorINS5_IJN6thrust23THRUST_200600_302600_NS6detail15normal_iteratorINSC_10device_ptrIKdEEEESI_EEEEESK_NSA_INS5_IJNSE_INSF_IdEEEESM_EEEEEPS7_SP_SP_NSC_11hip_rocprim7__merge17predicate_wrapperIddNSC_7greaterIdEEEEEE10hipError_tPvRmT0_T1_T2_T3_T4_T5_mmT6_P12ihipStream_tbEUlT_E0_NS1_11comp_targetILNS1_3genE9ELNS1_11target_archE1100ELNS1_3gpuE3ELNS1_3repE0EEENS1_30default_config_static_selectorELNS0_4arch9wavefront6targetE0EEEvS10_,"axG",@progbits,_ZN7rocprim17ROCPRIM_400000_NS6detail17trampoline_kernelINS0_14default_configENS1_21merge_config_selectorINS0_5tupleIJddEEENS0_10empty_typeEEEZNS1_10merge_implIS3_NS0_12zip_iteratorINS5_IJN6thrust23THRUST_200600_302600_NS6detail15normal_iteratorINSC_10device_ptrIKdEEEESI_EEEEESK_NSA_INS5_IJNSE_INSF_IdEEEESM_EEEEEPS7_SP_SP_NSC_11hip_rocprim7__merge17predicate_wrapperIddNSC_7greaterIdEEEEEE10hipError_tPvRmT0_T1_T2_T3_T4_T5_mmT6_P12ihipStream_tbEUlT_E0_NS1_11comp_targetILNS1_3genE9ELNS1_11target_archE1100ELNS1_3gpuE3ELNS1_3repE0EEENS1_30default_config_static_selectorELNS0_4arch9wavefront6targetE0EEEvS10_,comdat
	.protected	_ZN7rocprim17ROCPRIM_400000_NS6detail17trampoline_kernelINS0_14default_configENS1_21merge_config_selectorINS0_5tupleIJddEEENS0_10empty_typeEEEZNS1_10merge_implIS3_NS0_12zip_iteratorINS5_IJN6thrust23THRUST_200600_302600_NS6detail15normal_iteratorINSC_10device_ptrIKdEEEESI_EEEEESK_NSA_INS5_IJNSE_INSF_IdEEEESM_EEEEEPS7_SP_SP_NSC_11hip_rocprim7__merge17predicate_wrapperIddNSC_7greaterIdEEEEEE10hipError_tPvRmT0_T1_T2_T3_T4_T5_mmT6_P12ihipStream_tbEUlT_E0_NS1_11comp_targetILNS1_3genE9ELNS1_11target_archE1100ELNS1_3gpuE3ELNS1_3repE0EEENS1_30default_config_static_selectorELNS0_4arch9wavefront6targetE0EEEvS10_ ; -- Begin function _ZN7rocprim17ROCPRIM_400000_NS6detail17trampoline_kernelINS0_14default_configENS1_21merge_config_selectorINS0_5tupleIJddEEENS0_10empty_typeEEEZNS1_10merge_implIS3_NS0_12zip_iteratorINS5_IJN6thrust23THRUST_200600_302600_NS6detail15normal_iteratorINSC_10device_ptrIKdEEEESI_EEEEESK_NSA_INS5_IJNSE_INSF_IdEEEESM_EEEEEPS7_SP_SP_NSC_11hip_rocprim7__merge17predicate_wrapperIddNSC_7greaterIdEEEEEE10hipError_tPvRmT0_T1_T2_T3_T4_T5_mmT6_P12ihipStream_tbEUlT_E0_NS1_11comp_targetILNS1_3genE9ELNS1_11target_archE1100ELNS1_3gpuE3ELNS1_3repE0EEENS1_30default_config_static_selectorELNS0_4arch9wavefront6targetE0EEEvS10_
	.globl	_ZN7rocprim17ROCPRIM_400000_NS6detail17trampoline_kernelINS0_14default_configENS1_21merge_config_selectorINS0_5tupleIJddEEENS0_10empty_typeEEEZNS1_10merge_implIS3_NS0_12zip_iteratorINS5_IJN6thrust23THRUST_200600_302600_NS6detail15normal_iteratorINSC_10device_ptrIKdEEEESI_EEEEESK_NSA_INS5_IJNSE_INSF_IdEEEESM_EEEEEPS7_SP_SP_NSC_11hip_rocprim7__merge17predicate_wrapperIddNSC_7greaterIdEEEEEE10hipError_tPvRmT0_T1_T2_T3_T4_T5_mmT6_P12ihipStream_tbEUlT_E0_NS1_11comp_targetILNS1_3genE9ELNS1_11target_archE1100ELNS1_3gpuE3ELNS1_3repE0EEENS1_30default_config_static_selectorELNS0_4arch9wavefront6targetE0EEEvS10_
	.p2align	8
	.type	_ZN7rocprim17ROCPRIM_400000_NS6detail17trampoline_kernelINS0_14default_configENS1_21merge_config_selectorINS0_5tupleIJddEEENS0_10empty_typeEEEZNS1_10merge_implIS3_NS0_12zip_iteratorINS5_IJN6thrust23THRUST_200600_302600_NS6detail15normal_iteratorINSC_10device_ptrIKdEEEESI_EEEEESK_NSA_INS5_IJNSE_INSF_IdEEEESM_EEEEEPS7_SP_SP_NSC_11hip_rocprim7__merge17predicate_wrapperIddNSC_7greaterIdEEEEEE10hipError_tPvRmT0_T1_T2_T3_T4_T5_mmT6_P12ihipStream_tbEUlT_E0_NS1_11comp_targetILNS1_3genE9ELNS1_11target_archE1100ELNS1_3gpuE3ELNS1_3repE0EEENS1_30default_config_static_selectorELNS0_4arch9wavefront6targetE0EEEvS10_,@function
_ZN7rocprim17ROCPRIM_400000_NS6detail17trampoline_kernelINS0_14default_configENS1_21merge_config_selectorINS0_5tupleIJddEEENS0_10empty_typeEEEZNS1_10merge_implIS3_NS0_12zip_iteratorINS5_IJN6thrust23THRUST_200600_302600_NS6detail15normal_iteratorINSC_10device_ptrIKdEEEESI_EEEEESK_NSA_INS5_IJNSE_INSF_IdEEEESM_EEEEEPS7_SP_SP_NSC_11hip_rocprim7__merge17predicate_wrapperIddNSC_7greaterIdEEEEEE10hipError_tPvRmT0_T1_T2_T3_T4_T5_mmT6_P12ihipStream_tbEUlT_E0_NS1_11comp_targetILNS1_3genE9ELNS1_11target_archE1100ELNS1_3gpuE3ELNS1_3repE0EEENS1_30default_config_static_selectorELNS0_4arch9wavefront6targetE0EEEvS10_: ; @_ZN7rocprim17ROCPRIM_400000_NS6detail17trampoline_kernelINS0_14default_configENS1_21merge_config_selectorINS0_5tupleIJddEEENS0_10empty_typeEEEZNS1_10merge_implIS3_NS0_12zip_iteratorINS5_IJN6thrust23THRUST_200600_302600_NS6detail15normal_iteratorINSC_10device_ptrIKdEEEESI_EEEEESK_NSA_INS5_IJNSE_INSF_IdEEEESM_EEEEEPS7_SP_SP_NSC_11hip_rocprim7__merge17predicate_wrapperIddNSC_7greaterIdEEEEEE10hipError_tPvRmT0_T1_T2_T3_T4_T5_mmT6_P12ihipStream_tbEUlT_E0_NS1_11comp_targetILNS1_3genE9ELNS1_11target_archE1100ELNS1_3gpuE3ELNS1_3repE0EEENS1_30default_config_static_selectorELNS0_4arch9wavefront6targetE0EEEvS10_
; %bb.0:
	.section	.rodata,"a",@progbits
	.p2align	6, 0x0
	.amdhsa_kernel _ZN7rocprim17ROCPRIM_400000_NS6detail17trampoline_kernelINS0_14default_configENS1_21merge_config_selectorINS0_5tupleIJddEEENS0_10empty_typeEEEZNS1_10merge_implIS3_NS0_12zip_iteratorINS5_IJN6thrust23THRUST_200600_302600_NS6detail15normal_iteratorINSC_10device_ptrIKdEEEESI_EEEEESK_NSA_INS5_IJNSE_INSF_IdEEEESM_EEEEEPS7_SP_SP_NSC_11hip_rocprim7__merge17predicate_wrapperIddNSC_7greaterIdEEEEEE10hipError_tPvRmT0_T1_T2_T3_T4_T5_mmT6_P12ihipStream_tbEUlT_E0_NS1_11comp_targetILNS1_3genE9ELNS1_11target_archE1100ELNS1_3gpuE3ELNS1_3repE0EEENS1_30default_config_static_selectorELNS0_4arch9wavefront6targetE0EEEvS10_
		.amdhsa_group_segment_fixed_size 0
		.amdhsa_private_segment_fixed_size 0
		.amdhsa_kernarg_size 112
		.amdhsa_user_sgpr_count 6
		.amdhsa_user_sgpr_private_segment_buffer 1
		.amdhsa_user_sgpr_dispatch_ptr 0
		.amdhsa_user_sgpr_queue_ptr 0
		.amdhsa_user_sgpr_kernarg_segment_ptr 1
		.amdhsa_user_sgpr_dispatch_id 0
		.amdhsa_user_sgpr_flat_scratch_init 0
		.amdhsa_user_sgpr_private_segment_size 0
		.amdhsa_wavefront_size32 1
		.amdhsa_uses_dynamic_stack 0
		.amdhsa_system_sgpr_private_segment_wavefront_offset 0
		.amdhsa_system_sgpr_workgroup_id_x 1
		.amdhsa_system_sgpr_workgroup_id_y 0
		.amdhsa_system_sgpr_workgroup_id_z 0
		.amdhsa_system_sgpr_workgroup_info 0
		.amdhsa_system_vgpr_workitem_id 0
		.amdhsa_next_free_vgpr 1
		.amdhsa_next_free_sgpr 1
		.amdhsa_reserve_vcc 0
		.amdhsa_reserve_flat_scratch 0
		.amdhsa_float_round_mode_32 0
		.amdhsa_float_round_mode_16_64 0
		.amdhsa_float_denorm_mode_32 3
		.amdhsa_float_denorm_mode_16_64 3
		.amdhsa_dx10_clamp 1
		.amdhsa_ieee_mode 1
		.amdhsa_fp16_overflow 0
		.amdhsa_workgroup_processor_mode 1
		.amdhsa_memory_ordered 1
		.amdhsa_forward_progress 1
		.amdhsa_shared_vgpr_count 0
		.amdhsa_exception_fp_ieee_invalid_op 0
		.amdhsa_exception_fp_denorm_src 0
		.amdhsa_exception_fp_ieee_div_zero 0
		.amdhsa_exception_fp_ieee_overflow 0
		.amdhsa_exception_fp_ieee_underflow 0
		.amdhsa_exception_fp_ieee_inexact 0
		.amdhsa_exception_int_div_zero 0
	.end_amdhsa_kernel
	.section	.text._ZN7rocprim17ROCPRIM_400000_NS6detail17trampoline_kernelINS0_14default_configENS1_21merge_config_selectorINS0_5tupleIJddEEENS0_10empty_typeEEEZNS1_10merge_implIS3_NS0_12zip_iteratorINS5_IJN6thrust23THRUST_200600_302600_NS6detail15normal_iteratorINSC_10device_ptrIKdEEEESI_EEEEESK_NSA_INS5_IJNSE_INSF_IdEEEESM_EEEEEPS7_SP_SP_NSC_11hip_rocprim7__merge17predicate_wrapperIddNSC_7greaterIdEEEEEE10hipError_tPvRmT0_T1_T2_T3_T4_T5_mmT6_P12ihipStream_tbEUlT_E0_NS1_11comp_targetILNS1_3genE9ELNS1_11target_archE1100ELNS1_3gpuE3ELNS1_3repE0EEENS1_30default_config_static_selectorELNS0_4arch9wavefront6targetE0EEEvS10_,"axG",@progbits,_ZN7rocprim17ROCPRIM_400000_NS6detail17trampoline_kernelINS0_14default_configENS1_21merge_config_selectorINS0_5tupleIJddEEENS0_10empty_typeEEEZNS1_10merge_implIS3_NS0_12zip_iteratorINS5_IJN6thrust23THRUST_200600_302600_NS6detail15normal_iteratorINSC_10device_ptrIKdEEEESI_EEEEESK_NSA_INS5_IJNSE_INSF_IdEEEESM_EEEEEPS7_SP_SP_NSC_11hip_rocprim7__merge17predicate_wrapperIddNSC_7greaterIdEEEEEE10hipError_tPvRmT0_T1_T2_T3_T4_T5_mmT6_P12ihipStream_tbEUlT_E0_NS1_11comp_targetILNS1_3genE9ELNS1_11target_archE1100ELNS1_3gpuE3ELNS1_3repE0EEENS1_30default_config_static_selectorELNS0_4arch9wavefront6targetE0EEEvS10_,comdat
.Lfunc_end333:
	.size	_ZN7rocprim17ROCPRIM_400000_NS6detail17trampoline_kernelINS0_14default_configENS1_21merge_config_selectorINS0_5tupleIJddEEENS0_10empty_typeEEEZNS1_10merge_implIS3_NS0_12zip_iteratorINS5_IJN6thrust23THRUST_200600_302600_NS6detail15normal_iteratorINSC_10device_ptrIKdEEEESI_EEEEESK_NSA_INS5_IJNSE_INSF_IdEEEESM_EEEEEPS7_SP_SP_NSC_11hip_rocprim7__merge17predicate_wrapperIddNSC_7greaterIdEEEEEE10hipError_tPvRmT0_T1_T2_T3_T4_T5_mmT6_P12ihipStream_tbEUlT_E0_NS1_11comp_targetILNS1_3genE9ELNS1_11target_archE1100ELNS1_3gpuE3ELNS1_3repE0EEENS1_30default_config_static_selectorELNS0_4arch9wavefront6targetE0EEEvS10_, .Lfunc_end333-_ZN7rocprim17ROCPRIM_400000_NS6detail17trampoline_kernelINS0_14default_configENS1_21merge_config_selectorINS0_5tupleIJddEEENS0_10empty_typeEEEZNS1_10merge_implIS3_NS0_12zip_iteratorINS5_IJN6thrust23THRUST_200600_302600_NS6detail15normal_iteratorINSC_10device_ptrIKdEEEESI_EEEEESK_NSA_INS5_IJNSE_INSF_IdEEEESM_EEEEEPS7_SP_SP_NSC_11hip_rocprim7__merge17predicate_wrapperIddNSC_7greaterIdEEEEEE10hipError_tPvRmT0_T1_T2_T3_T4_T5_mmT6_P12ihipStream_tbEUlT_E0_NS1_11comp_targetILNS1_3genE9ELNS1_11target_archE1100ELNS1_3gpuE3ELNS1_3repE0EEENS1_30default_config_static_selectorELNS0_4arch9wavefront6targetE0EEEvS10_
                                        ; -- End function
	.set _ZN7rocprim17ROCPRIM_400000_NS6detail17trampoline_kernelINS0_14default_configENS1_21merge_config_selectorINS0_5tupleIJddEEENS0_10empty_typeEEEZNS1_10merge_implIS3_NS0_12zip_iteratorINS5_IJN6thrust23THRUST_200600_302600_NS6detail15normal_iteratorINSC_10device_ptrIKdEEEESI_EEEEESK_NSA_INS5_IJNSE_INSF_IdEEEESM_EEEEEPS7_SP_SP_NSC_11hip_rocprim7__merge17predicate_wrapperIddNSC_7greaterIdEEEEEE10hipError_tPvRmT0_T1_T2_T3_T4_T5_mmT6_P12ihipStream_tbEUlT_E0_NS1_11comp_targetILNS1_3genE9ELNS1_11target_archE1100ELNS1_3gpuE3ELNS1_3repE0EEENS1_30default_config_static_selectorELNS0_4arch9wavefront6targetE0EEEvS10_.num_vgpr, 0
	.set _ZN7rocprim17ROCPRIM_400000_NS6detail17trampoline_kernelINS0_14default_configENS1_21merge_config_selectorINS0_5tupleIJddEEENS0_10empty_typeEEEZNS1_10merge_implIS3_NS0_12zip_iteratorINS5_IJN6thrust23THRUST_200600_302600_NS6detail15normal_iteratorINSC_10device_ptrIKdEEEESI_EEEEESK_NSA_INS5_IJNSE_INSF_IdEEEESM_EEEEEPS7_SP_SP_NSC_11hip_rocprim7__merge17predicate_wrapperIddNSC_7greaterIdEEEEEE10hipError_tPvRmT0_T1_T2_T3_T4_T5_mmT6_P12ihipStream_tbEUlT_E0_NS1_11comp_targetILNS1_3genE9ELNS1_11target_archE1100ELNS1_3gpuE3ELNS1_3repE0EEENS1_30default_config_static_selectorELNS0_4arch9wavefront6targetE0EEEvS10_.num_agpr, 0
	.set _ZN7rocprim17ROCPRIM_400000_NS6detail17trampoline_kernelINS0_14default_configENS1_21merge_config_selectorINS0_5tupleIJddEEENS0_10empty_typeEEEZNS1_10merge_implIS3_NS0_12zip_iteratorINS5_IJN6thrust23THRUST_200600_302600_NS6detail15normal_iteratorINSC_10device_ptrIKdEEEESI_EEEEESK_NSA_INS5_IJNSE_INSF_IdEEEESM_EEEEEPS7_SP_SP_NSC_11hip_rocprim7__merge17predicate_wrapperIddNSC_7greaterIdEEEEEE10hipError_tPvRmT0_T1_T2_T3_T4_T5_mmT6_P12ihipStream_tbEUlT_E0_NS1_11comp_targetILNS1_3genE9ELNS1_11target_archE1100ELNS1_3gpuE3ELNS1_3repE0EEENS1_30default_config_static_selectorELNS0_4arch9wavefront6targetE0EEEvS10_.numbered_sgpr, 0
	.set _ZN7rocprim17ROCPRIM_400000_NS6detail17trampoline_kernelINS0_14default_configENS1_21merge_config_selectorINS0_5tupleIJddEEENS0_10empty_typeEEEZNS1_10merge_implIS3_NS0_12zip_iteratorINS5_IJN6thrust23THRUST_200600_302600_NS6detail15normal_iteratorINSC_10device_ptrIKdEEEESI_EEEEESK_NSA_INS5_IJNSE_INSF_IdEEEESM_EEEEEPS7_SP_SP_NSC_11hip_rocprim7__merge17predicate_wrapperIddNSC_7greaterIdEEEEEE10hipError_tPvRmT0_T1_T2_T3_T4_T5_mmT6_P12ihipStream_tbEUlT_E0_NS1_11comp_targetILNS1_3genE9ELNS1_11target_archE1100ELNS1_3gpuE3ELNS1_3repE0EEENS1_30default_config_static_selectorELNS0_4arch9wavefront6targetE0EEEvS10_.num_named_barrier, 0
	.set _ZN7rocprim17ROCPRIM_400000_NS6detail17trampoline_kernelINS0_14default_configENS1_21merge_config_selectorINS0_5tupleIJddEEENS0_10empty_typeEEEZNS1_10merge_implIS3_NS0_12zip_iteratorINS5_IJN6thrust23THRUST_200600_302600_NS6detail15normal_iteratorINSC_10device_ptrIKdEEEESI_EEEEESK_NSA_INS5_IJNSE_INSF_IdEEEESM_EEEEEPS7_SP_SP_NSC_11hip_rocprim7__merge17predicate_wrapperIddNSC_7greaterIdEEEEEE10hipError_tPvRmT0_T1_T2_T3_T4_T5_mmT6_P12ihipStream_tbEUlT_E0_NS1_11comp_targetILNS1_3genE9ELNS1_11target_archE1100ELNS1_3gpuE3ELNS1_3repE0EEENS1_30default_config_static_selectorELNS0_4arch9wavefront6targetE0EEEvS10_.private_seg_size, 0
	.set _ZN7rocprim17ROCPRIM_400000_NS6detail17trampoline_kernelINS0_14default_configENS1_21merge_config_selectorINS0_5tupleIJddEEENS0_10empty_typeEEEZNS1_10merge_implIS3_NS0_12zip_iteratorINS5_IJN6thrust23THRUST_200600_302600_NS6detail15normal_iteratorINSC_10device_ptrIKdEEEESI_EEEEESK_NSA_INS5_IJNSE_INSF_IdEEEESM_EEEEEPS7_SP_SP_NSC_11hip_rocprim7__merge17predicate_wrapperIddNSC_7greaterIdEEEEEE10hipError_tPvRmT0_T1_T2_T3_T4_T5_mmT6_P12ihipStream_tbEUlT_E0_NS1_11comp_targetILNS1_3genE9ELNS1_11target_archE1100ELNS1_3gpuE3ELNS1_3repE0EEENS1_30default_config_static_selectorELNS0_4arch9wavefront6targetE0EEEvS10_.uses_vcc, 0
	.set _ZN7rocprim17ROCPRIM_400000_NS6detail17trampoline_kernelINS0_14default_configENS1_21merge_config_selectorINS0_5tupleIJddEEENS0_10empty_typeEEEZNS1_10merge_implIS3_NS0_12zip_iteratorINS5_IJN6thrust23THRUST_200600_302600_NS6detail15normal_iteratorINSC_10device_ptrIKdEEEESI_EEEEESK_NSA_INS5_IJNSE_INSF_IdEEEESM_EEEEEPS7_SP_SP_NSC_11hip_rocprim7__merge17predicate_wrapperIddNSC_7greaterIdEEEEEE10hipError_tPvRmT0_T1_T2_T3_T4_T5_mmT6_P12ihipStream_tbEUlT_E0_NS1_11comp_targetILNS1_3genE9ELNS1_11target_archE1100ELNS1_3gpuE3ELNS1_3repE0EEENS1_30default_config_static_selectorELNS0_4arch9wavefront6targetE0EEEvS10_.uses_flat_scratch, 0
	.set _ZN7rocprim17ROCPRIM_400000_NS6detail17trampoline_kernelINS0_14default_configENS1_21merge_config_selectorINS0_5tupleIJddEEENS0_10empty_typeEEEZNS1_10merge_implIS3_NS0_12zip_iteratorINS5_IJN6thrust23THRUST_200600_302600_NS6detail15normal_iteratorINSC_10device_ptrIKdEEEESI_EEEEESK_NSA_INS5_IJNSE_INSF_IdEEEESM_EEEEEPS7_SP_SP_NSC_11hip_rocprim7__merge17predicate_wrapperIddNSC_7greaterIdEEEEEE10hipError_tPvRmT0_T1_T2_T3_T4_T5_mmT6_P12ihipStream_tbEUlT_E0_NS1_11comp_targetILNS1_3genE9ELNS1_11target_archE1100ELNS1_3gpuE3ELNS1_3repE0EEENS1_30default_config_static_selectorELNS0_4arch9wavefront6targetE0EEEvS10_.has_dyn_sized_stack, 0
	.set _ZN7rocprim17ROCPRIM_400000_NS6detail17trampoline_kernelINS0_14default_configENS1_21merge_config_selectorINS0_5tupleIJddEEENS0_10empty_typeEEEZNS1_10merge_implIS3_NS0_12zip_iteratorINS5_IJN6thrust23THRUST_200600_302600_NS6detail15normal_iteratorINSC_10device_ptrIKdEEEESI_EEEEESK_NSA_INS5_IJNSE_INSF_IdEEEESM_EEEEEPS7_SP_SP_NSC_11hip_rocprim7__merge17predicate_wrapperIddNSC_7greaterIdEEEEEE10hipError_tPvRmT0_T1_T2_T3_T4_T5_mmT6_P12ihipStream_tbEUlT_E0_NS1_11comp_targetILNS1_3genE9ELNS1_11target_archE1100ELNS1_3gpuE3ELNS1_3repE0EEENS1_30default_config_static_selectorELNS0_4arch9wavefront6targetE0EEEvS10_.has_recursion, 0
	.set _ZN7rocprim17ROCPRIM_400000_NS6detail17trampoline_kernelINS0_14default_configENS1_21merge_config_selectorINS0_5tupleIJddEEENS0_10empty_typeEEEZNS1_10merge_implIS3_NS0_12zip_iteratorINS5_IJN6thrust23THRUST_200600_302600_NS6detail15normal_iteratorINSC_10device_ptrIKdEEEESI_EEEEESK_NSA_INS5_IJNSE_INSF_IdEEEESM_EEEEEPS7_SP_SP_NSC_11hip_rocprim7__merge17predicate_wrapperIddNSC_7greaterIdEEEEEE10hipError_tPvRmT0_T1_T2_T3_T4_T5_mmT6_P12ihipStream_tbEUlT_E0_NS1_11comp_targetILNS1_3genE9ELNS1_11target_archE1100ELNS1_3gpuE3ELNS1_3repE0EEENS1_30default_config_static_selectorELNS0_4arch9wavefront6targetE0EEEvS10_.has_indirect_call, 0
	.section	.AMDGPU.csdata,"",@progbits
; Kernel info:
; codeLenInByte = 0
; TotalNumSgprs: 0
; NumVgprs: 0
; ScratchSize: 0
; MemoryBound: 0
; FloatMode: 240
; IeeeMode: 1
; LDSByteSize: 0 bytes/workgroup (compile time only)
; SGPRBlocks: 0
; VGPRBlocks: 0
; NumSGPRsForWavesPerEU: 1
; NumVGPRsForWavesPerEU: 1
; Occupancy: 16
; WaveLimiterHint : 0
; COMPUTE_PGM_RSRC2:SCRATCH_EN: 0
; COMPUTE_PGM_RSRC2:USER_SGPR: 6
; COMPUTE_PGM_RSRC2:TRAP_HANDLER: 0
; COMPUTE_PGM_RSRC2:TGID_X_EN: 1
; COMPUTE_PGM_RSRC2:TGID_Y_EN: 0
; COMPUTE_PGM_RSRC2:TGID_Z_EN: 0
; COMPUTE_PGM_RSRC2:TIDIG_COMP_CNT: 0
	.section	.text._ZN7rocprim17ROCPRIM_400000_NS6detail17trampoline_kernelINS0_14default_configENS1_21merge_config_selectorINS0_5tupleIJddEEENS0_10empty_typeEEEZNS1_10merge_implIS3_NS0_12zip_iteratorINS5_IJN6thrust23THRUST_200600_302600_NS6detail15normal_iteratorINSC_10device_ptrIKdEEEESI_EEEEESK_NSA_INS5_IJNSE_INSF_IdEEEESM_EEEEEPS7_SP_SP_NSC_11hip_rocprim7__merge17predicate_wrapperIddNSC_7greaterIdEEEEEE10hipError_tPvRmT0_T1_T2_T3_T4_T5_mmT6_P12ihipStream_tbEUlT_E0_NS1_11comp_targetILNS1_3genE8ELNS1_11target_archE1030ELNS1_3gpuE2ELNS1_3repE0EEENS1_30default_config_static_selectorELNS0_4arch9wavefront6targetE0EEEvS10_,"axG",@progbits,_ZN7rocprim17ROCPRIM_400000_NS6detail17trampoline_kernelINS0_14default_configENS1_21merge_config_selectorINS0_5tupleIJddEEENS0_10empty_typeEEEZNS1_10merge_implIS3_NS0_12zip_iteratorINS5_IJN6thrust23THRUST_200600_302600_NS6detail15normal_iteratorINSC_10device_ptrIKdEEEESI_EEEEESK_NSA_INS5_IJNSE_INSF_IdEEEESM_EEEEEPS7_SP_SP_NSC_11hip_rocprim7__merge17predicate_wrapperIddNSC_7greaterIdEEEEEE10hipError_tPvRmT0_T1_T2_T3_T4_T5_mmT6_P12ihipStream_tbEUlT_E0_NS1_11comp_targetILNS1_3genE8ELNS1_11target_archE1030ELNS1_3gpuE2ELNS1_3repE0EEENS1_30default_config_static_selectorELNS0_4arch9wavefront6targetE0EEEvS10_,comdat
	.protected	_ZN7rocprim17ROCPRIM_400000_NS6detail17trampoline_kernelINS0_14default_configENS1_21merge_config_selectorINS0_5tupleIJddEEENS0_10empty_typeEEEZNS1_10merge_implIS3_NS0_12zip_iteratorINS5_IJN6thrust23THRUST_200600_302600_NS6detail15normal_iteratorINSC_10device_ptrIKdEEEESI_EEEEESK_NSA_INS5_IJNSE_INSF_IdEEEESM_EEEEEPS7_SP_SP_NSC_11hip_rocprim7__merge17predicate_wrapperIddNSC_7greaterIdEEEEEE10hipError_tPvRmT0_T1_T2_T3_T4_T5_mmT6_P12ihipStream_tbEUlT_E0_NS1_11comp_targetILNS1_3genE8ELNS1_11target_archE1030ELNS1_3gpuE2ELNS1_3repE0EEENS1_30default_config_static_selectorELNS0_4arch9wavefront6targetE0EEEvS10_ ; -- Begin function _ZN7rocprim17ROCPRIM_400000_NS6detail17trampoline_kernelINS0_14default_configENS1_21merge_config_selectorINS0_5tupleIJddEEENS0_10empty_typeEEEZNS1_10merge_implIS3_NS0_12zip_iteratorINS5_IJN6thrust23THRUST_200600_302600_NS6detail15normal_iteratorINSC_10device_ptrIKdEEEESI_EEEEESK_NSA_INS5_IJNSE_INSF_IdEEEESM_EEEEEPS7_SP_SP_NSC_11hip_rocprim7__merge17predicate_wrapperIddNSC_7greaterIdEEEEEE10hipError_tPvRmT0_T1_T2_T3_T4_T5_mmT6_P12ihipStream_tbEUlT_E0_NS1_11comp_targetILNS1_3genE8ELNS1_11target_archE1030ELNS1_3gpuE2ELNS1_3repE0EEENS1_30default_config_static_selectorELNS0_4arch9wavefront6targetE0EEEvS10_
	.globl	_ZN7rocprim17ROCPRIM_400000_NS6detail17trampoline_kernelINS0_14default_configENS1_21merge_config_selectorINS0_5tupleIJddEEENS0_10empty_typeEEEZNS1_10merge_implIS3_NS0_12zip_iteratorINS5_IJN6thrust23THRUST_200600_302600_NS6detail15normal_iteratorINSC_10device_ptrIKdEEEESI_EEEEESK_NSA_INS5_IJNSE_INSF_IdEEEESM_EEEEEPS7_SP_SP_NSC_11hip_rocprim7__merge17predicate_wrapperIddNSC_7greaterIdEEEEEE10hipError_tPvRmT0_T1_T2_T3_T4_T5_mmT6_P12ihipStream_tbEUlT_E0_NS1_11comp_targetILNS1_3genE8ELNS1_11target_archE1030ELNS1_3gpuE2ELNS1_3repE0EEENS1_30default_config_static_selectorELNS0_4arch9wavefront6targetE0EEEvS10_
	.p2align	8
	.type	_ZN7rocprim17ROCPRIM_400000_NS6detail17trampoline_kernelINS0_14default_configENS1_21merge_config_selectorINS0_5tupleIJddEEENS0_10empty_typeEEEZNS1_10merge_implIS3_NS0_12zip_iteratorINS5_IJN6thrust23THRUST_200600_302600_NS6detail15normal_iteratorINSC_10device_ptrIKdEEEESI_EEEEESK_NSA_INS5_IJNSE_INSF_IdEEEESM_EEEEEPS7_SP_SP_NSC_11hip_rocprim7__merge17predicate_wrapperIddNSC_7greaterIdEEEEEE10hipError_tPvRmT0_T1_T2_T3_T4_T5_mmT6_P12ihipStream_tbEUlT_E0_NS1_11comp_targetILNS1_3genE8ELNS1_11target_archE1030ELNS1_3gpuE2ELNS1_3repE0EEENS1_30default_config_static_selectorELNS0_4arch9wavefront6targetE0EEEvS10_,@function
_ZN7rocprim17ROCPRIM_400000_NS6detail17trampoline_kernelINS0_14default_configENS1_21merge_config_selectorINS0_5tupleIJddEEENS0_10empty_typeEEEZNS1_10merge_implIS3_NS0_12zip_iteratorINS5_IJN6thrust23THRUST_200600_302600_NS6detail15normal_iteratorINSC_10device_ptrIKdEEEESI_EEEEESK_NSA_INS5_IJNSE_INSF_IdEEEESM_EEEEEPS7_SP_SP_NSC_11hip_rocprim7__merge17predicate_wrapperIddNSC_7greaterIdEEEEEE10hipError_tPvRmT0_T1_T2_T3_T4_T5_mmT6_P12ihipStream_tbEUlT_E0_NS1_11comp_targetILNS1_3genE8ELNS1_11target_archE1030ELNS1_3gpuE2ELNS1_3repE0EEENS1_30default_config_static_selectorELNS0_4arch9wavefront6targetE0EEEvS10_: ; @_ZN7rocprim17ROCPRIM_400000_NS6detail17trampoline_kernelINS0_14default_configENS1_21merge_config_selectorINS0_5tupleIJddEEENS0_10empty_typeEEEZNS1_10merge_implIS3_NS0_12zip_iteratorINS5_IJN6thrust23THRUST_200600_302600_NS6detail15normal_iteratorINSC_10device_ptrIKdEEEESI_EEEEESK_NSA_INS5_IJNSE_INSF_IdEEEESM_EEEEEPS7_SP_SP_NSC_11hip_rocprim7__merge17predicate_wrapperIddNSC_7greaterIdEEEEEE10hipError_tPvRmT0_T1_T2_T3_T4_T5_mmT6_P12ihipStream_tbEUlT_E0_NS1_11comp_targetILNS1_3genE8ELNS1_11target_archE1030ELNS1_3gpuE2ELNS1_3repE0EEENS1_30default_config_static_selectorELNS0_4arch9wavefront6targetE0EEEvS10_
; %bb.0:
	s_clause 0x2
	s_load_dwordx4 s[0:3], s[4:5], 0x58
	s_load_dwordx8 s[8:15], s[4:5], 0x8
	s_load_dwordx4 s[16:19], s[4:5], 0x28
	s_mov_b32 s23, 0
	v_mov_b32_e32 v1, 0
	s_mov_b32 s25, s23
	s_waitcnt lgkmcnt(0)
	s_add_i32 s20, s2, s0
	s_add_i32 s0, s20, 0x7ff
	s_lshr_b32 s0, s0, 11
	s_min_u32 s1, s6, s0
	s_lshl_b32 s1, s1, 2
	s_load_dword s22, s[8:9], s1 offset:0x0
	s_add_i32 s1, s6, 1
	s_min_u32 s0, s1, s0
	s_lshl_b32 s0, s0, 2
	s_load_dword s9, s[8:9], s0 offset:0x0
	s_lshl_b32 s8, s6, 11
	s_add_i32 s0, s8, 0x800
	s_min_u32 s21, s20, s0
	s_waitcnt lgkmcnt(0)
	s_lshl_b64 s[2:3], s[22:23], 3
	s_sub_i32 s24, s8, s22
	s_add_u32 s0, s10, s2
	s_addc_u32 s1, s11, s3
	s_add_u32 s2, s12, s2
	s_addc_u32 s3, s13, s3
	s_lshl_b64 s[10:11], s[24:25], 3
	s_add_u32 s6, s14, s10
	s_addc_u32 s7, s15, s11
	s_add_u32 s10, s16, s10
	s_addc_u32 s11, s17, s11
	s_add_i32 s12, s24, s9
	s_sub_i32 s9, s9, s22
	s_sub_i32 s14, s21, s12
	s_mov_b32 s15, exec_lo
	s_add_u32 s12, s14, s9
	s_addc_u32 s13, 0, 0
	v_cmpx_le_u32_e64 s9, v0
	s_xor_b32 s15, exec_lo, s15
	s_cbranch_execz .LBB334_4
; %bb.1:
	s_mov_b32 s16, exec_lo
	v_cmpx_gt_u64_e64 s[12:13], v[0:1]
	s_cbranch_execz .LBB334_3
; %bb.2:
	v_subrev_nc_u32_e32 v1, s9, v0
	v_lshlrev_b32_e32 v5, 4, v0
	v_lshlrev_b32_e32 v3, 3, v1
	s_clause 0x1
	global_load_dwordx2 v[1:2], v3, s[6:7]
	global_load_dwordx2 v[3:4], v3, s[10:11]
	s_waitcnt vmcnt(0)
	ds_write_b128 v5, v[1:4]
.LBB334_3:
	s_or_b32 exec_lo, exec_lo, s16
.LBB334_4:
	s_or_saveexec_b32 s15, s15
	v_lshlrev_b32_e32 v41, 3, v0
	v_lshlrev_b32_e32 v42, 4, v0
	s_xor_b32 exec_lo, exec_lo, s15
	s_cbranch_execz .LBB334_6
; %bb.5:
	s_clause 0x1
	global_load_dwordx2 v[1:2], v41, s[0:1]
	global_load_dwordx2 v[3:4], v41, s[2:3]
	s_waitcnt vmcnt(0)
	ds_write_b128 v42, v[1:4]
.LBB334_6:
	s_or_b32 exec_lo, exec_lo, s15
	v_or_b32_e32 v33, 0x100, v0
	v_mov_b32_e32 v34, 0
	s_mov_b32 s15, exec_lo
	v_cmpx_le_u32_e64 s9, v33
	s_xor_b32 s15, exec_lo, s15
	s_cbranch_execz .LBB334_10
; %bb.7:
	s_mov_b32 s16, exec_lo
	v_cmpx_gt_u64_e64 s[12:13], v[33:34]
	s_cbranch_execz .LBB334_9
; %bb.8:
	v_subrev_nc_u32_e32 v1, s9, v33
	v_lshlrev_b32_e32 v3, 3, v1
	s_clause 0x1
	global_load_dwordx2 v[1:2], v3, s[6:7]
	global_load_dwordx2 v[3:4], v3, s[10:11]
	s_waitcnt vmcnt(0)
	ds_write_b128 v42, v[1:4] offset:4096
.LBB334_9:
	s_or_b32 exec_lo, exec_lo, s16
.LBB334_10:
	s_andn2_saveexec_b32 s15, s15
	s_cbranch_execz .LBB334_12
; %bb.11:
	v_lshlrev_b32_e32 v3, 3, v33
	s_clause 0x1
	global_load_dwordx2 v[1:2], v3, s[0:1]
	global_load_dwordx2 v[3:4], v3, s[2:3]
	s_waitcnt vmcnt(0)
	ds_write_b128 v42, v[1:4] offset:4096
.LBB334_12:
	s_or_b32 exec_lo, exec_lo, s15
	v_or_b32_e32 v34, 0x200, v0
	v_mov_b32_e32 v35, 0
	s_mov_b32 s15, exec_lo
	v_cmpx_le_u32_e64 s9, v34
	s_xor_b32 s15, exec_lo, s15
	s_cbranch_execz .LBB334_16
; %bb.13:
	s_mov_b32 s16, exec_lo
	v_cmpx_gt_u64_e64 s[12:13], v[34:35]
	s_cbranch_execz .LBB334_15
; %bb.14:
	v_subrev_nc_u32_e32 v1, s9, v34
	v_lshlrev_b32_e32 v3, 3, v1
	s_clause 0x1
	global_load_dwordx2 v[1:2], v3, s[6:7]
	global_load_dwordx2 v[3:4], v3, s[10:11]
	s_waitcnt vmcnt(0)
	ds_write_b128 v42, v[1:4] offset:8192
.LBB334_15:
	s_or_b32 exec_lo, exec_lo, s16
.LBB334_16:
	s_andn2_saveexec_b32 s15, s15
	s_cbranch_execz .LBB334_18
; %bb.17:
	v_lshlrev_b32_e32 v3, 3, v34
	s_clause 0x1
	global_load_dwordx2 v[1:2], v3, s[0:1]
	global_load_dwordx2 v[3:4], v3, s[2:3]
	s_waitcnt vmcnt(0)
	ds_write_b128 v42, v[1:4] offset:8192
.LBB334_18:
	;; [unrolled: 32-line block ×6, first 2 shown]
	s_or_b32 exec_lo, exec_lo, s15
	v_or_b32_e32 v39, 0x700, v0
	v_mov_b32_e32 v40, 0
	s_mov_b32 s15, exec_lo
	v_cmpx_le_u32_e64 s9, v39
	s_xor_b32 s15, exec_lo, s15
	s_cbranch_execz .LBB334_46
; %bb.43:
	v_cmp_gt_u64_e32 vcc_lo, s[12:13], v[39:40]
	s_and_saveexec_b32 s12, vcc_lo
	s_cbranch_execz .LBB334_45
; %bb.44:
	v_subrev_nc_u32_e32 v1, s9, v39
	v_lshlrev_b32_e32 v3, 3, v1
	s_clause 0x1
	global_load_dwordx2 v[1:2], v3, s[6:7]
	global_load_dwordx2 v[3:4], v3, s[10:11]
	s_waitcnt vmcnt(0)
	ds_write_b128 v42, v[1:4] offset:28672
.LBB334_45:
	s_or_b32 exec_lo, exec_lo, s12
.LBB334_46:
	s_or_saveexec_b32 s6, s15
	s_load_dwordx2 s[10:11], s[4:5], 0x38
	s_xor_b32 exec_lo, exec_lo, s6
	s_cbranch_execz .LBB334_48
; %bb.47:
	v_lshlrev_b32_e32 v3, 3, v39
	s_clause 0x1
	global_load_dwordx2 v[1:2], v3, s[0:1]
	global_load_dwordx2 v[3:4], v3, s[2:3]
	s_waitcnt vmcnt(0)
	ds_write_b128 v42, v[1:4] offset:28672
.LBB334_48:
	s_or_b32 exec_lo, exec_lo, s6
	v_sub_nc_u32_e64 v40, v41, s14 clamp
	v_min_u32_e32 v1, s9, v41
	s_mov_b32 s0, exec_lo
	s_waitcnt lgkmcnt(0)
	s_barrier
	buffer_gl0_inv
	v_cmpx_lt_u32_e64 v40, v1
	s_cbranch_execz .LBB334_52
; %bb.49:
	v_lshlrev_b32_e32 v2, 4, v41
	s_mov_b32 s1, 0
	v_lshl_add_u32 v2, s9, 4, v2
	.p2align	6
.LBB334_50:                             ; =>This Inner Loop Header: Depth=1
	v_add_nc_u32_e32 v3, v1, v40
	v_lshrrev_b32_e32 v7, 1, v3
	v_not_b32_e32 v3, v7
	v_lshlrev_b32_e32 v4, 4, v7
	v_lshl_add_u32 v5, v3, 4, v2
	ds_read_b64 v[3:4], v4
	ds_read_b64 v[5:6], v5
	s_waitcnt lgkmcnt(0)
	v_cmp_gt_f64_e32 vcc_lo, v[5:6], v[3:4]
	v_add_nc_u32_e32 v3, 1, v7
	v_cndmask_b32_e32 v1, v1, v7, vcc_lo
	v_cndmask_b32_e32 v40, v3, v40, vcc_lo
	v_cmp_ge_u32_e32 vcc_lo, v40, v1
	s_or_b32 s1, vcc_lo, s1
	s_andn2_b32 exec_lo, exec_lo, s1
	s_cbranch_execnz .LBB334_50
; %bb.51:
	s_or_b32 exec_lo, exec_lo, s1
.LBB334_52:
	s_or_b32 exec_lo, exec_lo, s0
	v_add_nc_u32_e32 v1, s9, v41
	s_add_i32 s14, s14, s9
	v_cmp_ge_u32_e32 vcc_lo, s9, v40
	v_mov_b32_e32 v11, 0
	v_mov_b32_e32 v3, 0
	v_sub_nc_u32_e32 v43, v1, v40
	v_mov_b32_e32 v7, 0
	v_mov_b32_e32 v15, 0
	;; [unrolled: 1-line block ×4, first 2 shown]
	v_cmp_ge_u32_e64 s0, s14, v43
	v_mov_b32_e32 v27, 0
	v_mov_b32_e32 v31, 0
	v_mov_b32_e32 v29, 0
	v_mov_b32_e32 v25, 0
	v_mov_b32_e32 v21, 0
	v_mov_b32_e32 v17, 0
	v_mov_b32_e32 v13, 0
	v_mov_b32_e32 v5, 0
	v_mov_b32_e32 v1, 0
	v_mov_b32_e32 v9, 0
	v_mov_b32_e32 v12, 0
	v_mov_b32_e32 v4, 0
	v_mov_b32_e32 v8, 0
	v_mov_b32_e32 v16, 0
	v_mov_b32_e32 v20, 0
	v_mov_b32_e32 v24, 0
	v_mov_b32_e32 v28, 0
	v_mov_b32_e32 v32, 0
	v_mov_b32_e32 v30, 0
	v_mov_b32_e32 v26, 0
	v_mov_b32_e32 v22, 0
	v_mov_b32_e32 v18, 0
	v_mov_b32_e32 v14, 0
	v_mov_b32_e32 v6, 0
	v_mov_b32_e32 v2, 0
	v_mov_b32_e32 v10, 0
	s_or_b32 s0, vcc_lo, s0
	s_and_saveexec_b32 s12, s0
	s_cbranch_execz .LBB334_58
; %bb.53:
	v_mov_b32_e32 v7, 0
	v_mov_b32_e32 v3, 0
	;; [unrolled: 1-line block ×6, first 2 shown]
	v_cmp_gt_u32_e32 vcc_lo, s9, v40
	s_and_saveexec_b32 s0, vcc_lo
; %bb.54:
	v_lshlrev_b32_e32 v1, 4, v40
	ds_read_b128 v[1:4], v1
; %bb.55:
	s_or_b32 exec_lo, exec_lo, s0
	v_mov_b32_e32 v5, 0
	v_cmp_le_u32_e64 s0, s14, v43
	v_mov_b32_e32 v6, 0
	s_mov_b32 s2, exec_lo
	v_cmpx_gt_u32_e64 s14, v43
; %bb.56:
	v_lshlrev_b32_e32 v5, 4, v43
	ds_read_b128 v[5:8], v5
; %bb.57:
	s_or_b32 exec_lo, exec_lo, s2
	s_waitcnt lgkmcnt(0)
	v_cmp_ngt_f64_e64 s1, v[5:6], v[1:2]
	v_mov_b32_e32 v9, s9
	s_and_b32 s1, vcc_lo, s1
	s_or_b32 vcc_lo, s0, s1
	v_cndmask_b32_e32 v10, v43, v40, vcc_lo
	v_cndmask_b32_e32 v11, s14, v9, vcc_lo
	v_add_nc_u32_e32 v10, 1, v10
	v_add_nc_u32_e32 v11, -1, v11
	v_min_u32_e32 v11, v10, v11
	v_lshlrev_b32_e32 v11, 4, v11
	ds_read_b128 v[11:14], v11
	s_waitcnt lgkmcnt(0)
	v_cndmask_b32_e32 v32, v12, v6, vcc_lo
	v_cndmask_b32_e32 v31, v11, v5, vcc_lo
	;; [unrolled: 1-line block ×6, first 2 shown]
	v_cmp_ngt_f64_e64 s0, v[31:32], v[47:48]
	v_cmp_gt_u32_e64 s1, s9, v11
	v_cmp_le_u32_e64 s2, s14, v10
	s_and_b32 s0, s1, s0
	s_or_b32 s0, s2, s0
	v_cndmask_b32_e64 v12, v10, v11, s0
	v_cndmask_b32_e64 v15, s14, v9, s0
	v_add_nc_u32_e32 v12, 1, v12
	v_add_nc_u32_e32 v15, -1, v15
	v_cndmask_b32_e64 v11, v11, v12, s0
	v_min_u32_e32 v15, v12, v15
	v_cndmask_b32_e64 v10, v12, v10, s0
	v_cmp_gt_u32_e64 s2, s9, v11
	v_lshlrev_b32_e32 v15, 4, v15
	v_cmp_le_u32_e64 s3, s14, v10
	ds_read_b128 v[15:18], v15
	s_waitcnt lgkmcnt(0)
	v_cndmask_b32_e64 v52, v16, v32, s0
	v_cndmask_b32_e64 v51, v15, v31, s0
	v_cndmask_b32_e64 v16, v48, v16, s0
	v_cndmask_b32_e64 v15, v47, v15, s0
	v_cmp_ngt_f64_e64 s1, v[51:52], v[15:16]
	s_and_b32 s1, s2, s1
	s_or_b32 s1, s3, s1
	v_cndmask_b32_e64 v12, v10, v11, s1
	v_cndmask_b32_e64 v19, s14, v9, s1
	v_add_nc_u32_e32 v12, 1, v12
	v_add_nc_u32_e32 v19, -1, v19
	v_cndmask_b32_e64 v11, v11, v12, s1
	v_min_u32_e32 v19, v12, v19
	v_cndmask_b32_e64 v10, v12, v10, s1
	v_cmp_gt_u32_e64 s3, s9, v11
	v_lshlrev_b32_e32 v19, 4, v19
	v_cmp_le_u32_e64 s4, s14, v10
	ds_read_b128 v[19:22], v19
	s_waitcnt lgkmcnt(0)
	v_cndmask_b32_e64 v54, v20, v52, s1
	v_cndmask_b32_e64 v53, v19, v51, s1
	v_cndmask_b32_e64 v20, v16, v20, s1
	v_cndmask_b32_e64 v19, v15, v19, s1
	v_cmp_ngt_f64_e64 s2, v[53:54], v[19:20]
	;; [unrolled: 19-line block ×4, first 2 shown]
	s_and_b32 s4, s5, s4
	s_or_b32 s4, s6, s4
	v_cndmask_b32_e64 v12, v10, v11, s4
	v_cndmask_b32_e64 v40, s14, v9, s4
	v_add_nc_u32_e32 v12, 1, v12
	v_add_nc_u32_e32 v40, -1, v40
	v_cndmask_b32_e64 v61, v12, v10, s4
	v_min_u32_e32 v40, v12, v40
	v_cndmask_b32_e32 v10, v6, v2, vcc_lo
	v_cndmask_b32_e32 v6, v14, v8, vcc_lo
	v_cndmask_b32_e64 v2, v32, v48, s0
	v_cmp_le_u32_e64 s7, s14, v61
	v_lshlrev_b32_e32 v40, 4, v40
	ds_read_b128 v[43:46], v40
	v_cndmask_b32_e64 v40, v11, v12, s4
	v_cndmask_b32_e32 v12, v8, v4, vcc_lo
	v_cmp_gt_u32_e64 s6, s9, v40
	s_waitcnt lgkmcnt(0)
	v_cndmask_b32_e64 v60, v44, v58, s4
	v_cndmask_b32_e64 v59, v43, v57, s4
	;; [unrolled: 1-line block ×4, first 2 shown]
	v_cmp_ngt_f64_e64 s5, v[59:60], v[43:44]
	s_and_b32 s5, s6, s5
	s_or_b32 s5, s7, s5
	v_cndmask_b32_e64 v11, v61, v40, s5
	v_cndmask_b32_e64 v49, s14, v9, s5
	v_cndmask_b32_e32 v9, v5, v1, vcc_lo
	v_cndmask_b32_e32 v5, v13, v7, vcc_lo
	;; [unrolled: 1-line block ×3, first 2 shown]
	v_add_nc_u32_e32 v62, 1, v11
	v_add_nc_u32_e32 v1, -1, v49
	v_cndmask_b32_e32 v11, v7, v3, vcc_lo
	v_cndmask_b32_e32 v7, v4, v14, vcc_lo
	v_cndmask_b32_e64 v3, v5, v13, s0
	v_cndmask_b32_e64 v14, v17, v5, s0
	v_min_u32_e32 v8, v62, v1
	v_cndmask_b32_e64 v1, v31, v47, s0
	v_cndmask_b32_e64 v4, v6, v7, s0
	;; [unrolled: 1-line block ×4, first 2 shown]
	v_lshlrev_b32_e32 v8, 4, v8
	v_cndmask_b32_e64 v13, v13, v17, s0
	v_cndmask_b32_e64 v17, v21, v14, s1
	;; [unrolled: 1-line block ×4, first 2 shown]
	ds_read_b128 v[47:50], v8
	v_cndmask_b32_e64 v8, v31, v7, s1
	v_cndmask_b32_e64 v21, v13, v21, s1
	;; [unrolled: 1-line block ×19, first 2 shown]
	s_waitcnt lgkmcnt(0)
	v_cndmask_b32_e64 v32, v48, v60, s5
	v_cndmask_b32_e64 v31, v47, v59, s5
	;; [unrolled: 1-line block ×8, first 2 shown]
	v_cmp_ngt_f64_e32 vcc_lo, v[31:32], v[47:48]
	v_cndmask_b32_e64 v17, v55, v23, s3
	v_cndmask_b32_e64 v20, v51, v22, s3
	;; [unrolled: 1-line block ×6, first 2 shown]
	v_cmp_gt_u32_e64 s0, s9, v40
	v_cmp_le_u32_e64 s1, s14, v44
	v_cndmask_b32_e64 v25, v59, v43, s5
	v_cndmask_b32_e64 v40, v49, v51, s5
	;; [unrolled: 1-line block ×10, first 2 shown]
	s_and_b32 s0, s0, vcc_lo
	s_or_b32 vcc_lo, s1, s0
	v_cndmask_b32_e32 v30, v32, v48, vcc_lo
	v_cndmask_b32_e32 v29, v31, v47, vcc_lo
	;; [unrolled: 1-line block ×4, first 2 shown]
.LBB334_58:
	s_or_b32 exec_lo, exec_lo, s12
	v_lshlrev_b32_e32 v40, 2, v0
	s_mov_b32 s9, 0
	s_sub_i32 s4, s20, s8
	s_lshl_b64 s[2:3], s[8:9], 3
	v_and_b32_e32 v40, 0x3f0, v40
	s_add_u32 s0, s18, s2
	s_barrier
	buffer_gl0_inv
	s_addc_u32 s1, s19, s3
	v_lshl_add_u32 v40, v41, 4, v40
	s_add_u32 s2, s10, s2
	s_addc_u32 s3, s11, s3
	s_cmpk_gt_u32 s4, 0x7ff
	ds_write_b128 v40, v[9:12]
	ds_write_b128 v40, v[1:4] offset:16
	ds_write_b128 v40, v[5:8] offset:32
	;; [unrolled: 1-line block ×4, first 2 shown]
	v_lshrrev_b32_e32 v11, 1, v33
	v_lshrrev_b32_e32 v10, 1, v34
	;; [unrolled: 1-line block ×7, first 2 shown]
	ds_write_b128 v40, v[21:24] offset:80
	ds_write_b128 v40, v[25:28] offset:96
	;; [unrolled: 1-line block ×3, first 2 shown]
	s_waitcnt lgkmcnt(0)
	s_cbranch_scc0 .LBB334_60
; %bb.59:
	v_lshrrev_b32_e32 v1, 1, v0
	s_barrier
	buffer_gl0_inv
	v_and_b32_e32 v2, 0xf0, v11
	v_and_b32_e32 v3, 0x1f0, v10
	v_and_b32_e32 v1, 0x70, v1
	v_and_b32_e32 v4, 0x1f0, v9
	v_and_b32_e32 v16, 0x3f0, v8
	v_and_b32_e32 v17, 0x3f0, v7
	v_and_b32_e32 v18, 0x3f0, v6
	v_add_nc_u32_e32 v1, v1, v42
	v_and_b32_e32 v19, 0x3f0, v5
	v_add_co_u32 v32, s5, s0, v41
	v_add_nc_u32_e32 v43, v17, v42
	ds_read_b128 v[12:15], v1
	v_add_nc_u32_e32 v1, v2, v42
	v_add_nc_u32_e32 v2, v3, v42
	;; [unrolled: 1-line block ×6, first 2 shown]
	ds_read_b128 v[16:19], v2 offset:8192
	ds_read_b128 v[20:23], v3 offset:12288
	;; [unrolled: 1-line block ×7, first 2 shown]
	v_add_co_ci_u32_e64 v40, null, s1, 0, s5
	v_add_co_u32 v53, s5, s2, v41
	v_add_co_ci_u32_e64 v54, null, s3, 0, s5
	s_mov_b32 s9, -1
	s_waitcnt lgkmcnt(7)
	global_store_dwordx2 v41, v[12:13], s[0:1]
	global_store_dwordx2 v41, v[14:15], s[2:3]
	v_add_co_u32 v12, vcc_lo, v32, 0x1000
	v_add_co_ci_u32_e64 v13, null, 0, v40, vcc_lo
	v_add_co_u32 v14, vcc_lo, v53, 0x1000
	v_add_co_ci_u32_e64 v15, null, 0, v54, vcc_lo
	;; [unrolled: 2-line block ×3, first 2 shown]
	s_waitcnt lgkmcnt(4)
	global_store_dwordx2 v[12:13], v[24:25], off offset:-2048
	global_store_dwordx2 v[14:15], v[26:27], off offset:-2048
	global_store_dwordx2 v[12:13], v[16:17], off
	global_store_dwordx2 v[14:15], v[18:19], off
	global_store_dwordx2 v[51:52], v[20:21], off offset:-2048
	v_add_co_u32 v12, vcc_lo, v53, 0x2000
	v_add_co_ci_u32_e64 v13, null, 0, v54, vcc_lo
	v_add_co_u32 v14, vcc_lo, v32, 0x3000
	v_add_co_ci_u32_e64 v15, null, 0, v40, vcc_lo
	;; [unrolled: 2-line block ×3, first 2 shown]
	global_store_dwordx2 v[12:13], v[22:23], off offset:-2048
	s_waitcnt lgkmcnt(3)
	global_store_dwordx2 v[51:52], v[28:29], off
	global_store_dwordx2 v[12:13], v[30:31], off
	s_waitcnt lgkmcnt(2)
	global_store_dwordx2 v[14:15], v[43:44], off offset:-2048
	global_store_dwordx2 v[16:17], v[45:46], off offset:-2048
	s_waitcnt lgkmcnt(1)
	global_store_dwordx2 v[14:15], v[47:48], off
	global_store_dwordx2 v[16:17], v[49:50], off
	s_cbranch_execz .LBB334_61
	s_branch .LBB334_70
.LBB334_60:
                                        ; implicit-def: $vgpr3_vgpr4
.LBB334_61:
	s_waitcnt lgkmcnt(0)
	v_and_b32_e32 v1, 0xf0, v11
	v_and_b32_e32 v2, 0x1f0, v10
	v_and_b32_e32 v3, 0x1f0, v9
	v_and_b32_e32 v4, 0x3f0, v8
	v_and_b32_e32 v7, 0x3f0, v7
	v_add_nc_u32_e32 v1, v1, v42
	v_add_nc_u32_e32 v2, v2, v42
	s_barrier
	s_waitcnt_vscnt null, 0x0
	buffer_gl0_inv
	v_add_nc_u32_e32 v3, v3, v42
	ds_read_b128 v[25:28], v1 offset:4096
	ds_read_b128 v[21:24], v2 offset:8192
	v_and_b32_e32 v1, 0x3f0, v6
	v_and_b32_e32 v2, 0x3f0, v5
	v_add_nc_u32_e32 v4, v4, v42
	v_add_nc_u32_e32 v5, v7, v42
	v_add_co_u32 v31, s5, s0, v41
	v_add_nc_u32_e32 v1, v1, v42
	v_add_nc_u32_e32 v2, v2, v42
	ds_read_b128 v[17:20], v3 offset:12288
	ds_read_b128 v[13:16], v4 offset:16384
	;; [unrolled: 1-line block ×5, first 2 shown]
	v_add_co_ci_u32_e64 v32, null, s1, 0, s5
	v_add_co_u32 v29, s5, s2, v41
	v_add_co_ci_u32_e64 v30, null, s3, 0, s5
	s_mov_b32 s5, exec_lo
	v_cmpx_gt_u32_e64 s4, v0
	s_cbranch_execnz .LBB334_73
; %bb.62:
	s_or_b32 exec_lo, exec_lo, s5
	s_mov_b32 s5, exec_lo
	v_cmpx_gt_u32_e64 s4, v33
	s_cbranch_execnz .LBB334_74
.LBB334_63:
	s_or_b32 exec_lo, exec_lo, s5
	s_mov_b32 s5, exec_lo
	v_cmpx_gt_u32_e64 s4, v34
	s_cbranch_execnz .LBB334_75
.LBB334_64:
	s_or_b32 exec_lo, exec_lo, s5
	s_mov_b32 s5, exec_lo
	v_cmpx_gt_u32_e64 s4, v35
	s_cbranch_execnz .LBB334_76
.LBB334_65:
	s_or_b32 exec_lo, exec_lo, s5
	s_mov_b32 s5, exec_lo
	v_cmpx_gt_u32_e64 s4, v36
	s_cbranch_execnz .LBB334_77
.LBB334_66:
	s_or_b32 exec_lo, exec_lo, s5
	s_mov_b32 s5, exec_lo
	v_cmpx_gt_u32_e64 s4, v37
	s_cbranch_execnz .LBB334_78
.LBB334_67:
	s_or_b32 exec_lo, exec_lo, s5
	s_mov_b32 s5, exec_lo
	v_cmpx_gt_u32_e64 s4, v38
	s_cbranch_execz .LBB334_69
.LBB334_68:
	s_waitcnt lgkmcnt(2)
	v_add_co_u32 v9, vcc_lo, 0x3000, v31
	v_add_co_ci_u32_e64 v10, null, 0, v32, vcc_lo
	v_add_co_u32 v11, vcc_lo, 0x3000, v29
	v_add_co_ci_u32_e64 v12, null, 0, v30, vcc_lo
	s_waitcnt lgkmcnt(1)
	global_store_dwordx2 v[9:10], v[5:6], off
	global_store_dwordx2 v[11:12], v[7:8], off
.LBB334_69:
	s_or_b32 exec_lo, exec_lo, s5
	v_cmp_gt_u32_e64 s9, s4, v39
.LBB334_70:
	s_and_saveexec_b32 s4, s9
	s_cbranch_execnz .LBB334_72
; %bb.71:
	s_endpgm
.LBB334_72:
	v_add_co_u32 v0, s0, s0, v41
	s_waitcnt lgkmcnt(1)
	v_add_co_ci_u32_e64 v6, null, s1, 0, s0
	v_add_co_u32 v7, s0, s2, v41
	v_add_co_ci_u32_e64 v8, null, s3, 0, s0
	v_add_co_u32 v5, vcc_lo, 0x3800, v0
	v_add_co_ci_u32_e64 v6, null, 0, v6, vcc_lo
	v_add_co_u32 v7, vcc_lo, 0x3800, v7
	v_add_co_ci_u32_e64 v8, null, 0, v8, vcc_lo
	s_waitcnt lgkmcnt(0)
	global_store_dwordx2 v[5:6], v[1:2], off
	global_store_dwordx2 v[7:8], v[3:4], off
	s_endpgm
.LBB334_73:
	v_lshrrev_b32_e32 v40, 1, v0
	v_and_b32_e32 v40, 0x70, v40
	v_lshl_add_u32 v0, v0, 4, v40
	ds_read_b128 v[42:45], v0
	s_waitcnt lgkmcnt(0)
	global_store_dwordx2 v[31:32], v[42:43], off
	global_store_dwordx2 v[29:30], v[44:45], off
	s_or_b32 exec_lo, exec_lo, s5
	s_mov_b32 s5, exec_lo
	v_cmpx_gt_u32_e64 s4, v33
	s_cbranch_execz .LBB334_63
.LBB334_74:
	v_add_co_u32 v42, vcc_lo, 0x800, v31
	v_add_co_ci_u32_e64 v43, null, 0, v32, vcc_lo
	v_add_co_u32 v44, vcc_lo, 0x800, v29
	v_add_co_ci_u32_e64 v45, null, 0, v30, vcc_lo
	s_waitcnt lgkmcnt(6)
	global_store_dwordx2 v[42:43], v[25:26], off
	global_store_dwordx2 v[44:45], v[27:28], off
	s_or_b32 exec_lo, exec_lo, s5
	s_mov_b32 s5, exec_lo
	v_cmpx_gt_u32_e64 s4, v34
	s_cbranch_execz .LBB334_64
.LBB334_75:
	s_waitcnt lgkmcnt(6)
	v_add_co_u32 v25, vcc_lo, 0x1000, v31
	v_add_co_ci_u32_e64 v26, null, 0, v32, vcc_lo
	v_add_co_u32 v27, vcc_lo, 0x1000, v29
	v_add_co_ci_u32_e64 v28, null, 0, v30, vcc_lo
	s_waitcnt lgkmcnt(5)
	global_store_dwordx2 v[25:26], v[21:22], off
	global_store_dwordx2 v[27:28], v[23:24], off
	s_or_b32 exec_lo, exec_lo, s5
	s_mov_b32 s5, exec_lo
	v_cmpx_gt_u32_e64 s4, v35
	s_cbranch_execz .LBB334_65
.LBB334_76:
	s_waitcnt lgkmcnt(5)
	v_add_co_u32 v21, vcc_lo, 0x1800, v31
	v_add_co_ci_u32_e64 v22, null, 0, v32, vcc_lo
	v_add_co_u32 v23, vcc_lo, 0x1800, v29
	v_add_co_ci_u32_e64 v24, null, 0, v30, vcc_lo
	s_waitcnt lgkmcnt(4)
	global_store_dwordx2 v[21:22], v[17:18], off
	global_store_dwordx2 v[23:24], v[19:20], off
	s_or_b32 exec_lo, exec_lo, s5
	s_mov_b32 s5, exec_lo
	v_cmpx_gt_u32_e64 s4, v36
	s_cbranch_execz .LBB334_66
.LBB334_77:
	s_waitcnt lgkmcnt(4)
	v_add_co_u32 v17, vcc_lo, 0x2000, v31
	v_add_co_ci_u32_e64 v18, null, 0, v32, vcc_lo
	v_add_co_u32 v19, vcc_lo, 0x2000, v29
	v_add_co_ci_u32_e64 v20, null, 0, v30, vcc_lo
	s_waitcnt lgkmcnt(3)
	global_store_dwordx2 v[17:18], v[13:14], off
	global_store_dwordx2 v[19:20], v[15:16], off
	s_or_b32 exec_lo, exec_lo, s5
	s_mov_b32 s5, exec_lo
	v_cmpx_gt_u32_e64 s4, v37
	s_cbranch_execz .LBB334_67
.LBB334_78:
	s_waitcnt lgkmcnt(3)
	v_add_co_u32 v13, vcc_lo, 0x2800, v31
	v_add_co_ci_u32_e64 v14, null, 0, v32, vcc_lo
	v_add_co_u32 v15, vcc_lo, 0x2800, v29
	v_add_co_ci_u32_e64 v16, null, 0, v30, vcc_lo
	s_waitcnt lgkmcnt(2)
	global_store_dwordx2 v[13:14], v[9:10], off
	global_store_dwordx2 v[15:16], v[11:12], off
	s_or_b32 exec_lo, exec_lo, s5
	s_mov_b32 s5, exec_lo
	v_cmpx_gt_u32_e64 s4, v38
	s_cbranch_execnz .LBB334_68
	s_branch .LBB334_69
	.section	.rodata,"a",@progbits
	.p2align	6, 0x0
	.amdhsa_kernel _ZN7rocprim17ROCPRIM_400000_NS6detail17trampoline_kernelINS0_14default_configENS1_21merge_config_selectorINS0_5tupleIJddEEENS0_10empty_typeEEEZNS1_10merge_implIS3_NS0_12zip_iteratorINS5_IJN6thrust23THRUST_200600_302600_NS6detail15normal_iteratorINSC_10device_ptrIKdEEEESI_EEEEESK_NSA_INS5_IJNSE_INSF_IdEEEESM_EEEEEPS7_SP_SP_NSC_11hip_rocprim7__merge17predicate_wrapperIddNSC_7greaterIdEEEEEE10hipError_tPvRmT0_T1_T2_T3_T4_T5_mmT6_P12ihipStream_tbEUlT_E0_NS1_11comp_targetILNS1_3genE8ELNS1_11target_archE1030ELNS1_3gpuE2ELNS1_3repE0EEENS1_30default_config_static_selectorELNS0_4arch9wavefront6targetE0EEEvS10_
		.amdhsa_group_segment_fixed_size 33792
		.amdhsa_private_segment_fixed_size 0
		.amdhsa_kernarg_size 112
		.amdhsa_user_sgpr_count 6
		.amdhsa_user_sgpr_private_segment_buffer 1
		.amdhsa_user_sgpr_dispatch_ptr 0
		.amdhsa_user_sgpr_queue_ptr 0
		.amdhsa_user_sgpr_kernarg_segment_ptr 1
		.amdhsa_user_sgpr_dispatch_id 0
		.amdhsa_user_sgpr_flat_scratch_init 0
		.amdhsa_user_sgpr_private_segment_size 0
		.amdhsa_wavefront_size32 1
		.amdhsa_uses_dynamic_stack 0
		.amdhsa_system_sgpr_private_segment_wavefront_offset 0
		.amdhsa_system_sgpr_workgroup_id_x 1
		.amdhsa_system_sgpr_workgroup_id_y 0
		.amdhsa_system_sgpr_workgroup_id_z 0
		.amdhsa_system_sgpr_workgroup_info 0
		.amdhsa_system_vgpr_workitem_id 0
		.amdhsa_next_free_vgpr 145
		.amdhsa_next_free_sgpr 26
		.amdhsa_reserve_vcc 1
		.amdhsa_reserve_flat_scratch 0
		.amdhsa_float_round_mode_32 0
		.amdhsa_float_round_mode_16_64 0
		.amdhsa_float_denorm_mode_32 3
		.amdhsa_float_denorm_mode_16_64 3
		.amdhsa_dx10_clamp 1
		.amdhsa_ieee_mode 1
		.amdhsa_fp16_overflow 0
		.amdhsa_workgroup_processor_mode 1
		.amdhsa_memory_ordered 1
		.amdhsa_forward_progress 1
		.amdhsa_shared_vgpr_count 0
		.amdhsa_exception_fp_ieee_invalid_op 0
		.amdhsa_exception_fp_denorm_src 0
		.amdhsa_exception_fp_ieee_div_zero 0
		.amdhsa_exception_fp_ieee_overflow 0
		.amdhsa_exception_fp_ieee_underflow 0
		.amdhsa_exception_fp_ieee_inexact 0
		.amdhsa_exception_int_div_zero 0
	.end_amdhsa_kernel
	.section	.text._ZN7rocprim17ROCPRIM_400000_NS6detail17trampoline_kernelINS0_14default_configENS1_21merge_config_selectorINS0_5tupleIJddEEENS0_10empty_typeEEEZNS1_10merge_implIS3_NS0_12zip_iteratorINS5_IJN6thrust23THRUST_200600_302600_NS6detail15normal_iteratorINSC_10device_ptrIKdEEEESI_EEEEESK_NSA_INS5_IJNSE_INSF_IdEEEESM_EEEEEPS7_SP_SP_NSC_11hip_rocprim7__merge17predicate_wrapperIddNSC_7greaterIdEEEEEE10hipError_tPvRmT0_T1_T2_T3_T4_T5_mmT6_P12ihipStream_tbEUlT_E0_NS1_11comp_targetILNS1_3genE8ELNS1_11target_archE1030ELNS1_3gpuE2ELNS1_3repE0EEENS1_30default_config_static_selectorELNS0_4arch9wavefront6targetE0EEEvS10_,"axG",@progbits,_ZN7rocprim17ROCPRIM_400000_NS6detail17trampoline_kernelINS0_14default_configENS1_21merge_config_selectorINS0_5tupleIJddEEENS0_10empty_typeEEEZNS1_10merge_implIS3_NS0_12zip_iteratorINS5_IJN6thrust23THRUST_200600_302600_NS6detail15normal_iteratorINSC_10device_ptrIKdEEEESI_EEEEESK_NSA_INS5_IJNSE_INSF_IdEEEESM_EEEEEPS7_SP_SP_NSC_11hip_rocprim7__merge17predicate_wrapperIddNSC_7greaterIdEEEEEE10hipError_tPvRmT0_T1_T2_T3_T4_T5_mmT6_P12ihipStream_tbEUlT_E0_NS1_11comp_targetILNS1_3genE8ELNS1_11target_archE1030ELNS1_3gpuE2ELNS1_3repE0EEENS1_30default_config_static_selectorELNS0_4arch9wavefront6targetE0EEEvS10_,comdat
.Lfunc_end334:
	.size	_ZN7rocprim17ROCPRIM_400000_NS6detail17trampoline_kernelINS0_14default_configENS1_21merge_config_selectorINS0_5tupleIJddEEENS0_10empty_typeEEEZNS1_10merge_implIS3_NS0_12zip_iteratorINS5_IJN6thrust23THRUST_200600_302600_NS6detail15normal_iteratorINSC_10device_ptrIKdEEEESI_EEEEESK_NSA_INS5_IJNSE_INSF_IdEEEESM_EEEEEPS7_SP_SP_NSC_11hip_rocprim7__merge17predicate_wrapperIddNSC_7greaterIdEEEEEE10hipError_tPvRmT0_T1_T2_T3_T4_T5_mmT6_P12ihipStream_tbEUlT_E0_NS1_11comp_targetILNS1_3genE8ELNS1_11target_archE1030ELNS1_3gpuE2ELNS1_3repE0EEENS1_30default_config_static_selectorELNS0_4arch9wavefront6targetE0EEEvS10_, .Lfunc_end334-_ZN7rocprim17ROCPRIM_400000_NS6detail17trampoline_kernelINS0_14default_configENS1_21merge_config_selectorINS0_5tupleIJddEEENS0_10empty_typeEEEZNS1_10merge_implIS3_NS0_12zip_iteratorINS5_IJN6thrust23THRUST_200600_302600_NS6detail15normal_iteratorINSC_10device_ptrIKdEEEESI_EEEEESK_NSA_INS5_IJNSE_INSF_IdEEEESM_EEEEEPS7_SP_SP_NSC_11hip_rocprim7__merge17predicate_wrapperIddNSC_7greaterIdEEEEEE10hipError_tPvRmT0_T1_T2_T3_T4_T5_mmT6_P12ihipStream_tbEUlT_E0_NS1_11comp_targetILNS1_3genE8ELNS1_11target_archE1030ELNS1_3gpuE2ELNS1_3repE0EEENS1_30default_config_static_selectorELNS0_4arch9wavefront6targetE0EEEvS10_
                                        ; -- End function
	.set _ZN7rocprim17ROCPRIM_400000_NS6detail17trampoline_kernelINS0_14default_configENS1_21merge_config_selectorINS0_5tupleIJddEEENS0_10empty_typeEEEZNS1_10merge_implIS3_NS0_12zip_iteratorINS5_IJN6thrust23THRUST_200600_302600_NS6detail15normal_iteratorINSC_10device_ptrIKdEEEESI_EEEEESK_NSA_INS5_IJNSE_INSF_IdEEEESM_EEEEEPS7_SP_SP_NSC_11hip_rocprim7__merge17predicate_wrapperIddNSC_7greaterIdEEEEEE10hipError_tPvRmT0_T1_T2_T3_T4_T5_mmT6_P12ihipStream_tbEUlT_E0_NS1_11comp_targetILNS1_3genE8ELNS1_11target_archE1030ELNS1_3gpuE2ELNS1_3repE0EEENS1_30default_config_static_selectorELNS0_4arch9wavefront6targetE0EEEvS10_.num_vgpr, 63
	.set _ZN7rocprim17ROCPRIM_400000_NS6detail17trampoline_kernelINS0_14default_configENS1_21merge_config_selectorINS0_5tupleIJddEEENS0_10empty_typeEEEZNS1_10merge_implIS3_NS0_12zip_iteratorINS5_IJN6thrust23THRUST_200600_302600_NS6detail15normal_iteratorINSC_10device_ptrIKdEEEESI_EEEEESK_NSA_INS5_IJNSE_INSF_IdEEEESM_EEEEEPS7_SP_SP_NSC_11hip_rocprim7__merge17predicate_wrapperIddNSC_7greaterIdEEEEEE10hipError_tPvRmT0_T1_T2_T3_T4_T5_mmT6_P12ihipStream_tbEUlT_E0_NS1_11comp_targetILNS1_3genE8ELNS1_11target_archE1030ELNS1_3gpuE2ELNS1_3repE0EEENS1_30default_config_static_selectorELNS0_4arch9wavefront6targetE0EEEvS10_.num_agpr, 0
	.set _ZN7rocprim17ROCPRIM_400000_NS6detail17trampoline_kernelINS0_14default_configENS1_21merge_config_selectorINS0_5tupleIJddEEENS0_10empty_typeEEEZNS1_10merge_implIS3_NS0_12zip_iteratorINS5_IJN6thrust23THRUST_200600_302600_NS6detail15normal_iteratorINSC_10device_ptrIKdEEEESI_EEEEESK_NSA_INS5_IJNSE_INSF_IdEEEESM_EEEEEPS7_SP_SP_NSC_11hip_rocprim7__merge17predicate_wrapperIddNSC_7greaterIdEEEEEE10hipError_tPvRmT0_T1_T2_T3_T4_T5_mmT6_P12ihipStream_tbEUlT_E0_NS1_11comp_targetILNS1_3genE8ELNS1_11target_archE1030ELNS1_3gpuE2ELNS1_3repE0EEENS1_30default_config_static_selectorELNS0_4arch9wavefront6targetE0EEEvS10_.numbered_sgpr, 26
	.set _ZN7rocprim17ROCPRIM_400000_NS6detail17trampoline_kernelINS0_14default_configENS1_21merge_config_selectorINS0_5tupleIJddEEENS0_10empty_typeEEEZNS1_10merge_implIS3_NS0_12zip_iteratorINS5_IJN6thrust23THRUST_200600_302600_NS6detail15normal_iteratorINSC_10device_ptrIKdEEEESI_EEEEESK_NSA_INS5_IJNSE_INSF_IdEEEESM_EEEEEPS7_SP_SP_NSC_11hip_rocprim7__merge17predicate_wrapperIddNSC_7greaterIdEEEEEE10hipError_tPvRmT0_T1_T2_T3_T4_T5_mmT6_P12ihipStream_tbEUlT_E0_NS1_11comp_targetILNS1_3genE8ELNS1_11target_archE1030ELNS1_3gpuE2ELNS1_3repE0EEENS1_30default_config_static_selectorELNS0_4arch9wavefront6targetE0EEEvS10_.num_named_barrier, 0
	.set _ZN7rocprim17ROCPRIM_400000_NS6detail17trampoline_kernelINS0_14default_configENS1_21merge_config_selectorINS0_5tupleIJddEEENS0_10empty_typeEEEZNS1_10merge_implIS3_NS0_12zip_iteratorINS5_IJN6thrust23THRUST_200600_302600_NS6detail15normal_iteratorINSC_10device_ptrIKdEEEESI_EEEEESK_NSA_INS5_IJNSE_INSF_IdEEEESM_EEEEEPS7_SP_SP_NSC_11hip_rocprim7__merge17predicate_wrapperIddNSC_7greaterIdEEEEEE10hipError_tPvRmT0_T1_T2_T3_T4_T5_mmT6_P12ihipStream_tbEUlT_E0_NS1_11comp_targetILNS1_3genE8ELNS1_11target_archE1030ELNS1_3gpuE2ELNS1_3repE0EEENS1_30default_config_static_selectorELNS0_4arch9wavefront6targetE0EEEvS10_.private_seg_size, 0
	.set _ZN7rocprim17ROCPRIM_400000_NS6detail17trampoline_kernelINS0_14default_configENS1_21merge_config_selectorINS0_5tupleIJddEEENS0_10empty_typeEEEZNS1_10merge_implIS3_NS0_12zip_iteratorINS5_IJN6thrust23THRUST_200600_302600_NS6detail15normal_iteratorINSC_10device_ptrIKdEEEESI_EEEEESK_NSA_INS5_IJNSE_INSF_IdEEEESM_EEEEEPS7_SP_SP_NSC_11hip_rocprim7__merge17predicate_wrapperIddNSC_7greaterIdEEEEEE10hipError_tPvRmT0_T1_T2_T3_T4_T5_mmT6_P12ihipStream_tbEUlT_E0_NS1_11comp_targetILNS1_3genE8ELNS1_11target_archE1030ELNS1_3gpuE2ELNS1_3repE0EEENS1_30default_config_static_selectorELNS0_4arch9wavefront6targetE0EEEvS10_.uses_vcc, 1
	.set _ZN7rocprim17ROCPRIM_400000_NS6detail17trampoline_kernelINS0_14default_configENS1_21merge_config_selectorINS0_5tupleIJddEEENS0_10empty_typeEEEZNS1_10merge_implIS3_NS0_12zip_iteratorINS5_IJN6thrust23THRUST_200600_302600_NS6detail15normal_iteratorINSC_10device_ptrIKdEEEESI_EEEEESK_NSA_INS5_IJNSE_INSF_IdEEEESM_EEEEEPS7_SP_SP_NSC_11hip_rocprim7__merge17predicate_wrapperIddNSC_7greaterIdEEEEEE10hipError_tPvRmT0_T1_T2_T3_T4_T5_mmT6_P12ihipStream_tbEUlT_E0_NS1_11comp_targetILNS1_3genE8ELNS1_11target_archE1030ELNS1_3gpuE2ELNS1_3repE0EEENS1_30default_config_static_selectorELNS0_4arch9wavefront6targetE0EEEvS10_.uses_flat_scratch, 0
	.set _ZN7rocprim17ROCPRIM_400000_NS6detail17trampoline_kernelINS0_14default_configENS1_21merge_config_selectorINS0_5tupleIJddEEENS0_10empty_typeEEEZNS1_10merge_implIS3_NS0_12zip_iteratorINS5_IJN6thrust23THRUST_200600_302600_NS6detail15normal_iteratorINSC_10device_ptrIKdEEEESI_EEEEESK_NSA_INS5_IJNSE_INSF_IdEEEESM_EEEEEPS7_SP_SP_NSC_11hip_rocprim7__merge17predicate_wrapperIddNSC_7greaterIdEEEEEE10hipError_tPvRmT0_T1_T2_T3_T4_T5_mmT6_P12ihipStream_tbEUlT_E0_NS1_11comp_targetILNS1_3genE8ELNS1_11target_archE1030ELNS1_3gpuE2ELNS1_3repE0EEENS1_30default_config_static_selectorELNS0_4arch9wavefront6targetE0EEEvS10_.has_dyn_sized_stack, 0
	.set _ZN7rocprim17ROCPRIM_400000_NS6detail17trampoline_kernelINS0_14default_configENS1_21merge_config_selectorINS0_5tupleIJddEEENS0_10empty_typeEEEZNS1_10merge_implIS3_NS0_12zip_iteratorINS5_IJN6thrust23THRUST_200600_302600_NS6detail15normal_iteratorINSC_10device_ptrIKdEEEESI_EEEEESK_NSA_INS5_IJNSE_INSF_IdEEEESM_EEEEEPS7_SP_SP_NSC_11hip_rocprim7__merge17predicate_wrapperIddNSC_7greaterIdEEEEEE10hipError_tPvRmT0_T1_T2_T3_T4_T5_mmT6_P12ihipStream_tbEUlT_E0_NS1_11comp_targetILNS1_3genE8ELNS1_11target_archE1030ELNS1_3gpuE2ELNS1_3repE0EEENS1_30default_config_static_selectorELNS0_4arch9wavefront6targetE0EEEvS10_.has_recursion, 0
	.set _ZN7rocprim17ROCPRIM_400000_NS6detail17trampoline_kernelINS0_14default_configENS1_21merge_config_selectorINS0_5tupleIJddEEENS0_10empty_typeEEEZNS1_10merge_implIS3_NS0_12zip_iteratorINS5_IJN6thrust23THRUST_200600_302600_NS6detail15normal_iteratorINSC_10device_ptrIKdEEEESI_EEEEESK_NSA_INS5_IJNSE_INSF_IdEEEESM_EEEEEPS7_SP_SP_NSC_11hip_rocprim7__merge17predicate_wrapperIddNSC_7greaterIdEEEEEE10hipError_tPvRmT0_T1_T2_T3_T4_T5_mmT6_P12ihipStream_tbEUlT_E0_NS1_11comp_targetILNS1_3genE8ELNS1_11target_archE1030ELNS1_3gpuE2ELNS1_3repE0EEENS1_30default_config_static_selectorELNS0_4arch9wavefront6targetE0EEEvS10_.has_indirect_call, 0
	.section	.AMDGPU.csdata,"",@progbits
; Kernel info:
; codeLenInByte = 4680
; TotalNumSgprs: 28
; NumVgprs: 63
; ScratchSize: 0
; MemoryBound: 0
; FloatMode: 240
; IeeeMode: 1
; LDSByteSize: 33792 bytes/workgroup (compile time only)
; SGPRBlocks: 0
; VGPRBlocks: 18
; NumSGPRsForWavesPerEU: 28
; NumVGPRsForWavesPerEU: 145
; Occupancy: 6
; WaveLimiterHint : 1
; COMPUTE_PGM_RSRC2:SCRATCH_EN: 0
; COMPUTE_PGM_RSRC2:USER_SGPR: 6
; COMPUTE_PGM_RSRC2:TRAP_HANDLER: 0
; COMPUTE_PGM_RSRC2:TGID_X_EN: 1
; COMPUTE_PGM_RSRC2:TGID_Y_EN: 0
; COMPUTE_PGM_RSRC2:TGID_Z_EN: 0
; COMPUTE_PGM_RSRC2:TIDIG_COMP_CNT: 0
	.section	.text._ZN7rocprim17ROCPRIM_400000_NS6detail17trampoline_kernelINS0_14default_configENS1_21merge_config_selectorINS0_5tupleIJffEEENS0_10empty_typeEEEZNS1_10merge_implIS3_NS0_12zip_iteratorINS5_IJN6thrust23THRUST_200600_302600_NS6detail15normal_iteratorINSC_10device_ptrIKfEEEESI_EEEEESK_NSA_INS5_IJNSE_INSF_IfEEEESM_EEEEEPS7_SP_SP_NSC_11hip_rocprim7__merge17predicate_wrapperIffNSC_7greaterIfEEEEEE10hipError_tPvRmT0_T1_T2_T3_T4_T5_mmT6_P12ihipStream_tbEUlT_E_NS1_11comp_targetILNS1_3genE0ELNS1_11target_archE4294967295ELNS1_3gpuE0ELNS1_3repE0EEENS1_30default_config_static_selectorELNS0_4arch9wavefront6targetE0EEEvS10_,"axG",@progbits,_ZN7rocprim17ROCPRIM_400000_NS6detail17trampoline_kernelINS0_14default_configENS1_21merge_config_selectorINS0_5tupleIJffEEENS0_10empty_typeEEEZNS1_10merge_implIS3_NS0_12zip_iteratorINS5_IJN6thrust23THRUST_200600_302600_NS6detail15normal_iteratorINSC_10device_ptrIKfEEEESI_EEEEESK_NSA_INS5_IJNSE_INSF_IfEEEESM_EEEEEPS7_SP_SP_NSC_11hip_rocprim7__merge17predicate_wrapperIffNSC_7greaterIfEEEEEE10hipError_tPvRmT0_T1_T2_T3_T4_T5_mmT6_P12ihipStream_tbEUlT_E_NS1_11comp_targetILNS1_3genE0ELNS1_11target_archE4294967295ELNS1_3gpuE0ELNS1_3repE0EEENS1_30default_config_static_selectorELNS0_4arch9wavefront6targetE0EEEvS10_,comdat
	.protected	_ZN7rocprim17ROCPRIM_400000_NS6detail17trampoline_kernelINS0_14default_configENS1_21merge_config_selectorINS0_5tupleIJffEEENS0_10empty_typeEEEZNS1_10merge_implIS3_NS0_12zip_iteratorINS5_IJN6thrust23THRUST_200600_302600_NS6detail15normal_iteratorINSC_10device_ptrIKfEEEESI_EEEEESK_NSA_INS5_IJNSE_INSF_IfEEEESM_EEEEEPS7_SP_SP_NSC_11hip_rocprim7__merge17predicate_wrapperIffNSC_7greaterIfEEEEEE10hipError_tPvRmT0_T1_T2_T3_T4_T5_mmT6_P12ihipStream_tbEUlT_E_NS1_11comp_targetILNS1_3genE0ELNS1_11target_archE4294967295ELNS1_3gpuE0ELNS1_3repE0EEENS1_30default_config_static_selectorELNS0_4arch9wavefront6targetE0EEEvS10_ ; -- Begin function _ZN7rocprim17ROCPRIM_400000_NS6detail17trampoline_kernelINS0_14default_configENS1_21merge_config_selectorINS0_5tupleIJffEEENS0_10empty_typeEEEZNS1_10merge_implIS3_NS0_12zip_iteratorINS5_IJN6thrust23THRUST_200600_302600_NS6detail15normal_iteratorINSC_10device_ptrIKfEEEESI_EEEEESK_NSA_INS5_IJNSE_INSF_IfEEEESM_EEEEEPS7_SP_SP_NSC_11hip_rocprim7__merge17predicate_wrapperIffNSC_7greaterIfEEEEEE10hipError_tPvRmT0_T1_T2_T3_T4_T5_mmT6_P12ihipStream_tbEUlT_E_NS1_11comp_targetILNS1_3genE0ELNS1_11target_archE4294967295ELNS1_3gpuE0ELNS1_3repE0EEENS1_30default_config_static_selectorELNS0_4arch9wavefront6targetE0EEEvS10_
	.globl	_ZN7rocprim17ROCPRIM_400000_NS6detail17trampoline_kernelINS0_14default_configENS1_21merge_config_selectorINS0_5tupleIJffEEENS0_10empty_typeEEEZNS1_10merge_implIS3_NS0_12zip_iteratorINS5_IJN6thrust23THRUST_200600_302600_NS6detail15normal_iteratorINSC_10device_ptrIKfEEEESI_EEEEESK_NSA_INS5_IJNSE_INSF_IfEEEESM_EEEEEPS7_SP_SP_NSC_11hip_rocprim7__merge17predicate_wrapperIffNSC_7greaterIfEEEEEE10hipError_tPvRmT0_T1_T2_T3_T4_T5_mmT6_P12ihipStream_tbEUlT_E_NS1_11comp_targetILNS1_3genE0ELNS1_11target_archE4294967295ELNS1_3gpuE0ELNS1_3repE0EEENS1_30default_config_static_selectorELNS0_4arch9wavefront6targetE0EEEvS10_
	.p2align	8
	.type	_ZN7rocprim17ROCPRIM_400000_NS6detail17trampoline_kernelINS0_14default_configENS1_21merge_config_selectorINS0_5tupleIJffEEENS0_10empty_typeEEEZNS1_10merge_implIS3_NS0_12zip_iteratorINS5_IJN6thrust23THRUST_200600_302600_NS6detail15normal_iteratorINSC_10device_ptrIKfEEEESI_EEEEESK_NSA_INS5_IJNSE_INSF_IfEEEESM_EEEEEPS7_SP_SP_NSC_11hip_rocprim7__merge17predicate_wrapperIffNSC_7greaterIfEEEEEE10hipError_tPvRmT0_T1_T2_T3_T4_T5_mmT6_P12ihipStream_tbEUlT_E_NS1_11comp_targetILNS1_3genE0ELNS1_11target_archE4294967295ELNS1_3gpuE0ELNS1_3repE0EEENS1_30default_config_static_selectorELNS0_4arch9wavefront6targetE0EEEvS10_,@function
_ZN7rocprim17ROCPRIM_400000_NS6detail17trampoline_kernelINS0_14default_configENS1_21merge_config_selectorINS0_5tupleIJffEEENS0_10empty_typeEEEZNS1_10merge_implIS3_NS0_12zip_iteratorINS5_IJN6thrust23THRUST_200600_302600_NS6detail15normal_iteratorINSC_10device_ptrIKfEEEESI_EEEEESK_NSA_INS5_IJNSE_INSF_IfEEEESM_EEEEEPS7_SP_SP_NSC_11hip_rocprim7__merge17predicate_wrapperIffNSC_7greaterIfEEEEEE10hipError_tPvRmT0_T1_T2_T3_T4_T5_mmT6_P12ihipStream_tbEUlT_E_NS1_11comp_targetILNS1_3genE0ELNS1_11target_archE4294967295ELNS1_3gpuE0ELNS1_3repE0EEENS1_30default_config_static_selectorELNS0_4arch9wavefront6targetE0EEEvS10_: ; @_ZN7rocprim17ROCPRIM_400000_NS6detail17trampoline_kernelINS0_14default_configENS1_21merge_config_selectorINS0_5tupleIJffEEENS0_10empty_typeEEEZNS1_10merge_implIS3_NS0_12zip_iteratorINS5_IJN6thrust23THRUST_200600_302600_NS6detail15normal_iteratorINSC_10device_ptrIKfEEEESI_EEEEESK_NSA_INS5_IJNSE_INSF_IfEEEESM_EEEEEPS7_SP_SP_NSC_11hip_rocprim7__merge17predicate_wrapperIffNSC_7greaterIfEEEEEE10hipError_tPvRmT0_T1_T2_T3_T4_T5_mmT6_P12ihipStream_tbEUlT_E_NS1_11comp_targetILNS1_3genE0ELNS1_11target_archE4294967295ELNS1_3gpuE0ELNS1_3repE0EEENS1_30default_config_static_selectorELNS0_4arch9wavefront6targetE0EEEvS10_
; %bb.0:
	.section	.rodata,"a",@progbits
	.p2align	6, 0x0
	.amdhsa_kernel _ZN7rocprim17ROCPRIM_400000_NS6detail17trampoline_kernelINS0_14default_configENS1_21merge_config_selectorINS0_5tupleIJffEEENS0_10empty_typeEEEZNS1_10merge_implIS3_NS0_12zip_iteratorINS5_IJN6thrust23THRUST_200600_302600_NS6detail15normal_iteratorINSC_10device_ptrIKfEEEESI_EEEEESK_NSA_INS5_IJNSE_INSF_IfEEEESM_EEEEEPS7_SP_SP_NSC_11hip_rocprim7__merge17predicate_wrapperIffNSC_7greaterIfEEEEEE10hipError_tPvRmT0_T1_T2_T3_T4_T5_mmT6_P12ihipStream_tbEUlT_E_NS1_11comp_targetILNS1_3genE0ELNS1_11target_archE4294967295ELNS1_3gpuE0ELNS1_3repE0EEENS1_30default_config_static_selectorELNS0_4arch9wavefront6targetE0EEEvS10_
		.amdhsa_group_segment_fixed_size 0
		.amdhsa_private_segment_fixed_size 0
		.amdhsa_kernarg_size 64
		.amdhsa_user_sgpr_count 6
		.amdhsa_user_sgpr_private_segment_buffer 1
		.amdhsa_user_sgpr_dispatch_ptr 0
		.amdhsa_user_sgpr_queue_ptr 0
		.amdhsa_user_sgpr_kernarg_segment_ptr 1
		.amdhsa_user_sgpr_dispatch_id 0
		.amdhsa_user_sgpr_flat_scratch_init 0
		.amdhsa_user_sgpr_private_segment_size 0
		.amdhsa_wavefront_size32 1
		.amdhsa_uses_dynamic_stack 0
		.amdhsa_system_sgpr_private_segment_wavefront_offset 0
		.amdhsa_system_sgpr_workgroup_id_x 1
		.amdhsa_system_sgpr_workgroup_id_y 0
		.amdhsa_system_sgpr_workgroup_id_z 0
		.amdhsa_system_sgpr_workgroup_info 0
		.amdhsa_system_vgpr_workitem_id 0
		.amdhsa_next_free_vgpr 1
		.amdhsa_next_free_sgpr 1
		.amdhsa_reserve_vcc 0
		.amdhsa_reserve_flat_scratch 0
		.amdhsa_float_round_mode_32 0
		.amdhsa_float_round_mode_16_64 0
		.amdhsa_float_denorm_mode_32 3
		.amdhsa_float_denorm_mode_16_64 3
		.amdhsa_dx10_clamp 1
		.amdhsa_ieee_mode 1
		.amdhsa_fp16_overflow 0
		.amdhsa_workgroup_processor_mode 1
		.amdhsa_memory_ordered 1
		.amdhsa_forward_progress 1
		.amdhsa_shared_vgpr_count 0
		.amdhsa_exception_fp_ieee_invalid_op 0
		.amdhsa_exception_fp_denorm_src 0
		.amdhsa_exception_fp_ieee_div_zero 0
		.amdhsa_exception_fp_ieee_overflow 0
		.amdhsa_exception_fp_ieee_underflow 0
		.amdhsa_exception_fp_ieee_inexact 0
		.amdhsa_exception_int_div_zero 0
	.end_amdhsa_kernel
	.section	.text._ZN7rocprim17ROCPRIM_400000_NS6detail17trampoline_kernelINS0_14default_configENS1_21merge_config_selectorINS0_5tupleIJffEEENS0_10empty_typeEEEZNS1_10merge_implIS3_NS0_12zip_iteratorINS5_IJN6thrust23THRUST_200600_302600_NS6detail15normal_iteratorINSC_10device_ptrIKfEEEESI_EEEEESK_NSA_INS5_IJNSE_INSF_IfEEEESM_EEEEEPS7_SP_SP_NSC_11hip_rocprim7__merge17predicate_wrapperIffNSC_7greaterIfEEEEEE10hipError_tPvRmT0_T1_T2_T3_T4_T5_mmT6_P12ihipStream_tbEUlT_E_NS1_11comp_targetILNS1_3genE0ELNS1_11target_archE4294967295ELNS1_3gpuE0ELNS1_3repE0EEENS1_30default_config_static_selectorELNS0_4arch9wavefront6targetE0EEEvS10_,"axG",@progbits,_ZN7rocprim17ROCPRIM_400000_NS6detail17trampoline_kernelINS0_14default_configENS1_21merge_config_selectorINS0_5tupleIJffEEENS0_10empty_typeEEEZNS1_10merge_implIS3_NS0_12zip_iteratorINS5_IJN6thrust23THRUST_200600_302600_NS6detail15normal_iteratorINSC_10device_ptrIKfEEEESI_EEEEESK_NSA_INS5_IJNSE_INSF_IfEEEESM_EEEEEPS7_SP_SP_NSC_11hip_rocprim7__merge17predicate_wrapperIffNSC_7greaterIfEEEEEE10hipError_tPvRmT0_T1_T2_T3_T4_T5_mmT6_P12ihipStream_tbEUlT_E_NS1_11comp_targetILNS1_3genE0ELNS1_11target_archE4294967295ELNS1_3gpuE0ELNS1_3repE0EEENS1_30default_config_static_selectorELNS0_4arch9wavefront6targetE0EEEvS10_,comdat
.Lfunc_end335:
	.size	_ZN7rocprim17ROCPRIM_400000_NS6detail17trampoline_kernelINS0_14default_configENS1_21merge_config_selectorINS0_5tupleIJffEEENS0_10empty_typeEEEZNS1_10merge_implIS3_NS0_12zip_iteratorINS5_IJN6thrust23THRUST_200600_302600_NS6detail15normal_iteratorINSC_10device_ptrIKfEEEESI_EEEEESK_NSA_INS5_IJNSE_INSF_IfEEEESM_EEEEEPS7_SP_SP_NSC_11hip_rocprim7__merge17predicate_wrapperIffNSC_7greaterIfEEEEEE10hipError_tPvRmT0_T1_T2_T3_T4_T5_mmT6_P12ihipStream_tbEUlT_E_NS1_11comp_targetILNS1_3genE0ELNS1_11target_archE4294967295ELNS1_3gpuE0ELNS1_3repE0EEENS1_30default_config_static_selectorELNS0_4arch9wavefront6targetE0EEEvS10_, .Lfunc_end335-_ZN7rocprim17ROCPRIM_400000_NS6detail17trampoline_kernelINS0_14default_configENS1_21merge_config_selectorINS0_5tupleIJffEEENS0_10empty_typeEEEZNS1_10merge_implIS3_NS0_12zip_iteratorINS5_IJN6thrust23THRUST_200600_302600_NS6detail15normal_iteratorINSC_10device_ptrIKfEEEESI_EEEEESK_NSA_INS5_IJNSE_INSF_IfEEEESM_EEEEEPS7_SP_SP_NSC_11hip_rocprim7__merge17predicate_wrapperIffNSC_7greaterIfEEEEEE10hipError_tPvRmT0_T1_T2_T3_T4_T5_mmT6_P12ihipStream_tbEUlT_E_NS1_11comp_targetILNS1_3genE0ELNS1_11target_archE4294967295ELNS1_3gpuE0ELNS1_3repE0EEENS1_30default_config_static_selectorELNS0_4arch9wavefront6targetE0EEEvS10_
                                        ; -- End function
	.set _ZN7rocprim17ROCPRIM_400000_NS6detail17trampoline_kernelINS0_14default_configENS1_21merge_config_selectorINS0_5tupleIJffEEENS0_10empty_typeEEEZNS1_10merge_implIS3_NS0_12zip_iteratorINS5_IJN6thrust23THRUST_200600_302600_NS6detail15normal_iteratorINSC_10device_ptrIKfEEEESI_EEEEESK_NSA_INS5_IJNSE_INSF_IfEEEESM_EEEEEPS7_SP_SP_NSC_11hip_rocprim7__merge17predicate_wrapperIffNSC_7greaterIfEEEEEE10hipError_tPvRmT0_T1_T2_T3_T4_T5_mmT6_P12ihipStream_tbEUlT_E_NS1_11comp_targetILNS1_3genE0ELNS1_11target_archE4294967295ELNS1_3gpuE0ELNS1_3repE0EEENS1_30default_config_static_selectorELNS0_4arch9wavefront6targetE0EEEvS10_.num_vgpr, 0
	.set _ZN7rocprim17ROCPRIM_400000_NS6detail17trampoline_kernelINS0_14default_configENS1_21merge_config_selectorINS0_5tupleIJffEEENS0_10empty_typeEEEZNS1_10merge_implIS3_NS0_12zip_iteratorINS5_IJN6thrust23THRUST_200600_302600_NS6detail15normal_iteratorINSC_10device_ptrIKfEEEESI_EEEEESK_NSA_INS5_IJNSE_INSF_IfEEEESM_EEEEEPS7_SP_SP_NSC_11hip_rocprim7__merge17predicate_wrapperIffNSC_7greaterIfEEEEEE10hipError_tPvRmT0_T1_T2_T3_T4_T5_mmT6_P12ihipStream_tbEUlT_E_NS1_11comp_targetILNS1_3genE0ELNS1_11target_archE4294967295ELNS1_3gpuE0ELNS1_3repE0EEENS1_30default_config_static_selectorELNS0_4arch9wavefront6targetE0EEEvS10_.num_agpr, 0
	.set _ZN7rocprim17ROCPRIM_400000_NS6detail17trampoline_kernelINS0_14default_configENS1_21merge_config_selectorINS0_5tupleIJffEEENS0_10empty_typeEEEZNS1_10merge_implIS3_NS0_12zip_iteratorINS5_IJN6thrust23THRUST_200600_302600_NS6detail15normal_iteratorINSC_10device_ptrIKfEEEESI_EEEEESK_NSA_INS5_IJNSE_INSF_IfEEEESM_EEEEEPS7_SP_SP_NSC_11hip_rocprim7__merge17predicate_wrapperIffNSC_7greaterIfEEEEEE10hipError_tPvRmT0_T1_T2_T3_T4_T5_mmT6_P12ihipStream_tbEUlT_E_NS1_11comp_targetILNS1_3genE0ELNS1_11target_archE4294967295ELNS1_3gpuE0ELNS1_3repE0EEENS1_30default_config_static_selectorELNS0_4arch9wavefront6targetE0EEEvS10_.numbered_sgpr, 0
	.set _ZN7rocprim17ROCPRIM_400000_NS6detail17trampoline_kernelINS0_14default_configENS1_21merge_config_selectorINS0_5tupleIJffEEENS0_10empty_typeEEEZNS1_10merge_implIS3_NS0_12zip_iteratorINS5_IJN6thrust23THRUST_200600_302600_NS6detail15normal_iteratorINSC_10device_ptrIKfEEEESI_EEEEESK_NSA_INS5_IJNSE_INSF_IfEEEESM_EEEEEPS7_SP_SP_NSC_11hip_rocprim7__merge17predicate_wrapperIffNSC_7greaterIfEEEEEE10hipError_tPvRmT0_T1_T2_T3_T4_T5_mmT6_P12ihipStream_tbEUlT_E_NS1_11comp_targetILNS1_3genE0ELNS1_11target_archE4294967295ELNS1_3gpuE0ELNS1_3repE0EEENS1_30default_config_static_selectorELNS0_4arch9wavefront6targetE0EEEvS10_.num_named_barrier, 0
	.set _ZN7rocprim17ROCPRIM_400000_NS6detail17trampoline_kernelINS0_14default_configENS1_21merge_config_selectorINS0_5tupleIJffEEENS0_10empty_typeEEEZNS1_10merge_implIS3_NS0_12zip_iteratorINS5_IJN6thrust23THRUST_200600_302600_NS6detail15normal_iteratorINSC_10device_ptrIKfEEEESI_EEEEESK_NSA_INS5_IJNSE_INSF_IfEEEESM_EEEEEPS7_SP_SP_NSC_11hip_rocprim7__merge17predicate_wrapperIffNSC_7greaterIfEEEEEE10hipError_tPvRmT0_T1_T2_T3_T4_T5_mmT6_P12ihipStream_tbEUlT_E_NS1_11comp_targetILNS1_3genE0ELNS1_11target_archE4294967295ELNS1_3gpuE0ELNS1_3repE0EEENS1_30default_config_static_selectorELNS0_4arch9wavefront6targetE0EEEvS10_.private_seg_size, 0
	.set _ZN7rocprim17ROCPRIM_400000_NS6detail17trampoline_kernelINS0_14default_configENS1_21merge_config_selectorINS0_5tupleIJffEEENS0_10empty_typeEEEZNS1_10merge_implIS3_NS0_12zip_iteratorINS5_IJN6thrust23THRUST_200600_302600_NS6detail15normal_iteratorINSC_10device_ptrIKfEEEESI_EEEEESK_NSA_INS5_IJNSE_INSF_IfEEEESM_EEEEEPS7_SP_SP_NSC_11hip_rocprim7__merge17predicate_wrapperIffNSC_7greaterIfEEEEEE10hipError_tPvRmT0_T1_T2_T3_T4_T5_mmT6_P12ihipStream_tbEUlT_E_NS1_11comp_targetILNS1_3genE0ELNS1_11target_archE4294967295ELNS1_3gpuE0ELNS1_3repE0EEENS1_30default_config_static_selectorELNS0_4arch9wavefront6targetE0EEEvS10_.uses_vcc, 0
	.set _ZN7rocprim17ROCPRIM_400000_NS6detail17trampoline_kernelINS0_14default_configENS1_21merge_config_selectorINS0_5tupleIJffEEENS0_10empty_typeEEEZNS1_10merge_implIS3_NS0_12zip_iteratorINS5_IJN6thrust23THRUST_200600_302600_NS6detail15normal_iteratorINSC_10device_ptrIKfEEEESI_EEEEESK_NSA_INS5_IJNSE_INSF_IfEEEESM_EEEEEPS7_SP_SP_NSC_11hip_rocprim7__merge17predicate_wrapperIffNSC_7greaterIfEEEEEE10hipError_tPvRmT0_T1_T2_T3_T4_T5_mmT6_P12ihipStream_tbEUlT_E_NS1_11comp_targetILNS1_3genE0ELNS1_11target_archE4294967295ELNS1_3gpuE0ELNS1_3repE0EEENS1_30default_config_static_selectorELNS0_4arch9wavefront6targetE0EEEvS10_.uses_flat_scratch, 0
	.set _ZN7rocprim17ROCPRIM_400000_NS6detail17trampoline_kernelINS0_14default_configENS1_21merge_config_selectorINS0_5tupleIJffEEENS0_10empty_typeEEEZNS1_10merge_implIS3_NS0_12zip_iteratorINS5_IJN6thrust23THRUST_200600_302600_NS6detail15normal_iteratorINSC_10device_ptrIKfEEEESI_EEEEESK_NSA_INS5_IJNSE_INSF_IfEEEESM_EEEEEPS7_SP_SP_NSC_11hip_rocprim7__merge17predicate_wrapperIffNSC_7greaterIfEEEEEE10hipError_tPvRmT0_T1_T2_T3_T4_T5_mmT6_P12ihipStream_tbEUlT_E_NS1_11comp_targetILNS1_3genE0ELNS1_11target_archE4294967295ELNS1_3gpuE0ELNS1_3repE0EEENS1_30default_config_static_selectorELNS0_4arch9wavefront6targetE0EEEvS10_.has_dyn_sized_stack, 0
	.set _ZN7rocprim17ROCPRIM_400000_NS6detail17trampoline_kernelINS0_14default_configENS1_21merge_config_selectorINS0_5tupleIJffEEENS0_10empty_typeEEEZNS1_10merge_implIS3_NS0_12zip_iteratorINS5_IJN6thrust23THRUST_200600_302600_NS6detail15normal_iteratorINSC_10device_ptrIKfEEEESI_EEEEESK_NSA_INS5_IJNSE_INSF_IfEEEESM_EEEEEPS7_SP_SP_NSC_11hip_rocprim7__merge17predicate_wrapperIffNSC_7greaterIfEEEEEE10hipError_tPvRmT0_T1_T2_T3_T4_T5_mmT6_P12ihipStream_tbEUlT_E_NS1_11comp_targetILNS1_3genE0ELNS1_11target_archE4294967295ELNS1_3gpuE0ELNS1_3repE0EEENS1_30default_config_static_selectorELNS0_4arch9wavefront6targetE0EEEvS10_.has_recursion, 0
	.set _ZN7rocprim17ROCPRIM_400000_NS6detail17trampoline_kernelINS0_14default_configENS1_21merge_config_selectorINS0_5tupleIJffEEENS0_10empty_typeEEEZNS1_10merge_implIS3_NS0_12zip_iteratorINS5_IJN6thrust23THRUST_200600_302600_NS6detail15normal_iteratorINSC_10device_ptrIKfEEEESI_EEEEESK_NSA_INS5_IJNSE_INSF_IfEEEESM_EEEEEPS7_SP_SP_NSC_11hip_rocprim7__merge17predicate_wrapperIffNSC_7greaterIfEEEEEE10hipError_tPvRmT0_T1_T2_T3_T4_T5_mmT6_P12ihipStream_tbEUlT_E_NS1_11comp_targetILNS1_3genE0ELNS1_11target_archE4294967295ELNS1_3gpuE0ELNS1_3repE0EEENS1_30default_config_static_selectorELNS0_4arch9wavefront6targetE0EEEvS10_.has_indirect_call, 0
	.section	.AMDGPU.csdata,"",@progbits
; Kernel info:
; codeLenInByte = 0
; TotalNumSgprs: 0
; NumVgprs: 0
; ScratchSize: 0
; MemoryBound: 0
; FloatMode: 240
; IeeeMode: 1
; LDSByteSize: 0 bytes/workgroup (compile time only)
; SGPRBlocks: 0
; VGPRBlocks: 0
; NumSGPRsForWavesPerEU: 1
; NumVGPRsForWavesPerEU: 1
; Occupancy: 16
; WaveLimiterHint : 0
; COMPUTE_PGM_RSRC2:SCRATCH_EN: 0
; COMPUTE_PGM_RSRC2:USER_SGPR: 6
; COMPUTE_PGM_RSRC2:TRAP_HANDLER: 0
; COMPUTE_PGM_RSRC2:TGID_X_EN: 1
; COMPUTE_PGM_RSRC2:TGID_Y_EN: 0
; COMPUTE_PGM_RSRC2:TGID_Z_EN: 0
; COMPUTE_PGM_RSRC2:TIDIG_COMP_CNT: 0
	.section	.text._ZN7rocprim17ROCPRIM_400000_NS6detail17trampoline_kernelINS0_14default_configENS1_21merge_config_selectorINS0_5tupleIJffEEENS0_10empty_typeEEEZNS1_10merge_implIS3_NS0_12zip_iteratorINS5_IJN6thrust23THRUST_200600_302600_NS6detail15normal_iteratorINSC_10device_ptrIKfEEEESI_EEEEESK_NSA_INS5_IJNSE_INSF_IfEEEESM_EEEEEPS7_SP_SP_NSC_11hip_rocprim7__merge17predicate_wrapperIffNSC_7greaterIfEEEEEE10hipError_tPvRmT0_T1_T2_T3_T4_T5_mmT6_P12ihipStream_tbEUlT_E_NS1_11comp_targetILNS1_3genE5ELNS1_11target_archE942ELNS1_3gpuE9ELNS1_3repE0EEENS1_30default_config_static_selectorELNS0_4arch9wavefront6targetE0EEEvS10_,"axG",@progbits,_ZN7rocprim17ROCPRIM_400000_NS6detail17trampoline_kernelINS0_14default_configENS1_21merge_config_selectorINS0_5tupleIJffEEENS0_10empty_typeEEEZNS1_10merge_implIS3_NS0_12zip_iteratorINS5_IJN6thrust23THRUST_200600_302600_NS6detail15normal_iteratorINSC_10device_ptrIKfEEEESI_EEEEESK_NSA_INS5_IJNSE_INSF_IfEEEESM_EEEEEPS7_SP_SP_NSC_11hip_rocprim7__merge17predicate_wrapperIffNSC_7greaterIfEEEEEE10hipError_tPvRmT0_T1_T2_T3_T4_T5_mmT6_P12ihipStream_tbEUlT_E_NS1_11comp_targetILNS1_3genE5ELNS1_11target_archE942ELNS1_3gpuE9ELNS1_3repE0EEENS1_30default_config_static_selectorELNS0_4arch9wavefront6targetE0EEEvS10_,comdat
	.protected	_ZN7rocprim17ROCPRIM_400000_NS6detail17trampoline_kernelINS0_14default_configENS1_21merge_config_selectorINS0_5tupleIJffEEENS0_10empty_typeEEEZNS1_10merge_implIS3_NS0_12zip_iteratorINS5_IJN6thrust23THRUST_200600_302600_NS6detail15normal_iteratorINSC_10device_ptrIKfEEEESI_EEEEESK_NSA_INS5_IJNSE_INSF_IfEEEESM_EEEEEPS7_SP_SP_NSC_11hip_rocprim7__merge17predicate_wrapperIffNSC_7greaterIfEEEEEE10hipError_tPvRmT0_T1_T2_T3_T4_T5_mmT6_P12ihipStream_tbEUlT_E_NS1_11comp_targetILNS1_3genE5ELNS1_11target_archE942ELNS1_3gpuE9ELNS1_3repE0EEENS1_30default_config_static_selectorELNS0_4arch9wavefront6targetE0EEEvS10_ ; -- Begin function _ZN7rocprim17ROCPRIM_400000_NS6detail17trampoline_kernelINS0_14default_configENS1_21merge_config_selectorINS0_5tupleIJffEEENS0_10empty_typeEEEZNS1_10merge_implIS3_NS0_12zip_iteratorINS5_IJN6thrust23THRUST_200600_302600_NS6detail15normal_iteratorINSC_10device_ptrIKfEEEESI_EEEEESK_NSA_INS5_IJNSE_INSF_IfEEEESM_EEEEEPS7_SP_SP_NSC_11hip_rocprim7__merge17predicate_wrapperIffNSC_7greaterIfEEEEEE10hipError_tPvRmT0_T1_T2_T3_T4_T5_mmT6_P12ihipStream_tbEUlT_E_NS1_11comp_targetILNS1_3genE5ELNS1_11target_archE942ELNS1_3gpuE9ELNS1_3repE0EEENS1_30default_config_static_selectorELNS0_4arch9wavefront6targetE0EEEvS10_
	.globl	_ZN7rocprim17ROCPRIM_400000_NS6detail17trampoline_kernelINS0_14default_configENS1_21merge_config_selectorINS0_5tupleIJffEEENS0_10empty_typeEEEZNS1_10merge_implIS3_NS0_12zip_iteratorINS5_IJN6thrust23THRUST_200600_302600_NS6detail15normal_iteratorINSC_10device_ptrIKfEEEESI_EEEEESK_NSA_INS5_IJNSE_INSF_IfEEEESM_EEEEEPS7_SP_SP_NSC_11hip_rocprim7__merge17predicate_wrapperIffNSC_7greaterIfEEEEEE10hipError_tPvRmT0_T1_T2_T3_T4_T5_mmT6_P12ihipStream_tbEUlT_E_NS1_11comp_targetILNS1_3genE5ELNS1_11target_archE942ELNS1_3gpuE9ELNS1_3repE0EEENS1_30default_config_static_selectorELNS0_4arch9wavefront6targetE0EEEvS10_
	.p2align	8
	.type	_ZN7rocprim17ROCPRIM_400000_NS6detail17trampoline_kernelINS0_14default_configENS1_21merge_config_selectorINS0_5tupleIJffEEENS0_10empty_typeEEEZNS1_10merge_implIS3_NS0_12zip_iteratorINS5_IJN6thrust23THRUST_200600_302600_NS6detail15normal_iteratorINSC_10device_ptrIKfEEEESI_EEEEESK_NSA_INS5_IJNSE_INSF_IfEEEESM_EEEEEPS7_SP_SP_NSC_11hip_rocprim7__merge17predicate_wrapperIffNSC_7greaterIfEEEEEE10hipError_tPvRmT0_T1_T2_T3_T4_T5_mmT6_P12ihipStream_tbEUlT_E_NS1_11comp_targetILNS1_3genE5ELNS1_11target_archE942ELNS1_3gpuE9ELNS1_3repE0EEENS1_30default_config_static_selectorELNS0_4arch9wavefront6targetE0EEEvS10_,@function
_ZN7rocprim17ROCPRIM_400000_NS6detail17trampoline_kernelINS0_14default_configENS1_21merge_config_selectorINS0_5tupleIJffEEENS0_10empty_typeEEEZNS1_10merge_implIS3_NS0_12zip_iteratorINS5_IJN6thrust23THRUST_200600_302600_NS6detail15normal_iteratorINSC_10device_ptrIKfEEEESI_EEEEESK_NSA_INS5_IJNSE_INSF_IfEEEESM_EEEEEPS7_SP_SP_NSC_11hip_rocprim7__merge17predicate_wrapperIffNSC_7greaterIfEEEEEE10hipError_tPvRmT0_T1_T2_T3_T4_T5_mmT6_P12ihipStream_tbEUlT_E_NS1_11comp_targetILNS1_3genE5ELNS1_11target_archE942ELNS1_3gpuE9ELNS1_3repE0EEENS1_30default_config_static_selectorELNS0_4arch9wavefront6targetE0EEEvS10_: ; @_ZN7rocprim17ROCPRIM_400000_NS6detail17trampoline_kernelINS0_14default_configENS1_21merge_config_selectorINS0_5tupleIJffEEENS0_10empty_typeEEEZNS1_10merge_implIS3_NS0_12zip_iteratorINS5_IJN6thrust23THRUST_200600_302600_NS6detail15normal_iteratorINSC_10device_ptrIKfEEEESI_EEEEESK_NSA_INS5_IJNSE_INSF_IfEEEESM_EEEEEPS7_SP_SP_NSC_11hip_rocprim7__merge17predicate_wrapperIffNSC_7greaterIfEEEEEE10hipError_tPvRmT0_T1_T2_T3_T4_T5_mmT6_P12ihipStream_tbEUlT_E_NS1_11comp_targetILNS1_3genE5ELNS1_11target_archE942ELNS1_3gpuE9ELNS1_3repE0EEENS1_30default_config_static_selectorELNS0_4arch9wavefront6targetE0EEEvS10_
; %bb.0:
	.section	.rodata,"a",@progbits
	.p2align	6, 0x0
	.amdhsa_kernel _ZN7rocprim17ROCPRIM_400000_NS6detail17trampoline_kernelINS0_14default_configENS1_21merge_config_selectorINS0_5tupleIJffEEENS0_10empty_typeEEEZNS1_10merge_implIS3_NS0_12zip_iteratorINS5_IJN6thrust23THRUST_200600_302600_NS6detail15normal_iteratorINSC_10device_ptrIKfEEEESI_EEEEESK_NSA_INS5_IJNSE_INSF_IfEEEESM_EEEEEPS7_SP_SP_NSC_11hip_rocprim7__merge17predicate_wrapperIffNSC_7greaterIfEEEEEE10hipError_tPvRmT0_T1_T2_T3_T4_T5_mmT6_P12ihipStream_tbEUlT_E_NS1_11comp_targetILNS1_3genE5ELNS1_11target_archE942ELNS1_3gpuE9ELNS1_3repE0EEENS1_30default_config_static_selectorELNS0_4arch9wavefront6targetE0EEEvS10_
		.amdhsa_group_segment_fixed_size 0
		.amdhsa_private_segment_fixed_size 0
		.amdhsa_kernarg_size 64
		.amdhsa_user_sgpr_count 6
		.amdhsa_user_sgpr_private_segment_buffer 1
		.amdhsa_user_sgpr_dispatch_ptr 0
		.amdhsa_user_sgpr_queue_ptr 0
		.amdhsa_user_sgpr_kernarg_segment_ptr 1
		.amdhsa_user_sgpr_dispatch_id 0
		.amdhsa_user_sgpr_flat_scratch_init 0
		.amdhsa_user_sgpr_private_segment_size 0
		.amdhsa_wavefront_size32 1
		.amdhsa_uses_dynamic_stack 0
		.amdhsa_system_sgpr_private_segment_wavefront_offset 0
		.amdhsa_system_sgpr_workgroup_id_x 1
		.amdhsa_system_sgpr_workgroup_id_y 0
		.amdhsa_system_sgpr_workgroup_id_z 0
		.amdhsa_system_sgpr_workgroup_info 0
		.amdhsa_system_vgpr_workitem_id 0
		.amdhsa_next_free_vgpr 1
		.amdhsa_next_free_sgpr 1
		.amdhsa_reserve_vcc 0
		.amdhsa_reserve_flat_scratch 0
		.amdhsa_float_round_mode_32 0
		.amdhsa_float_round_mode_16_64 0
		.amdhsa_float_denorm_mode_32 3
		.amdhsa_float_denorm_mode_16_64 3
		.amdhsa_dx10_clamp 1
		.amdhsa_ieee_mode 1
		.amdhsa_fp16_overflow 0
		.amdhsa_workgroup_processor_mode 1
		.amdhsa_memory_ordered 1
		.amdhsa_forward_progress 1
		.amdhsa_shared_vgpr_count 0
		.amdhsa_exception_fp_ieee_invalid_op 0
		.amdhsa_exception_fp_denorm_src 0
		.amdhsa_exception_fp_ieee_div_zero 0
		.amdhsa_exception_fp_ieee_overflow 0
		.amdhsa_exception_fp_ieee_underflow 0
		.amdhsa_exception_fp_ieee_inexact 0
		.amdhsa_exception_int_div_zero 0
	.end_amdhsa_kernel
	.section	.text._ZN7rocprim17ROCPRIM_400000_NS6detail17trampoline_kernelINS0_14default_configENS1_21merge_config_selectorINS0_5tupleIJffEEENS0_10empty_typeEEEZNS1_10merge_implIS3_NS0_12zip_iteratorINS5_IJN6thrust23THRUST_200600_302600_NS6detail15normal_iteratorINSC_10device_ptrIKfEEEESI_EEEEESK_NSA_INS5_IJNSE_INSF_IfEEEESM_EEEEEPS7_SP_SP_NSC_11hip_rocprim7__merge17predicate_wrapperIffNSC_7greaterIfEEEEEE10hipError_tPvRmT0_T1_T2_T3_T4_T5_mmT6_P12ihipStream_tbEUlT_E_NS1_11comp_targetILNS1_3genE5ELNS1_11target_archE942ELNS1_3gpuE9ELNS1_3repE0EEENS1_30default_config_static_selectorELNS0_4arch9wavefront6targetE0EEEvS10_,"axG",@progbits,_ZN7rocprim17ROCPRIM_400000_NS6detail17trampoline_kernelINS0_14default_configENS1_21merge_config_selectorINS0_5tupleIJffEEENS0_10empty_typeEEEZNS1_10merge_implIS3_NS0_12zip_iteratorINS5_IJN6thrust23THRUST_200600_302600_NS6detail15normal_iteratorINSC_10device_ptrIKfEEEESI_EEEEESK_NSA_INS5_IJNSE_INSF_IfEEEESM_EEEEEPS7_SP_SP_NSC_11hip_rocprim7__merge17predicate_wrapperIffNSC_7greaterIfEEEEEE10hipError_tPvRmT0_T1_T2_T3_T4_T5_mmT6_P12ihipStream_tbEUlT_E_NS1_11comp_targetILNS1_3genE5ELNS1_11target_archE942ELNS1_3gpuE9ELNS1_3repE0EEENS1_30default_config_static_selectorELNS0_4arch9wavefront6targetE0EEEvS10_,comdat
.Lfunc_end336:
	.size	_ZN7rocprim17ROCPRIM_400000_NS6detail17trampoline_kernelINS0_14default_configENS1_21merge_config_selectorINS0_5tupleIJffEEENS0_10empty_typeEEEZNS1_10merge_implIS3_NS0_12zip_iteratorINS5_IJN6thrust23THRUST_200600_302600_NS6detail15normal_iteratorINSC_10device_ptrIKfEEEESI_EEEEESK_NSA_INS5_IJNSE_INSF_IfEEEESM_EEEEEPS7_SP_SP_NSC_11hip_rocprim7__merge17predicate_wrapperIffNSC_7greaterIfEEEEEE10hipError_tPvRmT0_T1_T2_T3_T4_T5_mmT6_P12ihipStream_tbEUlT_E_NS1_11comp_targetILNS1_3genE5ELNS1_11target_archE942ELNS1_3gpuE9ELNS1_3repE0EEENS1_30default_config_static_selectorELNS0_4arch9wavefront6targetE0EEEvS10_, .Lfunc_end336-_ZN7rocprim17ROCPRIM_400000_NS6detail17trampoline_kernelINS0_14default_configENS1_21merge_config_selectorINS0_5tupleIJffEEENS0_10empty_typeEEEZNS1_10merge_implIS3_NS0_12zip_iteratorINS5_IJN6thrust23THRUST_200600_302600_NS6detail15normal_iteratorINSC_10device_ptrIKfEEEESI_EEEEESK_NSA_INS5_IJNSE_INSF_IfEEEESM_EEEEEPS7_SP_SP_NSC_11hip_rocprim7__merge17predicate_wrapperIffNSC_7greaterIfEEEEEE10hipError_tPvRmT0_T1_T2_T3_T4_T5_mmT6_P12ihipStream_tbEUlT_E_NS1_11comp_targetILNS1_3genE5ELNS1_11target_archE942ELNS1_3gpuE9ELNS1_3repE0EEENS1_30default_config_static_selectorELNS0_4arch9wavefront6targetE0EEEvS10_
                                        ; -- End function
	.set _ZN7rocprim17ROCPRIM_400000_NS6detail17trampoline_kernelINS0_14default_configENS1_21merge_config_selectorINS0_5tupleIJffEEENS0_10empty_typeEEEZNS1_10merge_implIS3_NS0_12zip_iteratorINS5_IJN6thrust23THRUST_200600_302600_NS6detail15normal_iteratorINSC_10device_ptrIKfEEEESI_EEEEESK_NSA_INS5_IJNSE_INSF_IfEEEESM_EEEEEPS7_SP_SP_NSC_11hip_rocprim7__merge17predicate_wrapperIffNSC_7greaterIfEEEEEE10hipError_tPvRmT0_T1_T2_T3_T4_T5_mmT6_P12ihipStream_tbEUlT_E_NS1_11comp_targetILNS1_3genE5ELNS1_11target_archE942ELNS1_3gpuE9ELNS1_3repE0EEENS1_30default_config_static_selectorELNS0_4arch9wavefront6targetE0EEEvS10_.num_vgpr, 0
	.set _ZN7rocprim17ROCPRIM_400000_NS6detail17trampoline_kernelINS0_14default_configENS1_21merge_config_selectorINS0_5tupleIJffEEENS0_10empty_typeEEEZNS1_10merge_implIS3_NS0_12zip_iteratorINS5_IJN6thrust23THRUST_200600_302600_NS6detail15normal_iteratorINSC_10device_ptrIKfEEEESI_EEEEESK_NSA_INS5_IJNSE_INSF_IfEEEESM_EEEEEPS7_SP_SP_NSC_11hip_rocprim7__merge17predicate_wrapperIffNSC_7greaterIfEEEEEE10hipError_tPvRmT0_T1_T2_T3_T4_T5_mmT6_P12ihipStream_tbEUlT_E_NS1_11comp_targetILNS1_3genE5ELNS1_11target_archE942ELNS1_3gpuE9ELNS1_3repE0EEENS1_30default_config_static_selectorELNS0_4arch9wavefront6targetE0EEEvS10_.num_agpr, 0
	.set _ZN7rocprim17ROCPRIM_400000_NS6detail17trampoline_kernelINS0_14default_configENS1_21merge_config_selectorINS0_5tupleIJffEEENS0_10empty_typeEEEZNS1_10merge_implIS3_NS0_12zip_iteratorINS5_IJN6thrust23THRUST_200600_302600_NS6detail15normal_iteratorINSC_10device_ptrIKfEEEESI_EEEEESK_NSA_INS5_IJNSE_INSF_IfEEEESM_EEEEEPS7_SP_SP_NSC_11hip_rocprim7__merge17predicate_wrapperIffNSC_7greaterIfEEEEEE10hipError_tPvRmT0_T1_T2_T3_T4_T5_mmT6_P12ihipStream_tbEUlT_E_NS1_11comp_targetILNS1_3genE5ELNS1_11target_archE942ELNS1_3gpuE9ELNS1_3repE0EEENS1_30default_config_static_selectorELNS0_4arch9wavefront6targetE0EEEvS10_.numbered_sgpr, 0
	.set _ZN7rocprim17ROCPRIM_400000_NS6detail17trampoline_kernelINS0_14default_configENS1_21merge_config_selectorINS0_5tupleIJffEEENS0_10empty_typeEEEZNS1_10merge_implIS3_NS0_12zip_iteratorINS5_IJN6thrust23THRUST_200600_302600_NS6detail15normal_iteratorINSC_10device_ptrIKfEEEESI_EEEEESK_NSA_INS5_IJNSE_INSF_IfEEEESM_EEEEEPS7_SP_SP_NSC_11hip_rocprim7__merge17predicate_wrapperIffNSC_7greaterIfEEEEEE10hipError_tPvRmT0_T1_T2_T3_T4_T5_mmT6_P12ihipStream_tbEUlT_E_NS1_11comp_targetILNS1_3genE5ELNS1_11target_archE942ELNS1_3gpuE9ELNS1_3repE0EEENS1_30default_config_static_selectorELNS0_4arch9wavefront6targetE0EEEvS10_.num_named_barrier, 0
	.set _ZN7rocprim17ROCPRIM_400000_NS6detail17trampoline_kernelINS0_14default_configENS1_21merge_config_selectorINS0_5tupleIJffEEENS0_10empty_typeEEEZNS1_10merge_implIS3_NS0_12zip_iteratorINS5_IJN6thrust23THRUST_200600_302600_NS6detail15normal_iteratorINSC_10device_ptrIKfEEEESI_EEEEESK_NSA_INS5_IJNSE_INSF_IfEEEESM_EEEEEPS7_SP_SP_NSC_11hip_rocprim7__merge17predicate_wrapperIffNSC_7greaterIfEEEEEE10hipError_tPvRmT0_T1_T2_T3_T4_T5_mmT6_P12ihipStream_tbEUlT_E_NS1_11comp_targetILNS1_3genE5ELNS1_11target_archE942ELNS1_3gpuE9ELNS1_3repE0EEENS1_30default_config_static_selectorELNS0_4arch9wavefront6targetE0EEEvS10_.private_seg_size, 0
	.set _ZN7rocprim17ROCPRIM_400000_NS6detail17trampoline_kernelINS0_14default_configENS1_21merge_config_selectorINS0_5tupleIJffEEENS0_10empty_typeEEEZNS1_10merge_implIS3_NS0_12zip_iteratorINS5_IJN6thrust23THRUST_200600_302600_NS6detail15normal_iteratorINSC_10device_ptrIKfEEEESI_EEEEESK_NSA_INS5_IJNSE_INSF_IfEEEESM_EEEEEPS7_SP_SP_NSC_11hip_rocprim7__merge17predicate_wrapperIffNSC_7greaterIfEEEEEE10hipError_tPvRmT0_T1_T2_T3_T4_T5_mmT6_P12ihipStream_tbEUlT_E_NS1_11comp_targetILNS1_3genE5ELNS1_11target_archE942ELNS1_3gpuE9ELNS1_3repE0EEENS1_30default_config_static_selectorELNS0_4arch9wavefront6targetE0EEEvS10_.uses_vcc, 0
	.set _ZN7rocprim17ROCPRIM_400000_NS6detail17trampoline_kernelINS0_14default_configENS1_21merge_config_selectorINS0_5tupleIJffEEENS0_10empty_typeEEEZNS1_10merge_implIS3_NS0_12zip_iteratorINS5_IJN6thrust23THRUST_200600_302600_NS6detail15normal_iteratorINSC_10device_ptrIKfEEEESI_EEEEESK_NSA_INS5_IJNSE_INSF_IfEEEESM_EEEEEPS7_SP_SP_NSC_11hip_rocprim7__merge17predicate_wrapperIffNSC_7greaterIfEEEEEE10hipError_tPvRmT0_T1_T2_T3_T4_T5_mmT6_P12ihipStream_tbEUlT_E_NS1_11comp_targetILNS1_3genE5ELNS1_11target_archE942ELNS1_3gpuE9ELNS1_3repE0EEENS1_30default_config_static_selectorELNS0_4arch9wavefront6targetE0EEEvS10_.uses_flat_scratch, 0
	.set _ZN7rocprim17ROCPRIM_400000_NS6detail17trampoline_kernelINS0_14default_configENS1_21merge_config_selectorINS0_5tupleIJffEEENS0_10empty_typeEEEZNS1_10merge_implIS3_NS0_12zip_iteratorINS5_IJN6thrust23THRUST_200600_302600_NS6detail15normal_iteratorINSC_10device_ptrIKfEEEESI_EEEEESK_NSA_INS5_IJNSE_INSF_IfEEEESM_EEEEEPS7_SP_SP_NSC_11hip_rocprim7__merge17predicate_wrapperIffNSC_7greaterIfEEEEEE10hipError_tPvRmT0_T1_T2_T3_T4_T5_mmT6_P12ihipStream_tbEUlT_E_NS1_11comp_targetILNS1_3genE5ELNS1_11target_archE942ELNS1_3gpuE9ELNS1_3repE0EEENS1_30default_config_static_selectorELNS0_4arch9wavefront6targetE0EEEvS10_.has_dyn_sized_stack, 0
	.set _ZN7rocprim17ROCPRIM_400000_NS6detail17trampoline_kernelINS0_14default_configENS1_21merge_config_selectorINS0_5tupleIJffEEENS0_10empty_typeEEEZNS1_10merge_implIS3_NS0_12zip_iteratorINS5_IJN6thrust23THRUST_200600_302600_NS6detail15normal_iteratorINSC_10device_ptrIKfEEEESI_EEEEESK_NSA_INS5_IJNSE_INSF_IfEEEESM_EEEEEPS7_SP_SP_NSC_11hip_rocprim7__merge17predicate_wrapperIffNSC_7greaterIfEEEEEE10hipError_tPvRmT0_T1_T2_T3_T4_T5_mmT6_P12ihipStream_tbEUlT_E_NS1_11comp_targetILNS1_3genE5ELNS1_11target_archE942ELNS1_3gpuE9ELNS1_3repE0EEENS1_30default_config_static_selectorELNS0_4arch9wavefront6targetE0EEEvS10_.has_recursion, 0
	.set _ZN7rocprim17ROCPRIM_400000_NS6detail17trampoline_kernelINS0_14default_configENS1_21merge_config_selectorINS0_5tupleIJffEEENS0_10empty_typeEEEZNS1_10merge_implIS3_NS0_12zip_iteratorINS5_IJN6thrust23THRUST_200600_302600_NS6detail15normal_iteratorINSC_10device_ptrIKfEEEESI_EEEEESK_NSA_INS5_IJNSE_INSF_IfEEEESM_EEEEEPS7_SP_SP_NSC_11hip_rocprim7__merge17predicate_wrapperIffNSC_7greaterIfEEEEEE10hipError_tPvRmT0_T1_T2_T3_T4_T5_mmT6_P12ihipStream_tbEUlT_E_NS1_11comp_targetILNS1_3genE5ELNS1_11target_archE942ELNS1_3gpuE9ELNS1_3repE0EEENS1_30default_config_static_selectorELNS0_4arch9wavefront6targetE0EEEvS10_.has_indirect_call, 0
	.section	.AMDGPU.csdata,"",@progbits
; Kernel info:
; codeLenInByte = 0
; TotalNumSgprs: 0
; NumVgprs: 0
; ScratchSize: 0
; MemoryBound: 0
; FloatMode: 240
; IeeeMode: 1
; LDSByteSize: 0 bytes/workgroup (compile time only)
; SGPRBlocks: 0
; VGPRBlocks: 0
; NumSGPRsForWavesPerEU: 1
; NumVGPRsForWavesPerEU: 1
; Occupancy: 16
; WaveLimiterHint : 0
; COMPUTE_PGM_RSRC2:SCRATCH_EN: 0
; COMPUTE_PGM_RSRC2:USER_SGPR: 6
; COMPUTE_PGM_RSRC2:TRAP_HANDLER: 0
; COMPUTE_PGM_RSRC2:TGID_X_EN: 1
; COMPUTE_PGM_RSRC2:TGID_Y_EN: 0
; COMPUTE_PGM_RSRC2:TGID_Z_EN: 0
; COMPUTE_PGM_RSRC2:TIDIG_COMP_CNT: 0
	.section	.text._ZN7rocprim17ROCPRIM_400000_NS6detail17trampoline_kernelINS0_14default_configENS1_21merge_config_selectorINS0_5tupleIJffEEENS0_10empty_typeEEEZNS1_10merge_implIS3_NS0_12zip_iteratorINS5_IJN6thrust23THRUST_200600_302600_NS6detail15normal_iteratorINSC_10device_ptrIKfEEEESI_EEEEESK_NSA_INS5_IJNSE_INSF_IfEEEESM_EEEEEPS7_SP_SP_NSC_11hip_rocprim7__merge17predicate_wrapperIffNSC_7greaterIfEEEEEE10hipError_tPvRmT0_T1_T2_T3_T4_T5_mmT6_P12ihipStream_tbEUlT_E_NS1_11comp_targetILNS1_3genE4ELNS1_11target_archE910ELNS1_3gpuE8ELNS1_3repE0EEENS1_30default_config_static_selectorELNS0_4arch9wavefront6targetE0EEEvS10_,"axG",@progbits,_ZN7rocprim17ROCPRIM_400000_NS6detail17trampoline_kernelINS0_14default_configENS1_21merge_config_selectorINS0_5tupleIJffEEENS0_10empty_typeEEEZNS1_10merge_implIS3_NS0_12zip_iteratorINS5_IJN6thrust23THRUST_200600_302600_NS6detail15normal_iteratorINSC_10device_ptrIKfEEEESI_EEEEESK_NSA_INS5_IJNSE_INSF_IfEEEESM_EEEEEPS7_SP_SP_NSC_11hip_rocprim7__merge17predicate_wrapperIffNSC_7greaterIfEEEEEE10hipError_tPvRmT0_T1_T2_T3_T4_T5_mmT6_P12ihipStream_tbEUlT_E_NS1_11comp_targetILNS1_3genE4ELNS1_11target_archE910ELNS1_3gpuE8ELNS1_3repE0EEENS1_30default_config_static_selectorELNS0_4arch9wavefront6targetE0EEEvS10_,comdat
	.protected	_ZN7rocprim17ROCPRIM_400000_NS6detail17trampoline_kernelINS0_14default_configENS1_21merge_config_selectorINS0_5tupleIJffEEENS0_10empty_typeEEEZNS1_10merge_implIS3_NS0_12zip_iteratorINS5_IJN6thrust23THRUST_200600_302600_NS6detail15normal_iteratorINSC_10device_ptrIKfEEEESI_EEEEESK_NSA_INS5_IJNSE_INSF_IfEEEESM_EEEEEPS7_SP_SP_NSC_11hip_rocprim7__merge17predicate_wrapperIffNSC_7greaterIfEEEEEE10hipError_tPvRmT0_T1_T2_T3_T4_T5_mmT6_P12ihipStream_tbEUlT_E_NS1_11comp_targetILNS1_3genE4ELNS1_11target_archE910ELNS1_3gpuE8ELNS1_3repE0EEENS1_30default_config_static_selectorELNS0_4arch9wavefront6targetE0EEEvS10_ ; -- Begin function _ZN7rocprim17ROCPRIM_400000_NS6detail17trampoline_kernelINS0_14default_configENS1_21merge_config_selectorINS0_5tupleIJffEEENS0_10empty_typeEEEZNS1_10merge_implIS3_NS0_12zip_iteratorINS5_IJN6thrust23THRUST_200600_302600_NS6detail15normal_iteratorINSC_10device_ptrIKfEEEESI_EEEEESK_NSA_INS5_IJNSE_INSF_IfEEEESM_EEEEEPS7_SP_SP_NSC_11hip_rocprim7__merge17predicate_wrapperIffNSC_7greaterIfEEEEEE10hipError_tPvRmT0_T1_T2_T3_T4_T5_mmT6_P12ihipStream_tbEUlT_E_NS1_11comp_targetILNS1_3genE4ELNS1_11target_archE910ELNS1_3gpuE8ELNS1_3repE0EEENS1_30default_config_static_selectorELNS0_4arch9wavefront6targetE0EEEvS10_
	.globl	_ZN7rocprim17ROCPRIM_400000_NS6detail17trampoline_kernelINS0_14default_configENS1_21merge_config_selectorINS0_5tupleIJffEEENS0_10empty_typeEEEZNS1_10merge_implIS3_NS0_12zip_iteratorINS5_IJN6thrust23THRUST_200600_302600_NS6detail15normal_iteratorINSC_10device_ptrIKfEEEESI_EEEEESK_NSA_INS5_IJNSE_INSF_IfEEEESM_EEEEEPS7_SP_SP_NSC_11hip_rocprim7__merge17predicate_wrapperIffNSC_7greaterIfEEEEEE10hipError_tPvRmT0_T1_T2_T3_T4_T5_mmT6_P12ihipStream_tbEUlT_E_NS1_11comp_targetILNS1_3genE4ELNS1_11target_archE910ELNS1_3gpuE8ELNS1_3repE0EEENS1_30default_config_static_selectorELNS0_4arch9wavefront6targetE0EEEvS10_
	.p2align	8
	.type	_ZN7rocprim17ROCPRIM_400000_NS6detail17trampoline_kernelINS0_14default_configENS1_21merge_config_selectorINS0_5tupleIJffEEENS0_10empty_typeEEEZNS1_10merge_implIS3_NS0_12zip_iteratorINS5_IJN6thrust23THRUST_200600_302600_NS6detail15normal_iteratorINSC_10device_ptrIKfEEEESI_EEEEESK_NSA_INS5_IJNSE_INSF_IfEEEESM_EEEEEPS7_SP_SP_NSC_11hip_rocprim7__merge17predicate_wrapperIffNSC_7greaterIfEEEEEE10hipError_tPvRmT0_T1_T2_T3_T4_T5_mmT6_P12ihipStream_tbEUlT_E_NS1_11comp_targetILNS1_3genE4ELNS1_11target_archE910ELNS1_3gpuE8ELNS1_3repE0EEENS1_30default_config_static_selectorELNS0_4arch9wavefront6targetE0EEEvS10_,@function
_ZN7rocprim17ROCPRIM_400000_NS6detail17trampoline_kernelINS0_14default_configENS1_21merge_config_selectorINS0_5tupleIJffEEENS0_10empty_typeEEEZNS1_10merge_implIS3_NS0_12zip_iteratorINS5_IJN6thrust23THRUST_200600_302600_NS6detail15normal_iteratorINSC_10device_ptrIKfEEEESI_EEEEESK_NSA_INS5_IJNSE_INSF_IfEEEESM_EEEEEPS7_SP_SP_NSC_11hip_rocprim7__merge17predicate_wrapperIffNSC_7greaterIfEEEEEE10hipError_tPvRmT0_T1_T2_T3_T4_T5_mmT6_P12ihipStream_tbEUlT_E_NS1_11comp_targetILNS1_3genE4ELNS1_11target_archE910ELNS1_3gpuE8ELNS1_3repE0EEENS1_30default_config_static_selectorELNS0_4arch9wavefront6targetE0EEEvS10_: ; @_ZN7rocprim17ROCPRIM_400000_NS6detail17trampoline_kernelINS0_14default_configENS1_21merge_config_selectorINS0_5tupleIJffEEENS0_10empty_typeEEEZNS1_10merge_implIS3_NS0_12zip_iteratorINS5_IJN6thrust23THRUST_200600_302600_NS6detail15normal_iteratorINSC_10device_ptrIKfEEEESI_EEEEESK_NSA_INS5_IJNSE_INSF_IfEEEESM_EEEEEPS7_SP_SP_NSC_11hip_rocprim7__merge17predicate_wrapperIffNSC_7greaterIfEEEEEE10hipError_tPvRmT0_T1_T2_T3_T4_T5_mmT6_P12ihipStream_tbEUlT_E_NS1_11comp_targetILNS1_3genE4ELNS1_11target_archE910ELNS1_3gpuE8ELNS1_3repE0EEENS1_30default_config_static_selectorELNS0_4arch9wavefront6targetE0EEEvS10_
; %bb.0:
	.section	.rodata,"a",@progbits
	.p2align	6, 0x0
	.amdhsa_kernel _ZN7rocprim17ROCPRIM_400000_NS6detail17trampoline_kernelINS0_14default_configENS1_21merge_config_selectorINS0_5tupleIJffEEENS0_10empty_typeEEEZNS1_10merge_implIS3_NS0_12zip_iteratorINS5_IJN6thrust23THRUST_200600_302600_NS6detail15normal_iteratorINSC_10device_ptrIKfEEEESI_EEEEESK_NSA_INS5_IJNSE_INSF_IfEEEESM_EEEEEPS7_SP_SP_NSC_11hip_rocprim7__merge17predicate_wrapperIffNSC_7greaterIfEEEEEE10hipError_tPvRmT0_T1_T2_T3_T4_T5_mmT6_P12ihipStream_tbEUlT_E_NS1_11comp_targetILNS1_3genE4ELNS1_11target_archE910ELNS1_3gpuE8ELNS1_3repE0EEENS1_30default_config_static_selectorELNS0_4arch9wavefront6targetE0EEEvS10_
		.amdhsa_group_segment_fixed_size 0
		.amdhsa_private_segment_fixed_size 0
		.amdhsa_kernarg_size 64
		.amdhsa_user_sgpr_count 6
		.amdhsa_user_sgpr_private_segment_buffer 1
		.amdhsa_user_sgpr_dispatch_ptr 0
		.amdhsa_user_sgpr_queue_ptr 0
		.amdhsa_user_sgpr_kernarg_segment_ptr 1
		.amdhsa_user_sgpr_dispatch_id 0
		.amdhsa_user_sgpr_flat_scratch_init 0
		.amdhsa_user_sgpr_private_segment_size 0
		.amdhsa_wavefront_size32 1
		.amdhsa_uses_dynamic_stack 0
		.amdhsa_system_sgpr_private_segment_wavefront_offset 0
		.amdhsa_system_sgpr_workgroup_id_x 1
		.amdhsa_system_sgpr_workgroup_id_y 0
		.amdhsa_system_sgpr_workgroup_id_z 0
		.amdhsa_system_sgpr_workgroup_info 0
		.amdhsa_system_vgpr_workitem_id 0
		.amdhsa_next_free_vgpr 1
		.amdhsa_next_free_sgpr 1
		.amdhsa_reserve_vcc 0
		.amdhsa_reserve_flat_scratch 0
		.amdhsa_float_round_mode_32 0
		.amdhsa_float_round_mode_16_64 0
		.amdhsa_float_denorm_mode_32 3
		.amdhsa_float_denorm_mode_16_64 3
		.amdhsa_dx10_clamp 1
		.amdhsa_ieee_mode 1
		.amdhsa_fp16_overflow 0
		.amdhsa_workgroup_processor_mode 1
		.amdhsa_memory_ordered 1
		.amdhsa_forward_progress 1
		.amdhsa_shared_vgpr_count 0
		.amdhsa_exception_fp_ieee_invalid_op 0
		.amdhsa_exception_fp_denorm_src 0
		.amdhsa_exception_fp_ieee_div_zero 0
		.amdhsa_exception_fp_ieee_overflow 0
		.amdhsa_exception_fp_ieee_underflow 0
		.amdhsa_exception_fp_ieee_inexact 0
		.amdhsa_exception_int_div_zero 0
	.end_amdhsa_kernel
	.section	.text._ZN7rocprim17ROCPRIM_400000_NS6detail17trampoline_kernelINS0_14default_configENS1_21merge_config_selectorINS0_5tupleIJffEEENS0_10empty_typeEEEZNS1_10merge_implIS3_NS0_12zip_iteratorINS5_IJN6thrust23THRUST_200600_302600_NS6detail15normal_iteratorINSC_10device_ptrIKfEEEESI_EEEEESK_NSA_INS5_IJNSE_INSF_IfEEEESM_EEEEEPS7_SP_SP_NSC_11hip_rocprim7__merge17predicate_wrapperIffNSC_7greaterIfEEEEEE10hipError_tPvRmT0_T1_T2_T3_T4_T5_mmT6_P12ihipStream_tbEUlT_E_NS1_11comp_targetILNS1_3genE4ELNS1_11target_archE910ELNS1_3gpuE8ELNS1_3repE0EEENS1_30default_config_static_selectorELNS0_4arch9wavefront6targetE0EEEvS10_,"axG",@progbits,_ZN7rocprim17ROCPRIM_400000_NS6detail17trampoline_kernelINS0_14default_configENS1_21merge_config_selectorINS0_5tupleIJffEEENS0_10empty_typeEEEZNS1_10merge_implIS3_NS0_12zip_iteratorINS5_IJN6thrust23THRUST_200600_302600_NS6detail15normal_iteratorINSC_10device_ptrIKfEEEESI_EEEEESK_NSA_INS5_IJNSE_INSF_IfEEEESM_EEEEEPS7_SP_SP_NSC_11hip_rocprim7__merge17predicate_wrapperIffNSC_7greaterIfEEEEEE10hipError_tPvRmT0_T1_T2_T3_T4_T5_mmT6_P12ihipStream_tbEUlT_E_NS1_11comp_targetILNS1_3genE4ELNS1_11target_archE910ELNS1_3gpuE8ELNS1_3repE0EEENS1_30default_config_static_selectorELNS0_4arch9wavefront6targetE0EEEvS10_,comdat
.Lfunc_end337:
	.size	_ZN7rocprim17ROCPRIM_400000_NS6detail17trampoline_kernelINS0_14default_configENS1_21merge_config_selectorINS0_5tupleIJffEEENS0_10empty_typeEEEZNS1_10merge_implIS3_NS0_12zip_iteratorINS5_IJN6thrust23THRUST_200600_302600_NS6detail15normal_iteratorINSC_10device_ptrIKfEEEESI_EEEEESK_NSA_INS5_IJNSE_INSF_IfEEEESM_EEEEEPS7_SP_SP_NSC_11hip_rocprim7__merge17predicate_wrapperIffNSC_7greaterIfEEEEEE10hipError_tPvRmT0_T1_T2_T3_T4_T5_mmT6_P12ihipStream_tbEUlT_E_NS1_11comp_targetILNS1_3genE4ELNS1_11target_archE910ELNS1_3gpuE8ELNS1_3repE0EEENS1_30default_config_static_selectorELNS0_4arch9wavefront6targetE0EEEvS10_, .Lfunc_end337-_ZN7rocprim17ROCPRIM_400000_NS6detail17trampoline_kernelINS0_14default_configENS1_21merge_config_selectorINS0_5tupleIJffEEENS0_10empty_typeEEEZNS1_10merge_implIS3_NS0_12zip_iteratorINS5_IJN6thrust23THRUST_200600_302600_NS6detail15normal_iteratorINSC_10device_ptrIKfEEEESI_EEEEESK_NSA_INS5_IJNSE_INSF_IfEEEESM_EEEEEPS7_SP_SP_NSC_11hip_rocprim7__merge17predicate_wrapperIffNSC_7greaterIfEEEEEE10hipError_tPvRmT0_T1_T2_T3_T4_T5_mmT6_P12ihipStream_tbEUlT_E_NS1_11comp_targetILNS1_3genE4ELNS1_11target_archE910ELNS1_3gpuE8ELNS1_3repE0EEENS1_30default_config_static_selectorELNS0_4arch9wavefront6targetE0EEEvS10_
                                        ; -- End function
	.set _ZN7rocprim17ROCPRIM_400000_NS6detail17trampoline_kernelINS0_14default_configENS1_21merge_config_selectorINS0_5tupleIJffEEENS0_10empty_typeEEEZNS1_10merge_implIS3_NS0_12zip_iteratorINS5_IJN6thrust23THRUST_200600_302600_NS6detail15normal_iteratorINSC_10device_ptrIKfEEEESI_EEEEESK_NSA_INS5_IJNSE_INSF_IfEEEESM_EEEEEPS7_SP_SP_NSC_11hip_rocprim7__merge17predicate_wrapperIffNSC_7greaterIfEEEEEE10hipError_tPvRmT0_T1_T2_T3_T4_T5_mmT6_P12ihipStream_tbEUlT_E_NS1_11comp_targetILNS1_3genE4ELNS1_11target_archE910ELNS1_3gpuE8ELNS1_3repE0EEENS1_30default_config_static_selectorELNS0_4arch9wavefront6targetE0EEEvS10_.num_vgpr, 0
	.set _ZN7rocprim17ROCPRIM_400000_NS6detail17trampoline_kernelINS0_14default_configENS1_21merge_config_selectorINS0_5tupleIJffEEENS0_10empty_typeEEEZNS1_10merge_implIS3_NS0_12zip_iteratorINS5_IJN6thrust23THRUST_200600_302600_NS6detail15normal_iteratorINSC_10device_ptrIKfEEEESI_EEEEESK_NSA_INS5_IJNSE_INSF_IfEEEESM_EEEEEPS7_SP_SP_NSC_11hip_rocprim7__merge17predicate_wrapperIffNSC_7greaterIfEEEEEE10hipError_tPvRmT0_T1_T2_T3_T4_T5_mmT6_P12ihipStream_tbEUlT_E_NS1_11comp_targetILNS1_3genE4ELNS1_11target_archE910ELNS1_3gpuE8ELNS1_3repE0EEENS1_30default_config_static_selectorELNS0_4arch9wavefront6targetE0EEEvS10_.num_agpr, 0
	.set _ZN7rocprim17ROCPRIM_400000_NS6detail17trampoline_kernelINS0_14default_configENS1_21merge_config_selectorINS0_5tupleIJffEEENS0_10empty_typeEEEZNS1_10merge_implIS3_NS0_12zip_iteratorINS5_IJN6thrust23THRUST_200600_302600_NS6detail15normal_iteratorINSC_10device_ptrIKfEEEESI_EEEEESK_NSA_INS5_IJNSE_INSF_IfEEEESM_EEEEEPS7_SP_SP_NSC_11hip_rocprim7__merge17predicate_wrapperIffNSC_7greaterIfEEEEEE10hipError_tPvRmT0_T1_T2_T3_T4_T5_mmT6_P12ihipStream_tbEUlT_E_NS1_11comp_targetILNS1_3genE4ELNS1_11target_archE910ELNS1_3gpuE8ELNS1_3repE0EEENS1_30default_config_static_selectorELNS0_4arch9wavefront6targetE0EEEvS10_.numbered_sgpr, 0
	.set _ZN7rocprim17ROCPRIM_400000_NS6detail17trampoline_kernelINS0_14default_configENS1_21merge_config_selectorINS0_5tupleIJffEEENS0_10empty_typeEEEZNS1_10merge_implIS3_NS0_12zip_iteratorINS5_IJN6thrust23THRUST_200600_302600_NS6detail15normal_iteratorINSC_10device_ptrIKfEEEESI_EEEEESK_NSA_INS5_IJNSE_INSF_IfEEEESM_EEEEEPS7_SP_SP_NSC_11hip_rocprim7__merge17predicate_wrapperIffNSC_7greaterIfEEEEEE10hipError_tPvRmT0_T1_T2_T3_T4_T5_mmT6_P12ihipStream_tbEUlT_E_NS1_11comp_targetILNS1_3genE4ELNS1_11target_archE910ELNS1_3gpuE8ELNS1_3repE0EEENS1_30default_config_static_selectorELNS0_4arch9wavefront6targetE0EEEvS10_.num_named_barrier, 0
	.set _ZN7rocprim17ROCPRIM_400000_NS6detail17trampoline_kernelINS0_14default_configENS1_21merge_config_selectorINS0_5tupleIJffEEENS0_10empty_typeEEEZNS1_10merge_implIS3_NS0_12zip_iteratorINS5_IJN6thrust23THRUST_200600_302600_NS6detail15normal_iteratorINSC_10device_ptrIKfEEEESI_EEEEESK_NSA_INS5_IJNSE_INSF_IfEEEESM_EEEEEPS7_SP_SP_NSC_11hip_rocprim7__merge17predicate_wrapperIffNSC_7greaterIfEEEEEE10hipError_tPvRmT0_T1_T2_T3_T4_T5_mmT6_P12ihipStream_tbEUlT_E_NS1_11comp_targetILNS1_3genE4ELNS1_11target_archE910ELNS1_3gpuE8ELNS1_3repE0EEENS1_30default_config_static_selectorELNS0_4arch9wavefront6targetE0EEEvS10_.private_seg_size, 0
	.set _ZN7rocprim17ROCPRIM_400000_NS6detail17trampoline_kernelINS0_14default_configENS1_21merge_config_selectorINS0_5tupleIJffEEENS0_10empty_typeEEEZNS1_10merge_implIS3_NS0_12zip_iteratorINS5_IJN6thrust23THRUST_200600_302600_NS6detail15normal_iteratorINSC_10device_ptrIKfEEEESI_EEEEESK_NSA_INS5_IJNSE_INSF_IfEEEESM_EEEEEPS7_SP_SP_NSC_11hip_rocprim7__merge17predicate_wrapperIffNSC_7greaterIfEEEEEE10hipError_tPvRmT0_T1_T2_T3_T4_T5_mmT6_P12ihipStream_tbEUlT_E_NS1_11comp_targetILNS1_3genE4ELNS1_11target_archE910ELNS1_3gpuE8ELNS1_3repE0EEENS1_30default_config_static_selectorELNS0_4arch9wavefront6targetE0EEEvS10_.uses_vcc, 0
	.set _ZN7rocprim17ROCPRIM_400000_NS6detail17trampoline_kernelINS0_14default_configENS1_21merge_config_selectorINS0_5tupleIJffEEENS0_10empty_typeEEEZNS1_10merge_implIS3_NS0_12zip_iteratorINS5_IJN6thrust23THRUST_200600_302600_NS6detail15normal_iteratorINSC_10device_ptrIKfEEEESI_EEEEESK_NSA_INS5_IJNSE_INSF_IfEEEESM_EEEEEPS7_SP_SP_NSC_11hip_rocprim7__merge17predicate_wrapperIffNSC_7greaterIfEEEEEE10hipError_tPvRmT0_T1_T2_T3_T4_T5_mmT6_P12ihipStream_tbEUlT_E_NS1_11comp_targetILNS1_3genE4ELNS1_11target_archE910ELNS1_3gpuE8ELNS1_3repE0EEENS1_30default_config_static_selectorELNS0_4arch9wavefront6targetE0EEEvS10_.uses_flat_scratch, 0
	.set _ZN7rocprim17ROCPRIM_400000_NS6detail17trampoline_kernelINS0_14default_configENS1_21merge_config_selectorINS0_5tupleIJffEEENS0_10empty_typeEEEZNS1_10merge_implIS3_NS0_12zip_iteratorINS5_IJN6thrust23THRUST_200600_302600_NS6detail15normal_iteratorINSC_10device_ptrIKfEEEESI_EEEEESK_NSA_INS5_IJNSE_INSF_IfEEEESM_EEEEEPS7_SP_SP_NSC_11hip_rocprim7__merge17predicate_wrapperIffNSC_7greaterIfEEEEEE10hipError_tPvRmT0_T1_T2_T3_T4_T5_mmT6_P12ihipStream_tbEUlT_E_NS1_11comp_targetILNS1_3genE4ELNS1_11target_archE910ELNS1_3gpuE8ELNS1_3repE0EEENS1_30default_config_static_selectorELNS0_4arch9wavefront6targetE0EEEvS10_.has_dyn_sized_stack, 0
	.set _ZN7rocprim17ROCPRIM_400000_NS6detail17trampoline_kernelINS0_14default_configENS1_21merge_config_selectorINS0_5tupleIJffEEENS0_10empty_typeEEEZNS1_10merge_implIS3_NS0_12zip_iteratorINS5_IJN6thrust23THRUST_200600_302600_NS6detail15normal_iteratorINSC_10device_ptrIKfEEEESI_EEEEESK_NSA_INS5_IJNSE_INSF_IfEEEESM_EEEEEPS7_SP_SP_NSC_11hip_rocprim7__merge17predicate_wrapperIffNSC_7greaterIfEEEEEE10hipError_tPvRmT0_T1_T2_T3_T4_T5_mmT6_P12ihipStream_tbEUlT_E_NS1_11comp_targetILNS1_3genE4ELNS1_11target_archE910ELNS1_3gpuE8ELNS1_3repE0EEENS1_30default_config_static_selectorELNS0_4arch9wavefront6targetE0EEEvS10_.has_recursion, 0
	.set _ZN7rocprim17ROCPRIM_400000_NS6detail17trampoline_kernelINS0_14default_configENS1_21merge_config_selectorINS0_5tupleIJffEEENS0_10empty_typeEEEZNS1_10merge_implIS3_NS0_12zip_iteratorINS5_IJN6thrust23THRUST_200600_302600_NS6detail15normal_iteratorINSC_10device_ptrIKfEEEESI_EEEEESK_NSA_INS5_IJNSE_INSF_IfEEEESM_EEEEEPS7_SP_SP_NSC_11hip_rocprim7__merge17predicate_wrapperIffNSC_7greaterIfEEEEEE10hipError_tPvRmT0_T1_T2_T3_T4_T5_mmT6_P12ihipStream_tbEUlT_E_NS1_11comp_targetILNS1_3genE4ELNS1_11target_archE910ELNS1_3gpuE8ELNS1_3repE0EEENS1_30default_config_static_selectorELNS0_4arch9wavefront6targetE0EEEvS10_.has_indirect_call, 0
	.section	.AMDGPU.csdata,"",@progbits
; Kernel info:
; codeLenInByte = 0
; TotalNumSgprs: 0
; NumVgprs: 0
; ScratchSize: 0
; MemoryBound: 0
; FloatMode: 240
; IeeeMode: 1
; LDSByteSize: 0 bytes/workgroup (compile time only)
; SGPRBlocks: 0
; VGPRBlocks: 0
; NumSGPRsForWavesPerEU: 1
; NumVGPRsForWavesPerEU: 1
; Occupancy: 16
; WaveLimiterHint : 0
; COMPUTE_PGM_RSRC2:SCRATCH_EN: 0
; COMPUTE_PGM_RSRC2:USER_SGPR: 6
; COMPUTE_PGM_RSRC2:TRAP_HANDLER: 0
; COMPUTE_PGM_RSRC2:TGID_X_EN: 1
; COMPUTE_PGM_RSRC2:TGID_Y_EN: 0
; COMPUTE_PGM_RSRC2:TGID_Z_EN: 0
; COMPUTE_PGM_RSRC2:TIDIG_COMP_CNT: 0
	.section	.text._ZN7rocprim17ROCPRIM_400000_NS6detail17trampoline_kernelINS0_14default_configENS1_21merge_config_selectorINS0_5tupleIJffEEENS0_10empty_typeEEEZNS1_10merge_implIS3_NS0_12zip_iteratorINS5_IJN6thrust23THRUST_200600_302600_NS6detail15normal_iteratorINSC_10device_ptrIKfEEEESI_EEEEESK_NSA_INS5_IJNSE_INSF_IfEEEESM_EEEEEPS7_SP_SP_NSC_11hip_rocprim7__merge17predicate_wrapperIffNSC_7greaterIfEEEEEE10hipError_tPvRmT0_T1_T2_T3_T4_T5_mmT6_P12ihipStream_tbEUlT_E_NS1_11comp_targetILNS1_3genE3ELNS1_11target_archE908ELNS1_3gpuE7ELNS1_3repE0EEENS1_30default_config_static_selectorELNS0_4arch9wavefront6targetE0EEEvS10_,"axG",@progbits,_ZN7rocprim17ROCPRIM_400000_NS6detail17trampoline_kernelINS0_14default_configENS1_21merge_config_selectorINS0_5tupleIJffEEENS0_10empty_typeEEEZNS1_10merge_implIS3_NS0_12zip_iteratorINS5_IJN6thrust23THRUST_200600_302600_NS6detail15normal_iteratorINSC_10device_ptrIKfEEEESI_EEEEESK_NSA_INS5_IJNSE_INSF_IfEEEESM_EEEEEPS7_SP_SP_NSC_11hip_rocprim7__merge17predicate_wrapperIffNSC_7greaterIfEEEEEE10hipError_tPvRmT0_T1_T2_T3_T4_T5_mmT6_P12ihipStream_tbEUlT_E_NS1_11comp_targetILNS1_3genE3ELNS1_11target_archE908ELNS1_3gpuE7ELNS1_3repE0EEENS1_30default_config_static_selectorELNS0_4arch9wavefront6targetE0EEEvS10_,comdat
	.protected	_ZN7rocprim17ROCPRIM_400000_NS6detail17trampoline_kernelINS0_14default_configENS1_21merge_config_selectorINS0_5tupleIJffEEENS0_10empty_typeEEEZNS1_10merge_implIS3_NS0_12zip_iteratorINS5_IJN6thrust23THRUST_200600_302600_NS6detail15normal_iteratorINSC_10device_ptrIKfEEEESI_EEEEESK_NSA_INS5_IJNSE_INSF_IfEEEESM_EEEEEPS7_SP_SP_NSC_11hip_rocprim7__merge17predicate_wrapperIffNSC_7greaterIfEEEEEE10hipError_tPvRmT0_T1_T2_T3_T4_T5_mmT6_P12ihipStream_tbEUlT_E_NS1_11comp_targetILNS1_3genE3ELNS1_11target_archE908ELNS1_3gpuE7ELNS1_3repE0EEENS1_30default_config_static_selectorELNS0_4arch9wavefront6targetE0EEEvS10_ ; -- Begin function _ZN7rocprim17ROCPRIM_400000_NS6detail17trampoline_kernelINS0_14default_configENS1_21merge_config_selectorINS0_5tupleIJffEEENS0_10empty_typeEEEZNS1_10merge_implIS3_NS0_12zip_iteratorINS5_IJN6thrust23THRUST_200600_302600_NS6detail15normal_iteratorINSC_10device_ptrIKfEEEESI_EEEEESK_NSA_INS5_IJNSE_INSF_IfEEEESM_EEEEEPS7_SP_SP_NSC_11hip_rocprim7__merge17predicate_wrapperIffNSC_7greaterIfEEEEEE10hipError_tPvRmT0_T1_T2_T3_T4_T5_mmT6_P12ihipStream_tbEUlT_E_NS1_11comp_targetILNS1_3genE3ELNS1_11target_archE908ELNS1_3gpuE7ELNS1_3repE0EEENS1_30default_config_static_selectorELNS0_4arch9wavefront6targetE0EEEvS10_
	.globl	_ZN7rocprim17ROCPRIM_400000_NS6detail17trampoline_kernelINS0_14default_configENS1_21merge_config_selectorINS0_5tupleIJffEEENS0_10empty_typeEEEZNS1_10merge_implIS3_NS0_12zip_iteratorINS5_IJN6thrust23THRUST_200600_302600_NS6detail15normal_iteratorINSC_10device_ptrIKfEEEESI_EEEEESK_NSA_INS5_IJNSE_INSF_IfEEEESM_EEEEEPS7_SP_SP_NSC_11hip_rocprim7__merge17predicate_wrapperIffNSC_7greaterIfEEEEEE10hipError_tPvRmT0_T1_T2_T3_T4_T5_mmT6_P12ihipStream_tbEUlT_E_NS1_11comp_targetILNS1_3genE3ELNS1_11target_archE908ELNS1_3gpuE7ELNS1_3repE0EEENS1_30default_config_static_selectorELNS0_4arch9wavefront6targetE0EEEvS10_
	.p2align	8
	.type	_ZN7rocprim17ROCPRIM_400000_NS6detail17trampoline_kernelINS0_14default_configENS1_21merge_config_selectorINS0_5tupleIJffEEENS0_10empty_typeEEEZNS1_10merge_implIS3_NS0_12zip_iteratorINS5_IJN6thrust23THRUST_200600_302600_NS6detail15normal_iteratorINSC_10device_ptrIKfEEEESI_EEEEESK_NSA_INS5_IJNSE_INSF_IfEEEESM_EEEEEPS7_SP_SP_NSC_11hip_rocprim7__merge17predicate_wrapperIffNSC_7greaterIfEEEEEE10hipError_tPvRmT0_T1_T2_T3_T4_T5_mmT6_P12ihipStream_tbEUlT_E_NS1_11comp_targetILNS1_3genE3ELNS1_11target_archE908ELNS1_3gpuE7ELNS1_3repE0EEENS1_30default_config_static_selectorELNS0_4arch9wavefront6targetE0EEEvS10_,@function
_ZN7rocprim17ROCPRIM_400000_NS6detail17trampoline_kernelINS0_14default_configENS1_21merge_config_selectorINS0_5tupleIJffEEENS0_10empty_typeEEEZNS1_10merge_implIS3_NS0_12zip_iteratorINS5_IJN6thrust23THRUST_200600_302600_NS6detail15normal_iteratorINSC_10device_ptrIKfEEEESI_EEEEESK_NSA_INS5_IJNSE_INSF_IfEEEESM_EEEEEPS7_SP_SP_NSC_11hip_rocprim7__merge17predicate_wrapperIffNSC_7greaterIfEEEEEE10hipError_tPvRmT0_T1_T2_T3_T4_T5_mmT6_P12ihipStream_tbEUlT_E_NS1_11comp_targetILNS1_3genE3ELNS1_11target_archE908ELNS1_3gpuE7ELNS1_3repE0EEENS1_30default_config_static_selectorELNS0_4arch9wavefront6targetE0EEEvS10_: ; @_ZN7rocprim17ROCPRIM_400000_NS6detail17trampoline_kernelINS0_14default_configENS1_21merge_config_selectorINS0_5tupleIJffEEENS0_10empty_typeEEEZNS1_10merge_implIS3_NS0_12zip_iteratorINS5_IJN6thrust23THRUST_200600_302600_NS6detail15normal_iteratorINSC_10device_ptrIKfEEEESI_EEEEESK_NSA_INS5_IJNSE_INSF_IfEEEESM_EEEEEPS7_SP_SP_NSC_11hip_rocprim7__merge17predicate_wrapperIffNSC_7greaterIfEEEEEE10hipError_tPvRmT0_T1_T2_T3_T4_T5_mmT6_P12ihipStream_tbEUlT_E_NS1_11comp_targetILNS1_3genE3ELNS1_11target_archE908ELNS1_3gpuE7ELNS1_3repE0EEENS1_30default_config_static_selectorELNS0_4arch9wavefront6targetE0EEEvS10_
; %bb.0:
	.section	.rodata,"a",@progbits
	.p2align	6, 0x0
	.amdhsa_kernel _ZN7rocprim17ROCPRIM_400000_NS6detail17trampoline_kernelINS0_14default_configENS1_21merge_config_selectorINS0_5tupleIJffEEENS0_10empty_typeEEEZNS1_10merge_implIS3_NS0_12zip_iteratorINS5_IJN6thrust23THRUST_200600_302600_NS6detail15normal_iteratorINSC_10device_ptrIKfEEEESI_EEEEESK_NSA_INS5_IJNSE_INSF_IfEEEESM_EEEEEPS7_SP_SP_NSC_11hip_rocprim7__merge17predicate_wrapperIffNSC_7greaterIfEEEEEE10hipError_tPvRmT0_T1_T2_T3_T4_T5_mmT6_P12ihipStream_tbEUlT_E_NS1_11comp_targetILNS1_3genE3ELNS1_11target_archE908ELNS1_3gpuE7ELNS1_3repE0EEENS1_30default_config_static_selectorELNS0_4arch9wavefront6targetE0EEEvS10_
		.amdhsa_group_segment_fixed_size 0
		.amdhsa_private_segment_fixed_size 0
		.amdhsa_kernarg_size 64
		.amdhsa_user_sgpr_count 6
		.amdhsa_user_sgpr_private_segment_buffer 1
		.amdhsa_user_sgpr_dispatch_ptr 0
		.amdhsa_user_sgpr_queue_ptr 0
		.amdhsa_user_sgpr_kernarg_segment_ptr 1
		.amdhsa_user_sgpr_dispatch_id 0
		.amdhsa_user_sgpr_flat_scratch_init 0
		.amdhsa_user_sgpr_private_segment_size 0
		.amdhsa_wavefront_size32 1
		.amdhsa_uses_dynamic_stack 0
		.amdhsa_system_sgpr_private_segment_wavefront_offset 0
		.amdhsa_system_sgpr_workgroup_id_x 1
		.amdhsa_system_sgpr_workgroup_id_y 0
		.amdhsa_system_sgpr_workgroup_id_z 0
		.amdhsa_system_sgpr_workgroup_info 0
		.amdhsa_system_vgpr_workitem_id 0
		.amdhsa_next_free_vgpr 1
		.amdhsa_next_free_sgpr 1
		.amdhsa_reserve_vcc 0
		.amdhsa_reserve_flat_scratch 0
		.amdhsa_float_round_mode_32 0
		.amdhsa_float_round_mode_16_64 0
		.amdhsa_float_denorm_mode_32 3
		.amdhsa_float_denorm_mode_16_64 3
		.amdhsa_dx10_clamp 1
		.amdhsa_ieee_mode 1
		.amdhsa_fp16_overflow 0
		.amdhsa_workgroup_processor_mode 1
		.amdhsa_memory_ordered 1
		.amdhsa_forward_progress 1
		.amdhsa_shared_vgpr_count 0
		.amdhsa_exception_fp_ieee_invalid_op 0
		.amdhsa_exception_fp_denorm_src 0
		.amdhsa_exception_fp_ieee_div_zero 0
		.amdhsa_exception_fp_ieee_overflow 0
		.amdhsa_exception_fp_ieee_underflow 0
		.amdhsa_exception_fp_ieee_inexact 0
		.amdhsa_exception_int_div_zero 0
	.end_amdhsa_kernel
	.section	.text._ZN7rocprim17ROCPRIM_400000_NS6detail17trampoline_kernelINS0_14default_configENS1_21merge_config_selectorINS0_5tupleIJffEEENS0_10empty_typeEEEZNS1_10merge_implIS3_NS0_12zip_iteratorINS5_IJN6thrust23THRUST_200600_302600_NS6detail15normal_iteratorINSC_10device_ptrIKfEEEESI_EEEEESK_NSA_INS5_IJNSE_INSF_IfEEEESM_EEEEEPS7_SP_SP_NSC_11hip_rocprim7__merge17predicate_wrapperIffNSC_7greaterIfEEEEEE10hipError_tPvRmT0_T1_T2_T3_T4_T5_mmT6_P12ihipStream_tbEUlT_E_NS1_11comp_targetILNS1_3genE3ELNS1_11target_archE908ELNS1_3gpuE7ELNS1_3repE0EEENS1_30default_config_static_selectorELNS0_4arch9wavefront6targetE0EEEvS10_,"axG",@progbits,_ZN7rocprim17ROCPRIM_400000_NS6detail17trampoline_kernelINS0_14default_configENS1_21merge_config_selectorINS0_5tupleIJffEEENS0_10empty_typeEEEZNS1_10merge_implIS3_NS0_12zip_iteratorINS5_IJN6thrust23THRUST_200600_302600_NS6detail15normal_iteratorINSC_10device_ptrIKfEEEESI_EEEEESK_NSA_INS5_IJNSE_INSF_IfEEEESM_EEEEEPS7_SP_SP_NSC_11hip_rocprim7__merge17predicate_wrapperIffNSC_7greaterIfEEEEEE10hipError_tPvRmT0_T1_T2_T3_T4_T5_mmT6_P12ihipStream_tbEUlT_E_NS1_11comp_targetILNS1_3genE3ELNS1_11target_archE908ELNS1_3gpuE7ELNS1_3repE0EEENS1_30default_config_static_selectorELNS0_4arch9wavefront6targetE0EEEvS10_,comdat
.Lfunc_end338:
	.size	_ZN7rocprim17ROCPRIM_400000_NS6detail17trampoline_kernelINS0_14default_configENS1_21merge_config_selectorINS0_5tupleIJffEEENS0_10empty_typeEEEZNS1_10merge_implIS3_NS0_12zip_iteratorINS5_IJN6thrust23THRUST_200600_302600_NS6detail15normal_iteratorINSC_10device_ptrIKfEEEESI_EEEEESK_NSA_INS5_IJNSE_INSF_IfEEEESM_EEEEEPS7_SP_SP_NSC_11hip_rocprim7__merge17predicate_wrapperIffNSC_7greaterIfEEEEEE10hipError_tPvRmT0_T1_T2_T3_T4_T5_mmT6_P12ihipStream_tbEUlT_E_NS1_11comp_targetILNS1_3genE3ELNS1_11target_archE908ELNS1_3gpuE7ELNS1_3repE0EEENS1_30default_config_static_selectorELNS0_4arch9wavefront6targetE0EEEvS10_, .Lfunc_end338-_ZN7rocprim17ROCPRIM_400000_NS6detail17trampoline_kernelINS0_14default_configENS1_21merge_config_selectorINS0_5tupleIJffEEENS0_10empty_typeEEEZNS1_10merge_implIS3_NS0_12zip_iteratorINS5_IJN6thrust23THRUST_200600_302600_NS6detail15normal_iteratorINSC_10device_ptrIKfEEEESI_EEEEESK_NSA_INS5_IJNSE_INSF_IfEEEESM_EEEEEPS7_SP_SP_NSC_11hip_rocprim7__merge17predicate_wrapperIffNSC_7greaterIfEEEEEE10hipError_tPvRmT0_T1_T2_T3_T4_T5_mmT6_P12ihipStream_tbEUlT_E_NS1_11comp_targetILNS1_3genE3ELNS1_11target_archE908ELNS1_3gpuE7ELNS1_3repE0EEENS1_30default_config_static_selectorELNS0_4arch9wavefront6targetE0EEEvS10_
                                        ; -- End function
	.set _ZN7rocprim17ROCPRIM_400000_NS6detail17trampoline_kernelINS0_14default_configENS1_21merge_config_selectorINS0_5tupleIJffEEENS0_10empty_typeEEEZNS1_10merge_implIS3_NS0_12zip_iteratorINS5_IJN6thrust23THRUST_200600_302600_NS6detail15normal_iteratorINSC_10device_ptrIKfEEEESI_EEEEESK_NSA_INS5_IJNSE_INSF_IfEEEESM_EEEEEPS7_SP_SP_NSC_11hip_rocprim7__merge17predicate_wrapperIffNSC_7greaterIfEEEEEE10hipError_tPvRmT0_T1_T2_T3_T4_T5_mmT6_P12ihipStream_tbEUlT_E_NS1_11comp_targetILNS1_3genE3ELNS1_11target_archE908ELNS1_3gpuE7ELNS1_3repE0EEENS1_30default_config_static_selectorELNS0_4arch9wavefront6targetE0EEEvS10_.num_vgpr, 0
	.set _ZN7rocprim17ROCPRIM_400000_NS6detail17trampoline_kernelINS0_14default_configENS1_21merge_config_selectorINS0_5tupleIJffEEENS0_10empty_typeEEEZNS1_10merge_implIS3_NS0_12zip_iteratorINS5_IJN6thrust23THRUST_200600_302600_NS6detail15normal_iteratorINSC_10device_ptrIKfEEEESI_EEEEESK_NSA_INS5_IJNSE_INSF_IfEEEESM_EEEEEPS7_SP_SP_NSC_11hip_rocprim7__merge17predicate_wrapperIffNSC_7greaterIfEEEEEE10hipError_tPvRmT0_T1_T2_T3_T4_T5_mmT6_P12ihipStream_tbEUlT_E_NS1_11comp_targetILNS1_3genE3ELNS1_11target_archE908ELNS1_3gpuE7ELNS1_3repE0EEENS1_30default_config_static_selectorELNS0_4arch9wavefront6targetE0EEEvS10_.num_agpr, 0
	.set _ZN7rocprim17ROCPRIM_400000_NS6detail17trampoline_kernelINS0_14default_configENS1_21merge_config_selectorINS0_5tupleIJffEEENS0_10empty_typeEEEZNS1_10merge_implIS3_NS0_12zip_iteratorINS5_IJN6thrust23THRUST_200600_302600_NS6detail15normal_iteratorINSC_10device_ptrIKfEEEESI_EEEEESK_NSA_INS5_IJNSE_INSF_IfEEEESM_EEEEEPS7_SP_SP_NSC_11hip_rocprim7__merge17predicate_wrapperIffNSC_7greaterIfEEEEEE10hipError_tPvRmT0_T1_T2_T3_T4_T5_mmT6_P12ihipStream_tbEUlT_E_NS1_11comp_targetILNS1_3genE3ELNS1_11target_archE908ELNS1_3gpuE7ELNS1_3repE0EEENS1_30default_config_static_selectorELNS0_4arch9wavefront6targetE0EEEvS10_.numbered_sgpr, 0
	.set _ZN7rocprim17ROCPRIM_400000_NS6detail17trampoline_kernelINS0_14default_configENS1_21merge_config_selectorINS0_5tupleIJffEEENS0_10empty_typeEEEZNS1_10merge_implIS3_NS0_12zip_iteratorINS5_IJN6thrust23THRUST_200600_302600_NS6detail15normal_iteratorINSC_10device_ptrIKfEEEESI_EEEEESK_NSA_INS5_IJNSE_INSF_IfEEEESM_EEEEEPS7_SP_SP_NSC_11hip_rocprim7__merge17predicate_wrapperIffNSC_7greaterIfEEEEEE10hipError_tPvRmT0_T1_T2_T3_T4_T5_mmT6_P12ihipStream_tbEUlT_E_NS1_11comp_targetILNS1_3genE3ELNS1_11target_archE908ELNS1_3gpuE7ELNS1_3repE0EEENS1_30default_config_static_selectorELNS0_4arch9wavefront6targetE0EEEvS10_.num_named_barrier, 0
	.set _ZN7rocprim17ROCPRIM_400000_NS6detail17trampoline_kernelINS0_14default_configENS1_21merge_config_selectorINS0_5tupleIJffEEENS0_10empty_typeEEEZNS1_10merge_implIS3_NS0_12zip_iteratorINS5_IJN6thrust23THRUST_200600_302600_NS6detail15normal_iteratorINSC_10device_ptrIKfEEEESI_EEEEESK_NSA_INS5_IJNSE_INSF_IfEEEESM_EEEEEPS7_SP_SP_NSC_11hip_rocprim7__merge17predicate_wrapperIffNSC_7greaterIfEEEEEE10hipError_tPvRmT0_T1_T2_T3_T4_T5_mmT6_P12ihipStream_tbEUlT_E_NS1_11comp_targetILNS1_3genE3ELNS1_11target_archE908ELNS1_3gpuE7ELNS1_3repE0EEENS1_30default_config_static_selectorELNS0_4arch9wavefront6targetE0EEEvS10_.private_seg_size, 0
	.set _ZN7rocprim17ROCPRIM_400000_NS6detail17trampoline_kernelINS0_14default_configENS1_21merge_config_selectorINS0_5tupleIJffEEENS0_10empty_typeEEEZNS1_10merge_implIS3_NS0_12zip_iteratorINS5_IJN6thrust23THRUST_200600_302600_NS6detail15normal_iteratorINSC_10device_ptrIKfEEEESI_EEEEESK_NSA_INS5_IJNSE_INSF_IfEEEESM_EEEEEPS7_SP_SP_NSC_11hip_rocprim7__merge17predicate_wrapperIffNSC_7greaterIfEEEEEE10hipError_tPvRmT0_T1_T2_T3_T4_T5_mmT6_P12ihipStream_tbEUlT_E_NS1_11comp_targetILNS1_3genE3ELNS1_11target_archE908ELNS1_3gpuE7ELNS1_3repE0EEENS1_30default_config_static_selectorELNS0_4arch9wavefront6targetE0EEEvS10_.uses_vcc, 0
	.set _ZN7rocprim17ROCPRIM_400000_NS6detail17trampoline_kernelINS0_14default_configENS1_21merge_config_selectorINS0_5tupleIJffEEENS0_10empty_typeEEEZNS1_10merge_implIS3_NS0_12zip_iteratorINS5_IJN6thrust23THRUST_200600_302600_NS6detail15normal_iteratorINSC_10device_ptrIKfEEEESI_EEEEESK_NSA_INS5_IJNSE_INSF_IfEEEESM_EEEEEPS7_SP_SP_NSC_11hip_rocprim7__merge17predicate_wrapperIffNSC_7greaterIfEEEEEE10hipError_tPvRmT0_T1_T2_T3_T4_T5_mmT6_P12ihipStream_tbEUlT_E_NS1_11comp_targetILNS1_3genE3ELNS1_11target_archE908ELNS1_3gpuE7ELNS1_3repE0EEENS1_30default_config_static_selectorELNS0_4arch9wavefront6targetE0EEEvS10_.uses_flat_scratch, 0
	.set _ZN7rocprim17ROCPRIM_400000_NS6detail17trampoline_kernelINS0_14default_configENS1_21merge_config_selectorINS0_5tupleIJffEEENS0_10empty_typeEEEZNS1_10merge_implIS3_NS0_12zip_iteratorINS5_IJN6thrust23THRUST_200600_302600_NS6detail15normal_iteratorINSC_10device_ptrIKfEEEESI_EEEEESK_NSA_INS5_IJNSE_INSF_IfEEEESM_EEEEEPS7_SP_SP_NSC_11hip_rocprim7__merge17predicate_wrapperIffNSC_7greaterIfEEEEEE10hipError_tPvRmT0_T1_T2_T3_T4_T5_mmT6_P12ihipStream_tbEUlT_E_NS1_11comp_targetILNS1_3genE3ELNS1_11target_archE908ELNS1_3gpuE7ELNS1_3repE0EEENS1_30default_config_static_selectorELNS0_4arch9wavefront6targetE0EEEvS10_.has_dyn_sized_stack, 0
	.set _ZN7rocprim17ROCPRIM_400000_NS6detail17trampoline_kernelINS0_14default_configENS1_21merge_config_selectorINS0_5tupleIJffEEENS0_10empty_typeEEEZNS1_10merge_implIS3_NS0_12zip_iteratorINS5_IJN6thrust23THRUST_200600_302600_NS6detail15normal_iteratorINSC_10device_ptrIKfEEEESI_EEEEESK_NSA_INS5_IJNSE_INSF_IfEEEESM_EEEEEPS7_SP_SP_NSC_11hip_rocprim7__merge17predicate_wrapperIffNSC_7greaterIfEEEEEE10hipError_tPvRmT0_T1_T2_T3_T4_T5_mmT6_P12ihipStream_tbEUlT_E_NS1_11comp_targetILNS1_3genE3ELNS1_11target_archE908ELNS1_3gpuE7ELNS1_3repE0EEENS1_30default_config_static_selectorELNS0_4arch9wavefront6targetE0EEEvS10_.has_recursion, 0
	.set _ZN7rocprim17ROCPRIM_400000_NS6detail17trampoline_kernelINS0_14default_configENS1_21merge_config_selectorINS0_5tupleIJffEEENS0_10empty_typeEEEZNS1_10merge_implIS3_NS0_12zip_iteratorINS5_IJN6thrust23THRUST_200600_302600_NS6detail15normal_iteratorINSC_10device_ptrIKfEEEESI_EEEEESK_NSA_INS5_IJNSE_INSF_IfEEEESM_EEEEEPS7_SP_SP_NSC_11hip_rocprim7__merge17predicate_wrapperIffNSC_7greaterIfEEEEEE10hipError_tPvRmT0_T1_T2_T3_T4_T5_mmT6_P12ihipStream_tbEUlT_E_NS1_11comp_targetILNS1_3genE3ELNS1_11target_archE908ELNS1_3gpuE7ELNS1_3repE0EEENS1_30default_config_static_selectorELNS0_4arch9wavefront6targetE0EEEvS10_.has_indirect_call, 0
	.section	.AMDGPU.csdata,"",@progbits
; Kernel info:
; codeLenInByte = 0
; TotalNumSgprs: 0
; NumVgprs: 0
; ScratchSize: 0
; MemoryBound: 0
; FloatMode: 240
; IeeeMode: 1
; LDSByteSize: 0 bytes/workgroup (compile time only)
; SGPRBlocks: 0
; VGPRBlocks: 0
; NumSGPRsForWavesPerEU: 1
; NumVGPRsForWavesPerEU: 1
; Occupancy: 16
; WaveLimiterHint : 0
; COMPUTE_PGM_RSRC2:SCRATCH_EN: 0
; COMPUTE_PGM_RSRC2:USER_SGPR: 6
; COMPUTE_PGM_RSRC2:TRAP_HANDLER: 0
; COMPUTE_PGM_RSRC2:TGID_X_EN: 1
; COMPUTE_PGM_RSRC2:TGID_Y_EN: 0
; COMPUTE_PGM_RSRC2:TGID_Z_EN: 0
; COMPUTE_PGM_RSRC2:TIDIG_COMP_CNT: 0
	.section	.text._ZN7rocprim17ROCPRIM_400000_NS6detail17trampoline_kernelINS0_14default_configENS1_21merge_config_selectorINS0_5tupleIJffEEENS0_10empty_typeEEEZNS1_10merge_implIS3_NS0_12zip_iteratorINS5_IJN6thrust23THRUST_200600_302600_NS6detail15normal_iteratorINSC_10device_ptrIKfEEEESI_EEEEESK_NSA_INS5_IJNSE_INSF_IfEEEESM_EEEEEPS7_SP_SP_NSC_11hip_rocprim7__merge17predicate_wrapperIffNSC_7greaterIfEEEEEE10hipError_tPvRmT0_T1_T2_T3_T4_T5_mmT6_P12ihipStream_tbEUlT_E_NS1_11comp_targetILNS1_3genE2ELNS1_11target_archE906ELNS1_3gpuE6ELNS1_3repE0EEENS1_30default_config_static_selectorELNS0_4arch9wavefront6targetE0EEEvS10_,"axG",@progbits,_ZN7rocprim17ROCPRIM_400000_NS6detail17trampoline_kernelINS0_14default_configENS1_21merge_config_selectorINS0_5tupleIJffEEENS0_10empty_typeEEEZNS1_10merge_implIS3_NS0_12zip_iteratorINS5_IJN6thrust23THRUST_200600_302600_NS6detail15normal_iteratorINSC_10device_ptrIKfEEEESI_EEEEESK_NSA_INS5_IJNSE_INSF_IfEEEESM_EEEEEPS7_SP_SP_NSC_11hip_rocprim7__merge17predicate_wrapperIffNSC_7greaterIfEEEEEE10hipError_tPvRmT0_T1_T2_T3_T4_T5_mmT6_P12ihipStream_tbEUlT_E_NS1_11comp_targetILNS1_3genE2ELNS1_11target_archE906ELNS1_3gpuE6ELNS1_3repE0EEENS1_30default_config_static_selectorELNS0_4arch9wavefront6targetE0EEEvS10_,comdat
	.protected	_ZN7rocprim17ROCPRIM_400000_NS6detail17trampoline_kernelINS0_14default_configENS1_21merge_config_selectorINS0_5tupleIJffEEENS0_10empty_typeEEEZNS1_10merge_implIS3_NS0_12zip_iteratorINS5_IJN6thrust23THRUST_200600_302600_NS6detail15normal_iteratorINSC_10device_ptrIKfEEEESI_EEEEESK_NSA_INS5_IJNSE_INSF_IfEEEESM_EEEEEPS7_SP_SP_NSC_11hip_rocprim7__merge17predicate_wrapperIffNSC_7greaterIfEEEEEE10hipError_tPvRmT0_T1_T2_T3_T4_T5_mmT6_P12ihipStream_tbEUlT_E_NS1_11comp_targetILNS1_3genE2ELNS1_11target_archE906ELNS1_3gpuE6ELNS1_3repE0EEENS1_30default_config_static_selectorELNS0_4arch9wavefront6targetE0EEEvS10_ ; -- Begin function _ZN7rocprim17ROCPRIM_400000_NS6detail17trampoline_kernelINS0_14default_configENS1_21merge_config_selectorINS0_5tupleIJffEEENS0_10empty_typeEEEZNS1_10merge_implIS3_NS0_12zip_iteratorINS5_IJN6thrust23THRUST_200600_302600_NS6detail15normal_iteratorINSC_10device_ptrIKfEEEESI_EEEEESK_NSA_INS5_IJNSE_INSF_IfEEEESM_EEEEEPS7_SP_SP_NSC_11hip_rocprim7__merge17predicate_wrapperIffNSC_7greaterIfEEEEEE10hipError_tPvRmT0_T1_T2_T3_T4_T5_mmT6_P12ihipStream_tbEUlT_E_NS1_11comp_targetILNS1_3genE2ELNS1_11target_archE906ELNS1_3gpuE6ELNS1_3repE0EEENS1_30default_config_static_selectorELNS0_4arch9wavefront6targetE0EEEvS10_
	.globl	_ZN7rocprim17ROCPRIM_400000_NS6detail17trampoline_kernelINS0_14default_configENS1_21merge_config_selectorINS0_5tupleIJffEEENS0_10empty_typeEEEZNS1_10merge_implIS3_NS0_12zip_iteratorINS5_IJN6thrust23THRUST_200600_302600_NS6detail15normal_iteratorINSC_10device_ptrIKfEEEESI_EEEEESK_NSA_INS5_IJNSE_INSF_IfEEEESM_EEEEEPS7_SP_SP_NSC_11hip_rocprim7__merge17predicate_wrapperIffNSC_7greaterIfEEEEEE10hipError_tPvRmT0_T1_T2_T3_T4_T5_mmT6_P12ihipStream_tbEUlT_E_NS1_11comp_targetILNS1_3genE2ELNS1_11target_archE906ELNS1_3gpuE6ELNS1_3repE0EEENS1_30default_config_static_selectorELNS0_4arch9wavefront6targetE0EEEvS10_
	.p2align	8
	.type	_ZN7rocprim17ROCPRIM_400000_NS6detail17trampoline_kernelINS0_14default_configENS1_21merge_config_selectorINS0_5tupleIJffEEENS0_10empty_typeEEEZNS1_10merge_implIS3_NS0_12zip_iteratorINS5_IJN6thrust23THRUST_200600_302600_NS6detail15normal_iteratorINSC_10device_ptrIKfEEEESI_EEEEESK_NSA_INS5_IJNSE_INSF_IfEEEESM_EEEEEPS7_SP_SP_NSC_11hip_rocprim7__merge17predicate_wrapperIffNSC_7greaterIfEEEEEE10hipError_tPvRmT0_T1_T2_T3_T4_T5_mmT6_P12ihipStream_tbEUlT_E_NS1_11comp_targetILNS1_3genE2ELNS1_11target_archE906ELNS1_3gpuE6ELNS1_3repE0EEENS1_30default_config_static_selectorELNS0_4arch9wavefront6targetE0EEEvS10_,@function
_ZN7rocprim17ROCPRIM_400000_NS6detail17trampoline_kernelINS0_14default_configENS1_21merge_config_selectorINS0_5tupleIJffEEENS0_10empty_typeEEEZNS1_10merge_implIS3_NS0_12zip_iteratorINS5_IJN6thrust23THRUST_200600_302600_NS6detail15normal_iteratorINSC_10device_ptrIKfEEEESI_EEEEESK_NSA_INS5_IJNSE_INSF_IfEEEESM_EEEEEPS7_SP_SP_NSC_11hip_rocprim7__merge17predicate_wrapperIffNSC_7greaterIfEEEEEE10hipError_tPvRmT0_T1_T2_T3_T4_T5_mmT6_P12ihipStream_tbEUlT_E_NS1_11comp_targetILNS1_3genE2ELNS1_11target_archE906ELNS1_3gpuE6ELNS1_3repE0EEENS1_30default_config_static_selectorELNS0_4arch9wavefront6targetE0EEEvS10_: ; @_ZN7rocprim17ROCPRIM_400000_NS6detail17trampoline_kernelINS0_14default_configENS1_21merge_config_selectorINS0_5tupleIJffEEENS0_10empty_typeEEEZNS1_10merge_implIS3_NS0_12zip_iteratorINS5_IJN6thrust23THRUST_200600_302600_NS6detail15normal_iteratorINSC_10device_ptrIKfEEEESI_EEEEESK_NSA_INS5_IJNSE_INSF_IfEEEESM_EEEEEPS7_SP_SP_NSC_11hip_rocprim7__merge17predicate_wrapperIffNSC_7greaterIfEEEEEE10hipError_tPvRmT0_T1_T2_T3_T4_T5_mmT6_P12ihipStream_tbEUlT_E_NS1_11comp_targetILNS1_3genE2ELNS1_11target_archE906ELNS1_3gpuE6ELNS1_3repE0EEENS1_30default_config_static_selectorELNS0_4arch9wavefront6targetE0EEEvS10_
; %bb.0:
	.section	.rodata,"a",@progbits
	.p2align	6, 0x0
	.amdhsa_kernel _ZN7rocprim17ROCPRIM_400000_NS6detail17trampoline_kernelINS0_14default_configENS1_21merge_config_selectorINS0_5tupleIJffEEENS0_10empty_typeEEEZNS1_10merge_implIS3_NS0_12zip_iteratorINS5_IJN6thrust23THRUST_200600_302600_NS6detail15normal_iteratorINSC_10device_ptrIKfEEEESI_EEEEESK_NSA_INS5_IJNSE_INSF_IfEEEESM_EEEEEPS7_SP_SP_NSC_11hip_rocprim7__merge17predicate_wrapperIffNSC_7greaterIfEEEEEE10hipError_tPvRmT0_T1_T2_T3_T4_T5_mmT6_P12ihipStream_tbEUlT_E_NS1_11comp_targetILNS1_3genE2ELNS1_11target_archE906ELNS1_3gpuE6ELNS1_3repE0EEENS1_30default_config_static_selectorELNS0_4arch9wavefront6targetE0EEEvS10_
		.amdhsa_group_segment_fixed_size 0
		.amdhsa_private_segment_fixed_size 0
		.amdhsa_kernarg_size 64
		.amdhsa_user_sgpr_count 6
		.amdhsa_user_sgpr_private_segment_buffer 1
		.amdhsa_user_sgpr_dispatch_ptr 0
		.amdhsa_user_sgpr_queue_ptr 0
		.amdhsa_user_sgpr_kernarg_segment_ptr 1
		.amdhsa_user_sgpr_dispatch_id 0
		.amdhsa_user_sgpr_flat_scratch_init 0
		.amdhsa_user_sgpr_private_segment_size 0
		.amdhsa_wavefront_size32 1
		.amdhsa_uses_dynamic_stack 0
		.amdhsa_system_sgpr_private_segment_wavefront_offset 0
		.amdhsa_system_sgpr_workgroup_id_x 1
		.amdhsa_system_sgpr_workgroup_id_y 0
		.amdhsa_system_sgpr_workgroup_id_z 0
		.amdhsa_system_sgpr_workgroup_info 0
		.amdhsa_system_vgpr_workitem_id 0
		.amdhsa_next_free_vgpr 1
		.amdhsa_next_free_sgpr 1
		.amdhsa_reserve_vcc 0
		.amdhsa_reserve_flat_scratch 0
		.amdhsa_float_round_mode_32 0
		.amdhsa_float_round_mode_16_64 0
		.amdhsa_float_denorm_mode_32 3
		.amdhsa_float_denorm_mode_16_64 3
		.amdhsa_dx10_clamp 1
		.amdhsa_ieee_mode 1
		.amdhsa_fp16_overflow 0
		.amdhsa_workgroup_processor_mode 1
		.amdhsa_memory_ordered 1
		.amdhsa_forward_progress 1
		.amdhsa_shared_vgpr_count 0
		.amdhsa_exception_fp_ieee_invalid_op 0
		.amdhsa_exception_fp_denorm_src 0
		.amdhsa_exception_fp_ieee_div_zero 0
		.amdhsa_exception_fp_ieee_overflow 0
		.amdhsa_exception_fp_ieee_underflow 0
		.amdhsa_exception_fp_ieee_inexact 0
		.amdhsa_exception_int_div_zero 0
	.end_amdhsa_kernel
	.section	.text._ZN7rocprim17ROCPRIM_400000_NS6detail17trampoline_kernelINS0_14default_configENS1_21merge_config_selectorINS0_5tupleIJffEEENS0_10empty_typeEEEZNS1_10merge_implIS3_NS0_12zip_iteratorINS5_IJN6thrust23THRUST_200600_302600_NS6detail15normal_iteratorINSC_10device_ptrIKfEEEESI_EEEEESK_NSA_INS5_IJNSE_INSF_IfEEEESM_EEEEEPS7_SP_SP_NSC_11hip_rocprim7__merge17predicate_wrapperIffNSC_7greaterIfEEEEEE10hipError_tPvRmT0_T1_T2_T3_T4_T5_mmT6_P12ihipStream_tbEUlT_E_NS1_11comp_targetILNS1_3genE2ELNS1_11target_archE906ELNS1_3gpuE6ELNS1_3repE0EEENS1_30default_config_static_selectorELNS0_4arch9wavefront6targetE0EEEvS10_,"axG",@progbits,_ZN7rocprim17ROCPRIM_400000_NS6detail17trampoline_kernelINS0_14default_configENS1_21merge_config_selectorINS0_5tupleIJffEEENS0_10empty_typeEEEZNS1_10merge_implIS3_NS0_12zip_iteratorINS5_IJN6thrust23THRUST_200600_302600_NS6detail15normal_iteratorINSC_10device_ptrIKfEEEESI_EEEEESK_NSA_INS5_IJNSE_INSF_IfEEEESM_EEEEEPS7_SP_SP_NSC_11hip_rocprim7__merge17predicate_wrapperIffNSC_7greaterIfEEEEEE10hipError_tPvRmT0_T1_T2_T3_T4_T5_mmT6_P12ihipStream_tbEUlT_E_NS1_11comp_targetILNS1_3genE2ELNS1_11target_archE906ELNS1_3gpuE6ELNS1_3repE0EEENS1_30default_config_static_selectorELNS0_4arch9wavefront6targetE0EEEvS10_,comdat
.Lfunc_end339:
	.size	_ZN7rocprim17ROCPRIM_400000_NS6detail17trampoline_kernelINS0_14default_configENS1_21merge_config_selectorINS0_5tupleIJffEEENS0_10empty_typeEEEZNS1_10merge_implIS3_NS0_12zip_iteratorINS5_IJN6thrust23THRUST_200600_302600_NS6detail15normal_iteratorINSC_10device_ptrIKfEEEESI_EEEEESK_NSA_INS5_IJNSE_INSF_IfEEEESM_EEEEEPS7_SP_SP_NSC_11hip_rocprim7__merge17predicate_wrapperIffNSC_7greaterIfEEEEEE10hipError_tPvRmT0_T1_T2_T3_T4_T5_mmT6_P12ihipStream_tbEUlT_E_NS1_11comp_targetILNS1_3genE2ELNS1_11target_archE906ELNS1_3gpuE6ELNS1_3repE0EEENS1_30default_config_static_selectorELNS0_4arch9wavefront6targetE0EEEvS10_, .Lfunc_end339-_ZN7rocprim17ROCPRIM_400000_NS6detail17trampoline_kernelINS0_14default_configENS1_21merge_config_selectorINS0_5tupleIJffEEENS0_10empty_typeEEEZNS1_10merge_implIS3_NS0_12zip_iteratorINS5_IJN6thrust23THRUST_200600_302600_NS6detail15normal_iteratorINSC_10device_ptrIKfEEEESI_EEEEESK_NSA_INS5_IJNSE_INSF_IfEEEESM_EEEEEPS7_SP_SP_NSC_11hip_rocprim7__merge17predicate_wrapperIffNSC_7greaterIfEEEEEE10hipError_tPvRmT0_T1_T2_T3_T4_T5_mmT6_P12ihipStream_tbEUlT_E_NS1_11comp_targetILNS1_3genE2ELNS1_11target_archE906ELNS1_3gpuE6ELNS1_3repE0EEENS1_30default_config_static_selectorELNS0_4arch9wavefront6targetE0EEEvS10_
                                        ; -- End function
	.set _ZN7rocprim17ROCPRIM_400000_NS6detail17trampoline_kernelINS0_14default_configENS1_21merge_config_selectorINS0_5tupleIJffEEENS0_10empty_typeEEEZNS1_10merge_implIS3_NS0_12zip_iteratorINS5_IJN6thrust23THRUST_200600_302600_NS6detail15normal_iteratorINSC_10device_ptrIKfEEEESI_EEEEESK_NSA_INS5_IJNSE_INSF_IfEEEESM_EEEEEPS7_SP_SP_NSC_11hip_rocprim7__merge17predicate_wrapperIffNSC_7greaterIfEEEEEE10hipError_tPvRmT0_T1_T2_T3_T4_T5_mmT6_P12ihipStream_tbEUlT_E_NS1_11comp_targetILNS1_3genE2ELNS1_11target_archE906ELNS1_3gpuE6ELNS1_3repE0EEENS1_30default_config_static_selectorELNS0_4arch9wavefront6targetE0EEEvS10_.num_vgpr, 0
	.set _ZN7rocprim17ROCPRIM_400000_NS6detail17trampoline_kernelINS0_14default_configENS1_21merge_config_selectorINS0_5tupleIJffEEENS0_10empty_typeEEEZNS1_10merge_implIS3_NS0_12zip_iteratorINS5_IJN6thrust23THRUST_200600_302600_NS6detail15normal_iteratorINSC_10device_ptrIKfEEEESI_EEEEESK_NSA_INS5_IJNSE_INSF_IfEEEESM_EEEEEPS7_SP_SP_NSC_11hip_rocprim7__merge17predicate_wrapperIffNSC_7greaterIfEEEEEE10hipError_tPvRmT0_T1_T2_T3_T4_T5_mmT6_P12ihipStream_tbEUlT_E_NS1_11comp_targetILNS1_3genE2ELNS1_11target_archE906ELNS1_3gpuE6ELNS1_3repE0EEENS1_30default_config_static_selectorELNS0_4arch9wavefront6targetE0EEEvS10_.num_agpr, 0
	.set _ZN7rocprim17ROCPRIM_400000_NS6detail17trampoline_kernelINS0_14default_configENS1_21merge_config_selectorINS0_5tupleIJffEEENS0_10empty_typeEEEZNS1_10merge_implIS3_NS0_12zip_iteratorINS5_IJN6thrust23THRUST_200600_302600_NS6detail15normal_iteratorINSC_10device_ptrIKfEEEESI_EEEEESK_NSA_INS5_IJNSE_INSF_IfEEEESM_EEEEEPS7_SP_SP_NSC_11hip_rocprim7__merge17predicate_wrapperIffNSC_7greaterIfEEEEEE10hipError_tPvRmT0_T1_T2_T3_T4_T5_mmT6_P12ihipStream_tbEUlT_E_NS1_11comp_targetILNS1_3genE2ELNS1_11target_archE906ELNS1_3gpuE6ELNS1_3repE0EEENS1_30default_config_static_selectorELNS0_4arch9wavefront6targetE0EEEvS10_.numbered_sgpr, 0
	.set _ZN7rocprim17ROCPRIM_400000_NS6detail17trampoline_kernelINS0_14default_configENS1_21merge_config_selectorINS0_5tupleIJffEEENS0_10empty_typeEEEZNS1_10merge_implIS3_NS0_12zip_iteratorINS5_IJN6thrust23THRUST_200600_302600_NS6detail15normal_iteratorINSC_10device_ptrIKfEEEESI_EEEEESK_NSA_INS5_IJNSE_INSF_IfEEEESM_EEEEEPS7_SP_SP_NSC_11hip_rocprim7__merge17predicate_wrapperIffNSC_7greaterIfEEEEEE10hipError_tPvRmT0_T1_T2_T3_T4_T5_mmT6_P12ihipStream_tbEUlT_E_NS1_11comp_targetILNS1_3genE2ELNS1_11target_archE906ELNS1_3gpuE6ELNS1_3repE0EEENS1_30default_config_static_selectorELNS0_4arch9wavefront6targetE0EEEvS10_.num_named_barrier, 0
	.set _ZN7rocprim17ROCPRIM_400000_NS6detail17trampoline_kernelINS0_14default_configENS1_21merge_config_selectorINS0_5tupleIJffEEENS0_10empty_typeEEEZNS1_10merge_implIS3_NS0_12zip_iteratorINS5_IJN6thrust23THRUST_200600_302600_NS6detail15normal_iteratorINSC_10device_ptrIKfEEEESI_EEEEESK_NSA_INS5_IJNSE_INSF_IfEEEESM_EEEEEPS7_SP_SP_NSC_11hip_rocprim7__merge17predicate_wrapperIffNSC_7greaterIfEEEEEE10hipError_tPvRmT0_T1_T2_T3_T4_T5_mmT6_P12ihipStream_tbEUlT_E_NS1_11comp_targetILNS1_3genE2ELNS1_11target_archE906ELNS1_3gpuE6ELNS1_3repE0EEENS1_30default_config_static_selectorELNS0_4arch9wavefront6targetE0EEEvS10_.private_seg_size, 0
	.set _ZN7rocprim17ROCPRIM_400000_NS6detail17trampoline_kernelINS0_14default_configENS1_21merge_config_selectorINS0_5tupleIJffEEENS0_10empty_typeEEEZNS1_10merge_implIS3_NS0_12zip_iteratorINS5_IJN6thrust23THRUST_200600_302600_NS6detail15normal_iteratorINSC_10device_ptrIKfEEEESI_EEEEESK_NSA_INS5_IJNSE_INSF_IfEEEESM_EEEEEPS7_SP_SP_NSC_11hip_rocprim7__merge17predicate_wrapperIffNSC_7greaterIfEEEEEE10hipError_tPvRmT0_T1_T2_T3_T4_T5_mmT6_P12ihipStream_tbEUlT_E_NS1_11comp_targetILNS1_3genE2ELNS1_11target_archE906ELNS1_3gpuE6ELNS1_3repE0EEENS1_30default_config_static_selectorELNS0_4arch9wavefront6targetE0EEEvS10_.uses_vcc, 0
	.set _ZN7rocprim17ROCPRIM_400000_NS6detail17trampoline_kernelINS0_14default_configENS1_21merge_config_selectorINS0_5tupleIJffEEENS0_10empty_typeEEEZNS1_10merge_implIS3_NS0_12zip_iteratorINS5_IJN6thrust23THRUST_200600_302600_NS6detail15normal_iteratorINSC_10device_ptrIKfEEEESI_EEEEESK_NSA_INS5_IJNSE_INSF_IfEEEESM_EEEEEPS7_SP_SP_NSC_11hip_rocprim7__merge17predicate_wrapperIffNSC_7greaterIfEEEEEE10hipError_tPvRmT0_T1_T2_T3_T4_T5_mmT6_P12ihipStream_tbEUlT_E_NS1_11comp_targetILNS1_3genE2ELNS1_11target_archE906ELNS1_3gpuE6ELNS1_3repE0EEENS1_30default_config_static_selectorELNS0_4arch9wavefront6targetE0EEEvS10_.uses_flat_scratch, 0
	.set _ZN7rocprim17ROCPRIM_400000_NS6detail17trampoline_kernelINS0_14default_configENS1_21merge_config_selectorINS0_5tupleIJffEEENS0_10empty_typeEEEZNS1_10merge_implIS3_NS0_12zip_iteratorINS5_IJN6thrust23THRUST_200600_302600_NS6detail15normal_iteratorINSC_10device_ptrIKfEEEESI_EEEEESK_NSA_INS5_IJNSE_INSF_IfEEEESM_EEEEEPS7_SP_SP_NSC_11hip_rocprim7__merge17predicate_wrapperIffNSC_7greaterIfEEEEEE10hipError_tPvRmT0_T1_T2_T3_T4_T5_mmT6_P12ihipStream_tbEUlT_E_NS1_11comp_targetILNS1_3genE2ELNS1_11target_archE906ELNS1_3gpuE6ELNS1_3repE0EEENS1_30default_config_static_selectorELNS0_4arch9wavefront6targetE0EEEvS10_.has_dyn_sized_stack, 0
	.set _ZN7rocprim17ROCPRIM_400000_NS6detail17trampoline_kernelINS0_14default_configENS1_21merge_config_selectorINS0_5tupleIJffEEENS0_10empty_typeEEEZNS1_10merge_implIS3_NS0_12zip_iteratorINS5_IJN6thrust23THRUST_200600_302600_NS6detail15normal_iteratorINSC_10device_ptrIKfEEEESI_EEEEESK_NSA_INS5_IJNSE_INSF_IfEEEESM_EEEEEPS7_SP_SP_NSC_11hip_rocprim7__merge17predicate_wrapperIffNSC_7greaterIfEEEEEE10hipError_tPvRmT0_T1_T2_T3_T4_T5_mmT6_P12ihipStream_tbEUlT_E_NS1_11comp_targetILNS1_3genE2ELNS1_11target_archE906ELNS1_3gpuE6ELNS1_3repE0EEENS1_30default_config_static_selectorELNS0_4arch9wavefront6targetE0EEEvS10_.has_recursion, 0
	.set _ZN7rocprim17ROCPRIM_400000_NS6detail17trampoline_kernelINS0_14default_configENS1_21merge_config_selectorINS0_5tupleIJffEEENS0_10empty_typeEEEZNS1_10merge_implIS3_NS0_12zip_iteratorINS5_IJN6thrust23THRUST_200600_302600_NS6detail15normal_iteratorINSC_10device_ptrIKfEEEESI_EEEEESK_NSA_INS5_IJNSE_INSF_IfEEEESM_EEEEEPS7_SP_SP_NSC_11hip_rocprim7__merge17predicate_wrapperIffNSC_7greaterIfEEEEEE10hipError_tPvRmT0_T1_T2_T3_T4_T5_mmT6_P12ihipStream_tbEUlT_E_NS1_11comp_targetILNS1_3genE2ELNS1_11target_archE906ELNS1_3gpuE6ELNS1_3repE0EEENS1_30default_config_static_selectorELNS0_4arch9wavefront6targetE0EEEvS10_.has_indirect_call, 0
	.section	.AMDGPU.csdata,"",@progbits
; Kernel info:
; codeLenInByte = 0
; TotalNumSgprs: 0
; NumVgprs: 0
; ScratchSize: 0
; MemoryBound: 0
; FloatMode: 240
; IeeeMode: 1
; LDSByteSize: 0 bytes/workgroup (compile time only)
; SGPRBlocks: 0
; VGPRBlocks: 0
; NumSGPRsForWavesPerEU: 1
; NumVGPRsForWavesPerEU: 1
; Occupancy: 16
; WaveLimiterHint : 0
; COMPUTE_PGM_RSRC2:SCRATCH_EN: 0
; COMPUTE_PGM_RSRC2:USER_SGPR: 6
; COMPUTE_PGM_RSRC2:TRAP_HANDLER: 0
; COMPUTE_PGM_RSRC2:TGID_X_EN: 1
; COMPUTE_PGM_RSRC2:TGID_Y_EN: 0
; COMPUTE_PGM_RSRC2:TGID_Z_EN: 0
; COMPUTE_PGM_RSRC2:TIDIG_COMP_CNT: 0
	.section	.text._ZN7rocprim17ROCPRIM_400000_NS6detail17trampoline_kernelINS0_14default_configENS1_21merge_config_selectorINS0_5tupleIJffEEENS0_10empty_typeEEEZNS1_10merge_implIS3_NS0_12zip_iteratorINS5_IJN6thrust23THRUST_200600_302600_NS6detail15normal_iteratorINSC_10device_ptrIKfEEEESI_EEEEESK_NSA_INS5_IJNSE_INSF_IfEEEESM_EEEEEPS7_SP_SP_NSC_11hip_rocprim7__merge17predicate_wrapperIffNSC_7greaterIfEEEEEE10hipError_tPvRmT0_T1_T2_T3_T4_T5_mmT6_P12ihipStream_tbEUlT_E_NS1_11comp_targetILNS1_3genE10ELNS1_11target_archE1201ELNS1_3gpuE5ELNS1_3repE0EEENS1_30default_config_static_selectorELNS0_4arch9wavefront6targetE0EEEvS10_,"axG",@progbits,_ZN7rocprim17ROCPRIM_400000_NS6detail17trampoline_kernelINS0_14default_configENS1_21merge_config_selectorINS0_5tupleIJffEEENS0_10empty_typeEEEZNS1_10merge_implIS3_NS0_12zip_iteratorINS5_IJN6thrust23THRUST_200600_302600_NS6detail15normal_iteratorINSC_10device_ptrIKfEEEESI_EEEEESK_NSA_INS5_IJNSE_INSF_IfEEEESM_EEEEEPS7_SP_SP_NSC_11hip_rocprim7__merge17predicate_wrapperIffNSC_7greaterIfEEEEEE10hipError_tPvRmT0_T1_T2_T3_T4_T5_mmT6_P12ihipStream_tbEUlT_E_NS1_11comp_targetILNS1_3genE10ELNS1_11target_archE1201ELNS1_3gpuE5ELNS1_3repE0EEENS1_30default_config_static_selectorELNS0_4arch9wavefront6targetE0EEEvS10_,comdat
	.protected	_ZN7rocprim17ROCPRIM_400000_NS6detail17trampoline_kernelINS0_14default_configENS1_21merge_config_selectorINS0_5tupleIJffEEENS0_10empty_typeEEEZNS1_10merge_implIS3_NS0_12zip_iteratorINS5_IJN6thrust23THRUST_200600_302600_NS6detail15normal_iteratorINSC_10device_ptrIKfEEEESI_EEEEESK_NSA_INS5_IJNSE_INSF_IfEEEESM_EEEEEPS7_SP_SP_NSC_11hip_rocprim7__merge17predicate_wrapperIffNSC_7greaterIfEEEEEE10hipError_tPvRmT0_T1_T2_T3_T4_T5_mmT6_P12ihipStream_tbEUlT_E_NS1_11comp_targetILNS1_3genE10ELNS1_11target_archE1201ELNS1_3gpuE5ELNS1_3repE0EEENS1_30default_config_static_selectorELNS0_4arch9wavefront6targetE0EEEvS10_ ; -- Begin function _ZN7rocprim17ROCPRIM_400000_NS6detail17trampoline_kernelINS0_14default_configENS1_21merge_config_selectorINS0_5tupleIJffEEENS0_10empty_typeEEEZNS1_10merge_implIS3_NS0_12zip_iteratorINS5_IJN6thrust23THRUST_200600_302600_NS6detail15normal_iteratorINSC_10device_ptrIKfEEEESI_EEEEESK_NSA_INS5_IJNSE_INSF_IfEEEESM_EEEEEPS7_SP_SP_NSC_11hip_rocprim7__merge17predicate_wrapperIffNSC_7greaterIfEEEEEE10hipError_tPvRmT0_T1_T2_T3_T4_T5_mmT6_P12ihipStream_tbEUlT_E_NS1_11comp_targetILNS1_3genE10ELNS1_11target_archE1201ELNS1_3gpuE5ELNS1_3repE0EEENS1_30default_config_static_selectorELNS0_4arch9wavefront6targetE0EEEvS10_
	.globl	_ZN7rocprim17ROCPRIM_400000_NS6detail17trampoline_kernelINS0_14default_configENS1_21merge_config_selectorINS0_5tupleIJffEEENS0_10empty_typeEEEZNS1_10merge_implIS3_NS0_12zip_iteratorINS5_IJN6thrust23THRUST_200600_302600_NS6detail15normal_iteratorINSC_10device_ptrIKfEEEESI_EEEEESK_NSA_INS5_IJNSE_INSF_IfEEEESM_EEEEEPS7_SP_SP_NSC_11hip_rocprim7__merge17predicate_wrapperIffNSC_7greaterIfEEEEEE10hipError_tPvRmT0_T1_T2_T3_T4_T5_mmT6_P12ihipStream_tbEUlT_E_NS1_11comp_targetILNS1_3genE10ELNS1_11target_archE1201ELNS1_3gpuE5ELNS1_3repE0EEENS1_30default_config_static_selectorELNS0_4arch9wavefront6targetE0EEEvS10_
	.p2align	8
	.type	_ZN7rocprim17ROCPRIM_400000_NS6detail17trampoline_kernelINS0_14default_configENS1_21merge_config_selectorINS0_5tupleIJffEEENS0_10empty_typeEEEZNS1_10merge_implIS3_NS0_12zip_iteratorINS5_IJN6thrust23THRUST_200600_302600_NS6detail15normal_iteratorINSC_10device_ptrIKfEEEESI_EEEEESK_NSA_INS5_IJNSE_INSF_IfEEEESM_EEEEEPS7_SP_SP_NSC_11hip_rocprim7__merge17predicate_wrapperIffNSC_7greaterIfEEEEEE10hipError_tPvRmT0_T1_T2_T3_T4_T5_mmT6_P12ihipStream_tbEUlT_E_NS1_11comp_targetILNS1_3genE10ELNS1_11target_archE1201ELNS1_3gpuE5ELNS1_3repE0EEENS1_30default_config_static_selectorELNS0_4arch9wavefront6targetE0EEEvS10_,@function
_ZN7rocprim17ROCPRIM_400000_NS6detail17trampoline_kernelINS0_14default_configENS1_21merge_config_selectorINS0_5tupleIJffEEENS0_10empty_typeEEEZNS1_10merge_implIS3_NS0_12zip_iteratorINS5_IJN6thrust23THRUST_200600_302600_NS6detail15normal_iteratorINSC_10device_ptrIKfEEEESI_EEEEESK_NSA_INS5_IJNSE_INSF_IfEEEESM_EEEEEPS7_SP_SP_NSC_11hip_rocprim7__merge17predicate_wrapperIffNSC_7greaterIfEEEEEE10hipError_tPvRmT0_T1_T2_T3_T4_T5_mmT6_P12ihipStream_tbEUlT_E_NS1_11comp_targetILNS1_3genE10ELNS1_11target_archE1201ELNS1_3gpuE5ELNS1_3repE0EEENS1_30default_config_static_selectorELNS0_4arch9wavefront6targetE0EEEvS10_: ; @_ZN7rocprim17ROCPRIM_400000_NS6detail17trampoline_kernelINS0_14default_configENS1_21merge_config_selectorINS0_5tupleIJffEEENS0_10empty_typeEEEZNS1_10merge_implIS3_NS0_12zip_iteratorINS5_IJN6thrust23THRUST_200600_302600_NS6detail15normal_iteratorINSC_10device_ptrIKfEEEESI_EEEEESK_NSA_INS5_IJNSE_INSF_IfEEEESM_EEEEEPS7_SP_SP_NSC_11hip_rocprim7__merge17predicate_wrapperIffNSC_7greaterIfEEEEEE10hipError_tPvRmT0_T1_T2_T3_T4_T5_mmT6_P12ihipStream_tbEUlT_E_NS1_11comp_targetILNS1_3genE10ELNS1_11target_archE1201ELNS1_3gpuE5ELNS1_3repE0EEENS1_30default_config_static_selectorELNS0_4arch9wavefront6targetE0EEEvS10_
; %bb.0:
	.section	.rodata,"a",@progbits
	.p2align	6, 0x0
	.amdhsa_kernel _ZN7rocprim17ROCPRIM_400000_NS6detail17trampoline_kernelINS0_14default_configENS1_21merge_config_selectorINS0_5tupleIJffEEENS0_10empty_typeEEEZNS1_10merge_implIS3_NS0_12zip_iteratorINS5_IJN6thrust23THRUST_200600_302600_NS6detail15normal_iteratorINSC_10device_ptrIKfEEEESI_EEEEESK_NSA_INS5_IJNSE_INSF_IfEEEESM_EEEEEPS7_SP_SP_NSC_11hip_rocprim7__merge17predicate_wrapperIffNSC_7greaterIfEEEEEE10hipError_tPvRmT0_T1_T2_T3_T4_T5_mmT6_P12ihipStream_tbEUlT_E_NS1_11comp_targetILNS1_3genE10ELNS1_11target_archE1201ELNS1_3gpuE5ELNS1_3repE0EEENS1_30default_config_static_selectorELNS0_4arch9wavefront6targetE0EEEvS10_
		.amdhsa_group_segment_fixed_size 0
		.amdhsa_private_segment_fixed_size 0
		.amdhsa_kernarg_size 64
		.amdhsa_user_sgpr_count 6
		.amdhsa_user_sgpr_private_segment_buffer 1
		.amdhsa_user_sgpr_dispatch_ptr 0
		.amdhsa_user_sgpr_queue_ptr 0
		.amdhsa_user_sgpr_kernarg_segment_ptr 1
		.amdhsa_user_sgpr_dispatch_id 0
		.amdhsa_user_sgpr_flat_scratch_init 0
		.amdhsa_user_sgpr_private_segment_size 0
		.amdhsa_wavefront_size32 1
		.amdhsa_uses_dynamic_stack 0
		.amdhsa_system_sgpr_private_segment_wavefront_offset 0
		.amdhsa_system_sgpr_workgroup_id_x 1
		.amdhsa_system_sgpr_workgroup_id_y 0
		.amdhsa_system_sgpr_workgroup_id_z 0
		.amdhsa_system_sgpr_workgroup_info 0
		.amdhsa_system_vgpr_workitem_id 0
		.amdhsa_next_free_vgpr 1
		.amdhsa_next_free_sgpr 1
		.amdhsa_reserve_vcc 0
		.amdhsa_reserve_flat_scratch 0
		.amdhsa_float_round_mode_32 0
		.amdhsa_float_round_mode_16_64 0
		.amdhsa_float_denorm_mode_32 3
		.amdhsa_float_denorm_mode_16_64 3
		.amdhsa_dx10_clamp 1
		.amdhsa_ieee_mode 1
		.amdhsa_fp16_overflow 0
		.amdhsa_workgroup_processor_mode 1
		.amdhsa_memory_ordered 1
		.amdhsa_forward_progress 1
		.amdhsa_shared_vgpr_count 0
		.amdhsa_exception_fp_ieee_invalid_op 0
		.amdhsa_exception_fp_denorm_src 0
		.amdhsa_exception_fp_ieee_div_zero 0
		.amdhsa_exception_fp_ieee_overflow 0
		.amdhsa_exception_fp_ieee_underflow 0
		.amdhsa_exception_fp_ieee_inexact 0
		.amdhsa_exception_int_div_zero 0
	.end_amdhsa_kernel
	.section	.text._ZN7rocprim17ROCPRIM_400000_NS6detail17trampoline_kernelINS0_14default_configENS1_21merge_config_selectorINS0_5tupleIJffEEENS0_10empty_typeEEEZNS1_10merge_implIS3_NS0_12zip_iteratorINS5_IJN6thrust23THRUST_200600_302600_NS6detail15normal_iteratorINSC_10device_ptrIKfEEEESI_EEEEESK_NSA_INS5_IJNSE_INSF_IfEEEESM_EEEEEPS7_SP_SP_NSC_11hip_rocprim7__merge17predicate_wrapperIffNSC_7greaterIfEEEEEE10hipError_tPvRmT0_T1_T2_T3_T4_T5_mmT6_P12ihipStream_tbEUlT_E_NS1_11comp_targetILNS1_3genE10ELNS1_11target_archE1201ELNS1_3gpuE5ELNS1_3repE0EEENS1_30default_config_static_selectorELNS0_4arch9wavefront6targetE0EEEvS10_,"axG",@progbits,_ZN7rocprim17ROCPRIM_400000_NS6detail17trampoline_kernelINS0_14default_configENS1_21merge_config_selectorINS0_5tupleIJffEEENS0_10empty_typeEEEZNS1_10merge_implIS3_NS0_12zip_iteratorINS5_IJN6thrust23THRUST_200600_302600_NS6detail15normal_iteratorINSC_10device_ptrIKfEEEESI_EEEEESK_NSA_INS5_IJNSE_INSF_IfEEEESM_EEEEEPS7_SP_SP_NSC_11hip_rocprim7__merge17predicate_wrapperIffNSC_7greaterIfEEEEEE10hipError_tPvRmT0_T1_T2_T3_T4_T5_mmT6_P12ihipStream_tbEUlT_E_NS1_11comp_targetILNS1_3genE10ELNS1_11target_archE1201ELNS1_3gpuE5ELNS1_3repE0EEENS1_30default_config_static_selectorELNS0_4arch9wavefront6targetE0EEEvS10_,comdat
.Lfunc_end340:
	.size	_ZN7rocprim17ROCPRIM_400000_NS6detail17trampoline_kernelINS0_14default_configENS1_21merge_config_selectorINS0_5tupleIJffEEENS0_10empty_typeEEEZNS1_10merge_implIS3_NS0_12zip_iteratorINS5_IJN6thrust23THRUST_200600_302600_NS6detail15normal_iteratorINSC_10device_ptrIKfEEEESI_EEEEESK_NSA_INS5_IJNSE_INSF_IfEEEESM_EEEEEPS7_SP_SP_NSC_11hip_rocprim7__merge17predicate_wrapperIffNSC_7greaterIfEEEEEE10hipError_tPvRmT0_T1_T2_T3_T4_T5_mmT6_P12ihipStream_tbEUlT_E_NS1_11comp_targetILNS1_3genE10ELNS1_11target_archE1201ELNS1_3gpuE5ELNS1_3repE0EEENS1_30default_config_static_selectorELNS0_4arch9wavefront6targetE0EEEvS10_, .Lfunc_end340-_ZN7rocprim17ROCPRIM_400000_NS6detail17trampoline_kernelINS0_14default_configENS1_21merge_config_selectorINS0_5tupleIJffEEENS0_10empty_typeEEEZNS1_10merge_implIS3_NS0_12zip_iteratorINS5_IJN6thrust23THRUST_200600_302600_NS6detail15normal_iteratorINSC_10device_ptrIKfEEEESI_EEEEESK_NSA_INS5_IJNSE_INSF_IfEEEESM_EEEEEPS7_SP_SP_NSC_11hip_rocprim7__merge17predicate_wrapperIffNSC_7greaterIfEEEEEE10hipError_tPvRmT0_T1_T2_T3_T4_T5_mmT6_P12ihipStream_tbEUlT_E_NS1_11comp_targetILNS1_3genE10ELNS1_11target_archE1201ELNS1_3gpuE5ELNS1_3repE0EEENS1_30default_config_static_selectorELNS0_4arch9wavefront6targetE0EEEvS10_
                                        ; -- End function
	.set _ZN7rocprim17ROCPRIM_400000_NS6detail17trampoline_kernelINS0_14default_configENS1_21merge_config_selectorINS0_5tupleIJffEEENS0_10empty_typeEEEZNS1_10merge_implIS3_NS0_12zip_iteratorINS5_IJN6thrust23THRUST_200600_302600_NS6detail15normal_iteratorINSC_10device_ptrIKfEEEESI_EEEEESK_NSA_INS5_IJNSE_INSF_IfEEEESM_EEEEEPS7_SP_SP_NSC_11hip_rocprim7__merge17predicate_wrapperIffNSC_7greaterIfEEEEEE10hipError_tPvRmT0_T1_T2_T3_T4_T5_mmT6_P12ihipStream_tbEUlT_E_NS1_11comp_targetILNS1_3genE10ELNS1_11target_archE1201ELNS1_3gpuE5ELNS1_3repE0EEENS1_30default_config_static_selectorELNS0_4arch9wavefront6targetE0EEEvS10_.num_vgpr, 0
	.set _ZN7rocprim17ROCPRIM_400000_NS6detail17trampoline_kernelINS0_14default_configENS1_21merge_config_selectorINS0_5tupleIJffEEENS0_10empty_typeEEEZNS1_10merge_implIS3_NS0_12zip_iteratorINS5_IJN6thrust23THRUST_200600_302600_NS6detail15normal_iteratorINSC_10device_ptrIKfEEEESI_EEEEESK_NSA_INS5_IJNSE_INSF_IfEEEESM_EEEEEPS7_SP_SP_NSC_11hip_rocprim7__merge17predicate_wrapperIffNSC_7greaterIfEEEEEE10hipError_tPvRmT0_T1_T2_T3_T4_T5_mmT6_P12ihipStream_tbEUlT_E_NS1_11comp_targetILNS1_3genE10ELNS1_11target_archE1201ELNS1_3gpuE5ELNS1_3repE0EEENS1_30default_config_static_selectorELNS0_4arch9wavefront6targetE0EEEvS10_.num_agpr, 0
	.set _ZN7rocprim17ROCPRIM_400000_NS6detail17trampoline_kernelINS0_14default_configENS1_21merge_config_selectorINS0_5tupleIJffEEENS0_10empty_typeEEEZNS1_10merge_implIS3_NS0_12zip_iteratorINS5_IJN6thrust23THRUST_200600_302600_NS6detail15normal_iteratorINSC_10device_ptrIKfEEEESI_EEEEESK_NSA_INS5_IJNSE_INSF_IfEEEESM_EEEEEPS7_SP_SP_NSC_11hip_rocprim7__merge17predicate_wrapperIffNSC_7greaterIfEEEEEE10hipError_tPvRmT0_T1_T2_T3_T4_T5_mmT6_P12ihipStream_tbEUlT_E_NS1_11comp_targetILNS1_3genE10ELNS1_11target_archE1201ELNS1_3gpuE5ELNS1_3repE0EEENS1_30default_config_static_selectorELNS0_4arch9wavefront6targetE0EEEvS10_.numbered_sgpr, 0
	.set _ZN7rocprim17ROCPRIM_400000_NS6detail17trampoline_kernelINS0_14default_configENS1_21merge_config_selectorINS0_5tupleIJffEEENS0_10empty_typeEEEZNS1_10merge_implIS3_NS0_12zip_iteratorINS5_IJN6thrust23THRUST_200600_302600_NS6detail15normal_iteratorINSC_10device_ptrIKfEEEESI_EEEEESK_NSA_INS5_IJNSE_INSF_IfEEEESM_EEEEEPS7_SP_SP_NSC_11hip_rocprim7__merge17predicate_wrapperIffNSC_7greaterIfEEEEEE10hipError_tPvRmT0_T1_T2_T3_T4_T5_mmT6_P12ihipStream_tbEUlT_E_NS1_11comp_targetILNS1_3genE10ELNS1_11target_archE1201ELNS1_3gpuE5ELNS1_3repE0EEENS1_30default_config_static_selectorELNS0_4arch9wavefront6targetE0EEEvS10_.num_named_barrier, 0
	.set _ZN7rocprim17ROCPRIM_400000_NS6detail17trampoline_kernelINS0_14default_configENS1_21merge_config_selectorINS0_5tupleIJffEEENS0_10empty_typeEEEZNS1_10merge_implIS3_NS0_12zip_iteratorINS5_IJN6thrust23THRUST_200600_302600_NS6detail15normal_iteratorINSC_10device_ptrIKfEEEESI_EEEEESK_NSA_INS5_IJNSE_INSF_IfEEEESM_EEEEEPS7_SP_SP_NSC_11hip_rocprim7__merge17predicate_wrapperIffNSC_7greaterIfEEEEEE10hipError_tPvRmT0_T1_T2_T3_T4_T5_mmT6_P12ihipStream_tbEUlT_E_NS1_11comp_targetILNS1_3genE10ELNS1_11target_archE1201ELNS1_3gpuE5ELNS1_3repE0EEENS1_30default_config_static_selectorELNS0_4arch9wavefront6targetE0EEEvS10_.private_seg_size, 0
	.set _ZN7rocprim17ROCPRIM_400000_NS6detail17trampoline_kernelINS0_14default_configENS1_21merge_config_selectorINS0_5tupleIJffEEENS0_10empty_typeEEEZNS1_10merge_implIS3_NS0_12zip_iteratorINS5_IJN6thrust23THRUST_200600_302600_NS6detail15normal_iteratorINSC_10device_ptrIKfEEEESI_EEEEESK_NSA_INS5_IJNSE_INSF_IfEEEESM_EEEEEPS7_SP_SP_NSC_11hip_rocprim7__merge17predicate_wrapperIffNSC_7greaterIfEEEEEE10hipError_tPvRmT0_T1_T2_T3_T4_T5_mmT6_P12ihipStream_tbEUlT_E_NS1_11comp_targetILNS1_3genE10ELNS1_11target_archE1201ELNS1_3gpuE5ELNS1_3repE0EEENS1_30default_config_static_selectorELNS0_4arch9wavefront6targetE0EEEvS10_.uses_vcc, 0
	.set _ZN7rocprim17ROCPRIM_400000_NS6detail17trampoline_kernelINS0_14default_configENS1_21merge_config_selectorINS0_5tupleIJffEEENS0_10empty_typeEEEZNS1_10merge_implIS3_NS0_12zip_iteratorINS5_IJN6thrust23THRUST_200600_302600_NS6detail15normal_iteratorINSC_10device_ptrIKfEEEESI_EEEEESK_NSA_INS5_IJNSE_INSF_IfEEEESM_EEEEEPS7_SP_SP_NSC_11hip_rocprim7__merge17predicate_wrapperIffNSC_7greaterIfEEEEEE10hipError_tPvRmT0_T1_T2_T3_T4_T5_mmT6_P12ihipStream_tbEUlT_E_NS1_11comp_targetILNS1_3genE10ELNS1_11target_archE1201ELNS1_3gpuE5ELNS1_3repE0EEENS1_30default_config_static_selectorELNS0_4arch9wavefront6targetE0EEEvS10_.uses_flat_scratch, 0
	.set _ZN7rocprim17ROCPRIM_400000_NS6detail17trampoline_kernelINS0_14default_configENS1_21merge_config_selectorINS0_5tupleIJffEEENS0_10empty_typeEEEZNS1_10merge_implIS3_NS0_12zip_iteratorINS5_IJN6thrust23THRUST_200600_302600_NS6detail15normal_iteratorINSC_10device_ptrIKfEEEESI_EEEEESK_NSA_INS5_IJNSE_INSF_IfEEEESM_EEEEEPS7_SP_SP_NSC_11hip_rocprim7__merge17predicate_wrapperIffNSC_7greaterIfEEEEEE10hipError_tPvRmT0_T1_T2_T3_T4_T5_mmT6_P12ihipStream_tbEUlT_E_NS1_11comp_targetILNS1_3genE10ELNS1_11target_archE1201ELNS1_3gpuE5ELNS1_3repE0EEENS1_30default_config_static_selectorELNS0_4arch9wavefront6targetE0EEEvS10_.has_dyn_sized_stack, 0
	.set _ZN7rocprim17ROCPRIM_400000_NS6detail17trampoline_kernelINS0_14default_configENS1_21merge_config_selectorINS0_5tupleIJffEEENS0_10empty_typeEEEZNS1_10merge_implIS3_NS0_12zip_iteratorINS5_IJN6thrust23THRUST_200600_302600_NS6detail15normal_iteratorINSC_10device_ptrIKfEEEESI_EEEEESK_NSA_INS5_IJNSE_INSF_IfEEEESM_EEEEEPS7_SP_SP_NSC_11hip_rocprim7__merge17predicate_wrapperIffNSC_7greaterIfEEEEEE10hipError_tPvRmT0_T1_T2_T3_T4_T5_mmT6_P12ihipStream_tbEUlT_E_NS1_11comp_targetILNS1_3genE10ELNS1_11target_archE1201ELNS1_3gpuE5ELNS1_3repE0EEENS1_30default_config_static_selectorELNS0_4arch9wavefront6targetE0EEEvS10_.has_recursion, 0
	.set _ZN7rocprim17ROCPRIM_400000_NS6detail17trampoline_kernelINS0_14default_configENS1_21merge_config_selectorINS0_5tupleIJffEEENS0_10empty_typeEEEZNS1_10merge_implIS3_NS0_12zip_iteratorINS5_IJN6thrust23THRUST_200600_302600_NS6detail15normal_iteratorINSC_10device_ptrIKfEEEESI_EEEEESK_NSA_INS5_IJNSE_INSF_IfEEEESM_EEEEEPS7_SP_SP_NSC_11hip_rocprim7__merge17predicate_wrapperIffNSC_7greaterIfEEEEEE10hipError_tPvRmT0_T1_T2_T3_T4_T5_mmT6_P12ihipStream_tbEUlT_E_NS1_11comp_targetILNS1_3genE10ELNS1_11target_archE1201ELNS1_3gpuE5ELNS1_3repE0EEENS1_30default_config_static_selectorELNS0_4arch9wavefront6targetE0EEEvS10_.has_indirect_call, 0
	.section	.AMDGPU.csdata,"",@progbits
; Kernel info:
; codeLenInByte = 0
; TotalNumSgprs: 0
; NumVgprs: 0
; ScratchSize: 0
; MemoryBound: 0
; FloatMode: 240
; IeeeMode: 1
; LDSByteSize: 0 bytes/workgroup (compile time only)
; SGPRBlocks: 0
; VGPRBlocks: 0
; NumSGPRsForWavesPerEU: 1
; NumVGPRsForWavesPerEU: 1
; Occupancy: 16
; WaveLimiterHint : 0
; COMPUTE_PGM_RSRC2:SCRATCH_EN: 0
; COMPUTE_PGM_RSRC2:USER_SGPR: 6
; COMPUTE_PGM_RSRC2:TRAP_HANDLER: 0
; COMPUTE_PGM_RSRC2:TGID_X_EN: 1
; COMPUTE_PGM_RSRC2:TGID_Y_EN: 0
; COMPUTE_PGM_RSRC2:TGID_Z_EN: 0
; COMPUTE_PGM_RSRC2:TIDIG_COMP_CNT: 0
	.section	.text._ZN7rocprim17ROCPRIM_400000_NS6detail17trampoline_kernelINS0_14default_configENS1_21merge_config_selectorINS0_5tupleIJffEEENS0_10empty_typeEEEZNS1_10merge_implIS3_NS0_12zip_iteratorINS5_IJN6thrust23THRUST_200600_302600_NS6detail15normal_iteratorINSC_10device_ptrIKfEEEESI_EEEEESK_NSA_INS5_IJNSE_INSF_IfEEEESM_EEEEEPS7_SP_SP_NSC_11hip_rocprim7__merge17predicate_wrapperIffNSC_7greaterIfEEEEEE10hipError_tPvRmT0_T1_T2_T3_T4_T5_mmT6_P12ihipStream_tbEUlT_E_NS1_11comp_targetILNS1_3genE10ELNS1_11target_archE1200ELNS1_3gpuE4ELNS1_3repE0EEENS1_30default_config_static_selectorELNS0_4arch9wavefront6targetE0EEEvS10_,"axG",@progbits,_ZN7rocprim17ROCPRIM_400000_NS6detail17trampoline_kernelINS0_14default_configENS1_21merge_config_selectorINS0_5tupleIJffEEENS0_10empty_typeEEEZNS1_10merge_implIS3_NS0_12zip_iteratorINS5_IJN6thrust23THRUST_200600_302600_NS6detail15normal_iteratorINSC_10device_ptrIKfEEEESI_EEEEESK_NSA_INS5_IJNSE_INSF_IfEEEESM_EEEEEPS7_SP_SP_NSC_11hip_rocprim7__merge17predicate_wrapperIffNSC_7greaterIfEEEEEE10hipError_tPvRmT0_T1_T2_T3_T4_T5_mmT6_P12ihipStream_tbEUlT_E_NS1_11comp_targetILNS1_3genE10ELNS1_11target_archE1200ELNS1_3gpuE4ELNS1_3repE0EEENS1_30default_config_static_selectorELNS0_4arch9wavefront6targetE0EEEvS10_,comdat
	.protected	_ZN7rocprim17ROCPRIM_400000_NS6detail17trampoline_kernelINS0_14default_configENS1_21merge_config_selectorINS0_5tupleIJffEEENS0_10empty_typeEEEZNS1_10merge_implIS3_NS0_12zip_iteratorINS5_IJN6thrust23THRUST_200600_302600_NS6detail15normal_iteratorINSC_10device_ptrIKfEEEESI_EEEEESK_NSA_INS5_IJNSE_INSF_IfEEEESM_EEEEEPS7_SP_SP_NSC_11hip_rocprim7__merge17predicate_wrapperIffNSC_7greaterIfEEEEEE10hipError_tPvRmT0_T1_T2_T3_T4_T5_mmT6_P12ihipStream_tbEUlT_E_NS1_11comp_targetILNS1_3genE10ELNS1_11target_archE1200ELNS1_3gpuE4ELNS1_3repE0EEENS1_30default_config_static_selectorELNS0_4arch9wavefront6targetE0EEEvS10_ ; -- Begin function _ZN7rocprim17ROCPRIM_400000_NS6detail17trampoline_kernelINS0_14default_configENS1_21merge_config_selectorINS0_5tupleIJffEEENS0_10empty_typeEEEZNS1_10merge_implIS3_NS0_12zip_iteratorINS5_IJN6thrust23THRUST_200600_302600_NS6detail15normal_iteratorINSC_10device_ptrIKfEEEESI_EEEEESK_NSA_INS5_IJNSE_INSF_IfEEEESM_EEEEEPS7_SP_SP_NSC_11hip_rocprim7__merge17predicate_wrapperIffNSC_7greaterIfEEEEEE10hipError_tPvRmT0_T1_T2_T3_T4_T5_mmT6_P12ihipStream_tbEUlT_E_NS1_11comp_targetILNS1_3genE10ELNS1_11target_archE1200ELNS1_3gpuE4ELNS1_3repE0EEENS1_30default_config_static_selectorELNS0_4arch9wavefront6targetE0EEEvS10_
	.globl	_ZN7rocprim17ROCPRIM_400000_NS6detail17trampoline_kernelINS0_14default_configENS1_21merge_config_selectorINS0_5tupleIJffEEENS0_10empty_typeEEEZNS1_10merge_implIS3_NS0_12zip_iteratorINS5_IJN6thrust23THRUST_200600_302600_NS6detail15normal_iteratorINSC_10device_ptrIKfEEEESI_EEEEESK_NSA_INS5_IJNSE_INSF_IfEEEESM_EEEEEPS7_SP_SP_NSC_11hip_rocprim7__merge17predicate_wrapperIffNSC_7greaterIfEEEEEE10hipError_tPvRmT0_T1_T2_T3_T4_T5_mmT6_P12ihipStream_tbEUlT_E_NS1_11comp_targetILNS1_3genE10ELNS1_11target_archE1200ELNS1_3gpuE4ELNS1_3repE0EEENS1_30default_config_static_selectorELNS0_4arch9wavefront6targetE0EEEvS10_
	.p2align	8
	.type	_ZN7rocprim17ROCPRIM_400000_NS6detail17trampoline_kernelINS0_14default_configENS1_21merge_config_selectorINS0_5tupleIJffEEENS0_10empty_typeEEEZNS1_10merge_implIS3_NS0_12zip_iteratorINS5_IJN6thrust23THRUST_200600_302600_NS6detail15normal_iteratorINSC_10device_ptrIKfEEEESI_EEEEESK_NSA_INS5_IJNSE_INSF_IfEEEESM_EEEEEPS7_SP_SP_NSC_11hip_rocprim7__merge17predicate_wrapperIffNSC_7greaterIfEEEEEE10hipError_tPvRmT0_T1_T2_T3_T4_T5_mmT6_P12ihipStream_tbEUlT_E_NS1_11comp_targetILNS1_3genE10ELNS1_11target_archE1200ELNS1_3gpuE4ELNS1_3repE0EEENS1_30default_config_static_selectorELNS0_4arch9wavefront6targetE0EEEvS10_,@function
_ZN7rocprim17ROCPRIM_400000_NS6detail17trampoline_kernelINS0_14default_configENS1_21merge_config_selectorINS0_5tupleIJffEEENS0_10empty_typeEEEZNS1_10merge_implIS3_NS0_12zip_iteratorINS5_IJN6thrust23THRUST_200600_302600_NS6detail15normal_iteratorINSC_10device_ptrIKfEEEESI_EEEEESK_NSA_INS5_IJNSE_INSF_IfEEEESM_EEEEEPS7_SP_SP_NSC_11hip_rocprim7__merge17predicate_wrapperIffNSC_7greaterIfEEEEEE10hipError_tPvRmT0_T1_T2_T3_T4_T5_mmT6_P12ihipStream_tbEUlT_E_NS1_11comp_targetILNS1_3genE10ELNS1_11target_archE1200ELNS1_3gpuE4ELNS1_3repE0EEENS1_30default_config_static_selectorELNS0_4arch9wavefront6targetE0EEEvS10_: ; @_ZN7rocprim17ROCPRIM_400000_NS6detail17trampoline_kernelINS0_14default_configENS1_21merge_config_selectorINS0_5tupleIJffEEENS0_10empty_typeEEEZNS1_10merge_implIS3_NS0_12zip_iteratorINS5_IJN6thrust23THRUST_200600_302600_NS6detail15normal_iteratorINSC_10device_ptrIKfEEEESI_EEEEESK_NSA_INS5_IJNSE_INSF_IfEEEESM_EEEEEPS7_SP_SP_NSC_11hip_rocprim7__merge17predicate_wrapperIffNSC_7greaterIfEEEEEE10hipError_tPvRmT0_T1_T2_T3_T4_T5_mmT6_P12ihipStream_tbEUlT_E_NS1_11comp_targetILNS1_3genE10ELNS1_11target_archE1200ELNS1_3gpuE4ELNS1_3repE0EEENS1_30default_config_static_selectorELNS0_4arch9wavefront6targetE0EEEvS10_
; %bb.0:
	.section	.rodata,"a",@progbits
	.p2align	6, 0x0
	.amdhsa_kernel _ZN7rocprim17ROCPRIM_400000_NS6detail17trampoline_kernelINS0_14default_configENS1_21merge_config_selectorINS0_5tupleIJffEEENS0_10empty_typeEEEZNS1_10merge_implIS3_NS0_12zip_iteratorINS5_IJN6thrust23THRUST_200600_302600_NS6detail15normal_iteratorINSC_10device_ptrIKfEEEESI_EEEEESK_NSA_INS5_IJNSE_INSF_IfEEEESM_EEEEEPS7_SP_SP_NSC_11hip_rocprim7__merge17predicate_wrapperIffNSC_7greaterIfEEEEEE10hipError_tPvRmT0_T1_T2_T3_T4_T5_mmT6_P12ihipStream_tbEUlT_E_NS1_11comp_targetILNS1_3genE10ELNS1_11target_archE1200ELNS1_3gpuE4ELNS1_3repE0EEENS1_30default_config_static_selectorELNS0_4arch9wavefront6targetE0EEEvS10_
		.amdhsa_group_segment_fixed_size 0
		.amdhsa_private_segment_fixed_size 0
		.amdhsa_kernarg_size 64
		.amdhsa_user_sgpr_count 6
		.amdhsa_user_sgpr_private_segment_buffer 1
		.amdhsa_user_sgpr_dispatch_ptr 0
		.amdhsa_user_sgpr_queue_ptr 0
		.amdhsa_user_sgpr_kernarg_segment_ptr 1
		.amdhsa_user_sgpr_dispatch_id 0
		.amdhsa_user_sgpr_flat_scratch_init 0
		.amdhsa_user_sgpr_private_segment_size 0
		.amdhsa_wavefront_size32 1
		.amdhsa_uses_dynamic_stack 0
		.amdhsa_system_sgpr_private_segment_wavefront_offset 0
		.amdhsa_system_sgpr_workgroup_id_x 1
		.amdhsa_system_sgpr_workgroup_id_y 0
		.amdhsa_system_sgpr_workgroup_id_z 0
		.amdhsa_system_sgpr_workgroup_info 0
		.amdhsa_system_vgpr_workitem_id 0
		.amdhsa_next_free_vgpr 1
		.amdhsa_next_free_sgpr 1
		.amdhsa_reserve_vcc 0
		.amdhsa_reserve_flat_scratch 0
		.amdhsa_float_round_mode_32 0
		.amdhsa_float_round_mode_16_64 0
		.amdhsa_float_denorm_mode_32 3
		.amdhsa_float_denorm_mode_16_64 3
		.amdhsa_dx10_clamp 1
		.amdhsa_ieee_mode 1
		.amdhsa_fp16_overflow 0
		.amdhsa_workgroup_processor_mode 1
		.amdhsa_memory_ordered 1
		.amdhsa_forward_progress 1
		.amdhsa_shared_vgpr_count 0
		.amdhsa_exception_fp_ieee_invalid_op 0
		.amdhsa_exception_fp_denorm_src 0
		.amdhsa_exception_fp_ieee_div_zero 0
		.amdhsa_exception_fp_ieee_overflow 0
		.amdhsa_exception_fp_ieee_underflow 0
		.amdhsa_exception_fp_ieee_inexact 0
		.amdhsa_exception_int_div_zero 0
	.end_amdhsa_kernel
	.section	.text._ZN7rocprim17ROCPRIM_400000_NS6detail17trampoline_kernelINS0_14default_configENS1_21merge_config_selectorINS0_5tupleIJffEEENS0_10empty_typeEEEZNS1_10merge_implIS3_NS0_12zip_iteratorINS5_IJN6thrust23THRUST_200600_302600_NS6detail15normal_iteratorINSC_10device_ptrIKfEEEESI_EEEEESK_NSA_INS5_IJNSE_INSF_IfEEEESM_EEEEEPS7_SP_SP_NSC_11hip_rocprim7__merge17predicate_wrapperIffNSC_7greaterIfEEEEEE10hipError_tPvRmT0_T1_T2_T3_T4_T5_mmT6_P12ihipStream_tbEUlT_E_NS1_11comp_targetILNS1_3genE10ELNS1_11target_archE1200ELNS1_3gpuE4ELNS1_3repE0EEENS1_30default_config_static_selectorELNS0_4arch9wavefront6targetE0EEEvS10_,"axG",@progbits,_ZN7rocprim17ROCPRIM_400000_NS6detail17trampoline_kernelINS0_14default_configENS1_21merge_config_selectorINS0_5tupleIJffEEENS0_10empty_typeEEEZNS1_10merge_implIS3_NS0_12zip_iteratorINS5_IJN6thrust23THRUST_200600_302600_NS6detail15normal_iteratorINSC_10device_ptrIKfEEEESI_EEEEESK_NSA_INS5_IJNSE_INSF_IfEEEESM_EEEEEPS7_SP_SP_NSC_11hip_rocprim7__merge17predicate_wrapperIffNSC_7greaterIfEEEEEE10hipError_tPvRmT0_T1_T2_T3_T4_T5_mmT6_P12ihipStream_tbEUlT_E_NS1_11comp_targetILNS1_3genE10ELNS1_11target_archE1200ELNS1_3gpuE4ELNS1_3repE0EEENS1_30default_config_static_selectorELNS0_4arch9wavefront6targetE0EEEvS10_,comdat
.Lfunc_end341:
	.size	_ZN7rocprim17ROCPRIM_400000_NS6detail17trampoline_kernelINS0_14default_configENS1_21merge_config_selectorINS0_5tupleIJffEEENS0_10empty_typeEEEZNS1_10merge_implIS3_NS0_12zip_iteratorINS5_IJN6thrust23THRUST_200600_302600_NS6detail15normal_iteratorINSC_10device_ptrIKfEEEESI_EEEEESK_NSA_INS5_IJNSE_INSF_IfEEEESM_EEEEEPS7_SP_SP_NSC_11hip_rocprim7__merge17predicate_wrapperIffNSC_7greaterIfEEEEEE10hipError_tPvRmT0_T1_T2_T3_T4_T5_mmT6_P12ihipStream_tbEUlT_E_NS1_11comp_targetILNS1_3genE10ELNS1_11target_archE1200ELNS1_3gpuE4ELNS1_3repE0EEENS1_30default_config_static_selectorELNS0_4arch9wavefront6targetE0EEEvS10_, .Lfunc_end341-_ZN7rocprim17ROCPRIM_400000_NS6detail17trampoline_kernelINS0_14default_configENS1_21merge_config_selectorINS0_5tupleIJffEEENS0_10empty_typeEEEZNS1_10merge_implIS3_NS0_12zip_iteratorINS5_IJN6thrust23THRUST_200600_302600_NS6detail15normal_iteratorINSC_10device_ptrIKfEEEESI_EEEEESK_NSA_INS5_IJNSE_INSF_IfEEEESM_EEEEEPS7_SP_SP_NSC_11hip_rocprim7__merge17predicate_wrapperIffNSC_7greaterIfEEEEEE10hipError_tPvRmT0_T1_T2_T3_T4_T5_mmT6_P12ihipStream_tbEUlT_E_NS1_11comp_targetILNS1_3genE10ELNS1_11target_archE1200ELNS1_3gpuE4ELNS1_3repE0EEENS1_30default_config_static_selectorELNS0_4arch9wavefront6targetE0EEEvS10_
                                        ; -- End function
	.set _ZN7rocprim17ROCPRIM_400000_NS6detail17trampoline_kernelINS0_14default_configENS1_21merge_config_selectorINS0_5tupleIJffEEENS0_10empty_typeEEEZNS1_10merge_implIS3_NS0_12zip_iteratorINS5_IJN6thrust23THRUST_200600_302600_NS6detail15normal_iteratorINSC_10device_ptrIKfEEEESI_EEEEESK_NSA_INS5_IJNSE_INSF_IfEEEESM_EEEEEPS7_SP_SP_NSC_11hip_rocprim7__merge17predicate_wrapperIffNSC_7greaterIfEEEEEE10hipError_tPvRmT0_T1_T2_T3_T4_T5_mmT6_P12ihipStream_tbEUlT_E_NS1_11comp_targetILNS1_3genE10ELNS1_11target_archE1200ELNS1_3gpuE4ELNS1_3repE0EEENS1_30default_config_static_selectorELNS0_4arch9wavefront6targetE0EEEvS10_.num_vgpr, 0
	.set _ZN7rocprim17ROCPRIM_400000_NS6detail17trampoline_kernelINS0_14default_configENS1_21merge_config_selectorINS0_5tupleIJffEEENS0_10empty_typeEEEZNS1_10merge_implIS3_NS0_12zip_iteratorINS5_IJN6thrust23THRUST_200600_302600_NS6detail15normal_iteratorINSC_10device_ptrIKfEEEESI_EEEEESK_NSA_INS5_IJNSE_INSF_IfEEEESM_EEEEEPS7_SP_SP_NSC_11hip_rocprim7__merge17predicate_wrapperIffNSC_7greaterIfEEEEEE10hipError_tPvRmT0_T1_T2_T3_T4_T5_mmT6_P12ihipStream_tbEUlT_E_NS1_11comp_targetILNS1_3genE10ELNS1_11target_archE1200ELNS1_3gpuE4ELNS1_3repE0EEENS1_30default_config_static_selectorELNS0_4arch9wavefront6targetE0EEEvS10_.num_agpr, 0
	.set _ZN7rocprim17ROCPRIM_400000_NS6detail17trampoline_kernelINS0_14default_configENS1_21merge_config_selectorINS0_5tupleIJffEEENS0_10empty_typeEEEZNS1_10merge_implIS3_NS0_12zip_iteratorINS5_IJN6thrust23THRUST_200600_302600_NS6detail15normal_iteratorINSC_10device_ptrIKfEEEESI_EEEEESK_NSA_INS5_IJNSE_INSF_IfEEEESM_EEEEEPS7_SP_SP_NSC_11hip_rocprim7__merge17predicate_wrapperIffNSC_7greaterIfEEEEEE10hipError_tPvRmT0_T1_T2_T3_T4_T5_mmT6_P12ihipStream_tbEUlT_E_NS1_11comp_targetILNS1_3genE10ELNS1_11target_archE1200ELNS1_3gpuE4ELNS1_3repE0EEENS1_30default_config_static_selectorELNS0_4arch9wavefront6targetE0EEEvS10_.numbered_sgpr, 0
	.set _ZN7rocprim17ROCPRIM_400000_NS6detail17trampoline_kernelINS0_14default_configENS1_21merge_config_selectorINS0_5tupleIJffEEENS0_10empty_typeEEEZNS1_10merge_implIS3_NS0_12zip_iteratorINS5_IJN6thrust23THRUST_200600_302600_NS6detail15normal_iteratorINSC_10device_ptrIKfEEEESI_EEEEESK_NSA_INS5_IJNSE_INSF_IfEEEESM_EEEEEPS7_SP_SP_NSC_11hip_rocprim7__merge17predicate_wrapperIffNSC_7greaterIfEEEEEE10hipError_tPvRmT0_T1_T2_T3_T4_T5_mmT6_P12ihipStream_tbEUlT_E_NS1_11comp_targetILNS1_3genE10ELNS1_11target_archE1200ELNS1_3gpuE4ELNS1_3repE0EEENS1_30default_config_static_selectorELNS0_4arch9wavefront6targetE0EEEvS10_.num_named_barrier, 0
	.set _ZN7rocprim17ROCPRIM_400000_NS6detail17trampoline_kernelINS0_14default_configENS1_21merge_config_selectorINS0_5tupleIJffEEENS0_10empty_typeEEEZNS1_10merge_implIS3_NS0_12zip_iteratorINS5_IJN6thrust23THRUST_200600_302600_NS6detail15normal_iteratorINSC_10device_ptrIKfEEEESI_EEEEESK_NSA_INS5_IJNSE_INSF_IfEEEESM_EEEEEPS7_SP_SP_NSC_11hip_rocprim7__merge17predicate_wrapperIffNSC_7greaterIfEEEEEE10hipError_tPvRmT0_T1_T2_T3_T4_T5_mmT6_P12ihipStream_tbEUlT_E_NS1_11comp_targetILNS1_3genE10ELNS1_11target_archE1200ELNS1_3gpuE4ELNS1_3repE0EEENS1_30default_config_static_selectorELNS0_4arch9wavefront6targetE0EEEvS10_.private_seg_size, 0
	.set _ZN7rocprim17ROCPRIM_400000_NS6detail17trampoline_kernelINS0_14default_configENS1_21merge_config_selectorINS0_5tupleIJffEEENS0_10empty_typeEEEZNS1_10merge_implIS3_NS0_12zip_iteratorINS5_IJN6thrust23THRUST_200600_302600_NS6detail15normal_iteratorINSC_10device_ptrIKfEEEESI_EEEEESK_NSA_INS5_IJNSE_INSF_IfEEEESM_EEEEEPS7_SP_SP_NSC_11hip_rocprim7__merge17predicate_wrapperIffNSC_7greaterIfEEEEEE10hipError_tPvRmT0_T1_T2_T3_T4_T5_mmT6_P12ihipStream_tbEUlT_E_NS1_11comp_targetILNS1_3genE10ELNS1_11target_archE1200ELNS1_3gpuE4ELNS1_3repE0EEENS1_30default_config_static_selectorELNS0_4arch9wavefront6targetE0EEEvS10_.uses_vcc, 0
	.set _ZN7rocprim17ROCPRIM_400000_NS6detail17trampoline_kernelINS0_14default_configENS1_21merge_config_selectorINS0_5tupleIJffEEENS0_10empty_typeEEEZNS1_10merge_implIS3_NS0_12zip_iteratorINS5_IJN6thrust23THRUST_200600_302600_NS6detail15normal_iteratorINSC_10device_ptrIKfEEEESI_EEEEESK_NSA_INS5_IJNSE_INSF_IfEEEESM_EEEEEPS7_SP_SP_NSC_11hip_rocprim7__merge17predicate_wrapperIffNSC_7greaterIfEEEEEE10hipError_tPvRmT0_T1_T2_T3_T4_T5_mmT6_P12ihipStream_tbEUlT_E_NS1_11comp_targetILNS1_3genE10ELNS1_11target_archE1200ELNS1_3gpuE4ELNS1_3repE0EEENS1_30default_config_static_selectorELNS0_4arch9wavefront6targetE0EEEvS10_.uses_flat_scratch, 0
	.set _ZN7rocprim17ROCPRIM_400000_NS6detail17trampoline_kernelINS0_14default_configENS1_21merge_config_selectorINS0_5tupleIJffEEENS0_10empty_typeEEEZNS1_10merge_implIS3_NS0_12zip_iteratorINS5_IJN6thrust23THRUST_200600_302600_NS6detail15normal_iteratorINSC_10device_ptrIKfEEEESI_EEEEESK_NSA_INS5_IJNSE_INSF_IfEEEESM_EEEEEPS7_SP_SP_NSC_11hip_rocprim7__merge17predicate_wrapperIffNSC_7greaterIfEEEEEE10hipError_tPvRmT0_T1_T2_T3_T4_T5_mmT6_P12ihipStream_tbEUlT_E_NS1_11comp_targetILNS1_3genE10ELNS1_11target_archE1200ELNS1_3gpuE4ELNS1_3repE0EEENS1_30default_config_static_selectorELNS0_4arch9wavefront6targetE0EEEvS10_.has_dyn_sized_stack, 0
	.set _ZN7rocprim17ROCPRIM_400000_NS6detail17trampoline_kernelINS0_14default_configENS1_21merge_config_selectorINS0_5tupleIJffEEENS0_10empty_typeEEEZNS1_10merge_implIS3_NS0_12zip_iteratorINS5_IJN6thrust23THRUST_200600_302600_NS6detail15normal_iteratorINSC_10device_ptrIKfEEEESI_EEEEESK_NSA_INS5_IJNSE_INSF_IfEEEESM_EEEEEPS7_SP_SP_NSC_11hip_rocprim7__merge17predicate_wrapperIffNSC_7greaterIfEEEEEE10hipError_tPvRmT0_T1_T2_T3_T4_T5_mmT6_P12ihipStream_tbEUlT_E_NS1_11comp_targetILNS1_3genE10ELNS1_11target_archE1200ELNS1_3gpuE4ELNS1_3repE0EEENS1_30default_config_static_selectorELNS0_4arch9wavefront6targetE0EEEvS10_.has_recursion, 0
	.set _ZN7rocprim17ROCPRIM_400000_NS6detail17trampoline_kernelINS0_14default_configENS1_21merge_config_selectorINS0_5tupleIJffEEENS0_10empty_typeEEEZNS1_10merge_implIS3_NS0_12zip_iteratorINS5_IJN6thrust23THRUST_200600_302600_NS6detail15normal_iteratorINSC_10device_ptrIKfEEEESI_EEEEESK_NSA_INS5_IJNSE_INSF_IfEEEESM_EEEEEPS7_SP_SP_NSC_11hip_rocprim7__merge17predicate_wrapperIffNSC_7greaterIfEEEEEE10hipError_tPvRmT0_T1_T2_T3_T4_T5_mmT6_P12ihipStream_tbEUlT_E_NS1_11comp_targetILNS1_3genE10ELNS1_11target_archE1200ELNS1_3gpuE4ELNS1_3repE0EEENS1_30default_config_static_selectorELNS0_4arch9wavefront6targetE0EEEvS10_.has_indirect_call, 0
	.section	.AMDGPU.csdata,"",@progbits
; Kernel info:
; codeLenInByte = 0
; TotalNumSgprs: 0
; NumVgprs: 0
; ScratchSize: 0
; MemoryBound: 0
; FloatMode: 240
; IeeeMode: 1
; LDSByteSize: 0 bytes/workgroup (compile time only)
; SGPRBlocks: 0
; VGPRBlocks: 0
; NumSGPRsForWavesPerEU: 1
; NumVGPRsForWavesPerEU: 1
; Occupancy: 16
; WaveLimiterHint : 0
; COMPUTE_PGM_RSRC2:SCRATCH_EN: 0
; COMPUTE_PGM_RSRC2:USER_SGPR: 6
; COMPUTE_PGM_RSRC2:TRAP_HANDLER: 0
; COMPUTE_PGM_RSRC2:TGID_X_EN: 1
; COMPUTE_PGM_RSRC2:TGID_Y_EN: 0
; COMPUTE_PGM_RSRC2:TGID_Z_EN: 0
; COMPUTE_PGM_RSRC2:TIDIG_COMP_CNT: 0
	.section	.text._ZN7rocprim17ROCPRIM_400000_NS6detail17trampoline_kernelINS0_14default_configENS1_21merge_config_selectorINS0_5tupleIJffEEENS0_10empty_typeEEEZNS1_10merge_implIS3_NS0_12zip_iteratorINS5_IJN6thrust23THRUST_200600_302600_NS6detail15normal_iteratorINSC_10device_ptrIKfEEEESI_EEEEESK_NSA_INS5_IJNSE_INSF_IfEEEESM_EEEEEPS7_SP_SP_NSC_11hip_rocprim7__merge17predicate_wrapperIffNSC_7greaterIfEEEEEE10hipError_tPvRmT0_T1_T2_T3_T4_T5_mmT6_P12ihipStream_tbEUlT_E_NS1_11comp_targetILNS1_3genE9ELNS1_11target_archE1100ELNS1_3gpuE3ELNS1_3repE0EEENS1_30default_config_static_selectorELNS0_4arch9wavefront6targetE0EEEvS10_,"axG",@progbits,_ZN7rocprim17ROCPRIM_400000_NS6detail17trampoline_kernelINS0_14default_configENS1_21merge_config_selectorINS0_5tupleIJffEEENS0_10empty_typeEEEZNS1_10merge_implIS3_NS0_12zip_iteratorINS5_IJN6thrust23THRUST_200600_302600_NS6detail15normal_iteratorINSC_10device_ptrIKfEEEESI_EEEEESK_NSA_INS5_IJNSE_INSF_IfEEEESM_EEEEEPS7_SP_SP_NSC_11hip_rocprim7__merge17predicate_wrapperIffNSC_7greaterIfEEEEEE10hipError_tPvRmT0_T1_T2_T3_T4_T5_mmT6_P12ihipStream_tbEUlT_E_NS1_11comp_targetILNS1_3genE9ELNS1_11target_archE1100ELNS1_3gpuE3ELNS1_3repE0EEENS1_30default_config_static_selectorELNS0_4arch9wavefront6targetE0EEEvS10_,comdat
	.protected	_ZN7rocprim17ROCPRIM_400000_NS6detail17trampoline_kernelINS0_14default_configENS1_21merge_config_selectorINS0_5tupleIJffEEENS0_10empty_typeEEEZNS1_10merge_implIS3_NS0_12zip_iteratorINS5_IJN6thrust23THRUST_200600_302600_NS6detail15normal_iteratorINSC_10device_ptrIKfEEEESI_EEEEESK_NSA_INS5_IJNSE_INSF_IfEEEESM_EEEEEPS7_SP_SP_NSC_11hip_rocprim7__merge17predicate_wrapperIffNSC_7greaterIfEEEEEE10hipError_tPvRmT0_T1_T2_T3_T4_T5_mmT6_P12ihipStream_tbEUlT_E_NS1_11comp_targetILNS1_3genE9ELNS1_11target_archE1100ELNS1_3gpuE3ELNS1_3repE0EEENS1_30default_config_static_selectorELNS0_4arch9wavefront6targetE0EEEvS10_ ; -- Begin function _ZN7rocprim17ROCPRIM_400000_NS6detail17trampoline_kernelINS0_14default_configENS1_21merge_config_selectorINS0_5tupleIJffEEENS0_10empty_typeEEEZNS1_10merge_implIS3_NS0_12zip_iteratorINS5_IJN6thrust23THRUST_200600_302600_NS6detail15normal_iteratorINSC_10device_ptrIKfEEEESI_EEEEESK_NSA_INS5_IJNSE_INSF_IfEEEESM_EEEEEPS7_SP_SP_NSC_11hip_rocprim7__merge17predicate_wrapperIffNSC_7greaterIfEEEEEE10hipError_tPvRmT0_T1_T2_T3_T4_T5_mmT6_P12ihipStream_tbEUlT_E_NS1_11comp_targetILNS1_3genE9ELNS1_11target_archE1100ELNS1_3gpuE3ELNS1_3repE0EEENS1_30default_config_static_selectorELNS0_4arch9wavefront6targetE0EEEvS10_
	.globl	_ZN7rocprim17ROCPRIM_400000_NS6detail17trampoline_kernelINS0_14default_configENS1_21merge_config_selectorINS0_5tupleIJffEEENS0_10empty_typeEEEZNS1_10merge_implIS3_NS0_12zip_iteratorINS5_IJN6thrust23THRUST_200600_302600_NS6detail15normal_iteratorINSC_10device_ptrIKfEEEESI_EEEEESK_NSA_INS5_IJNSE_INSF_IfEEEESM_EEEEEPS7_SP_SP_NSC_11hip_rocprim7__merge17predicate_wrapperIffNSC_7greaterIfEEEEEE10hipError_tPvRmT0_T1_T2_T3_T4_T5_mmT6_P12ihipStream_tbEUlT_E_NS1_11comp_targetILNS1_3genE9ELNS1_11target_archE1100ELNS1_3gpuE3ELNS1_3repE0EEENS1_30default_config_static_selectorELNS0_4arch9wavefront6targetE0EEEvS10_
	.p2align	8
	.type	_ZN7rocprim17ROCPRIM_400000_NS6detail17trampoline_kernelINS0_14default_configENS1_21merge_config_selectorINS0_5tupleIJffEEENS0_10empty_typeEEEZNS1_10merge_implIS3_NS0_12zip_iteratorINS5_IJN6thrust23THRUST_200600_302600_NS6detail15normal_iteratorINSC_10device_ptrIKfEEEESI_EEEEESK_NSA_INS5_IJNSE_INSF_IfEEEESM_EEEEEPS7_SP_SP_NSC_11hip_rocprim7__merge17predicate_wrapperIffNSC_7greaterIfEEEEEE10hipError_tPvRmT0_T1_T2_T3_T4_T5_mmT6_P12ihipStream_tbEUlT_E_NS1_11comp_targetILNS1_3genE9ELNS1_11target_archE1100ELNS1_3gpuE3ELNS1_3repE0EEENS1_30default_config_static_selectorELNS0_4arch9wavefront6targetE0EEEvS10_,@function
_ZN7rocprim17ROCPRIM_400000_NS6detail17trampoline_kernelINS0_14default_configENS1_21merge_config_selectorINS0_5tupleIJffEEENS0_10empty_typeEEEZNS1_10merge_implIS3_NS0_12zip_iteratorINS5_IJN6thrust23THRUST_200600_302600_NS6detail15normal_iteratorINSC_10device_ptrIKfEEEESI_EEEEESK_NSA_INS5_IJNSE_INSF_IfEEEESM_EEEEEPS7_SP_SP_NSC_11hip_rocprim7__merge17predicate_wrapperIffNSC_7greaterIfEEEEEE10hipError_tPvRmT0_T1_T2_T3_T4_T5_mmT6_P12ihipStream_tbEUlT_E_NS1_11comp_targetILNS1_3genE9ELNS1_11target_archE1100ELNS1_3gpuE3ELNS1_3repE0EEENS1_30default_config_static_selectorELNS0_4arch9wavefront6targetE0EEEvS10_: ; @_ZN7rocprim17ROCPRIM_400000_NS6detail17trampoline_kernelINS0_14default_configENS1_21merge_config_selectorINS0_5tupleIJffEEENS0_10empty_typeEEEZNS1_10merge_implIS3_NS0_12zip_iteratorINS5_IJN6thrust23THRUST_200600_302600_NS6detail15normal_iteratorINSC_10device_ptrIKfEEEESI_EEEEESK_NSA_INS5_IJNSE_INSF_IfEEEESM_EEEEEPS7_SP_SP_NSC_11hip_rocprim7__merge17predicate_wrapperIffNSC_7greaterIfEEEEEE10hipError_tPvRmT0_T1_T2_T3_T4_T5_mmT6_P12ihipStream_tbEUlT_E_NS1_11comp_targetILNS1_3genE9ELNS1_11target_archE1100ELNS1_3gpuE3ELNS1_3repE0EEENS1_30default_config_static_selectorELNS0_4arch9wavefront6targetE0EEEvS10_
; %bb.0:
	.section	.rodata,"a",@progbits
	.p2align	6, 0x0
	.amdhsa_kernel _ZN7rocprim17ROCPRIM_400000_NS6detail17trampoline_kernelINS0_14default_configENS1_21merge_config_selectorINS0_5tupleIJffEEENS0_10empty_typeEEEZNS1_10merge_implIS3_NS0_12zip_iteratorINS5_IJN6thrust23THRUST_200600_302600_NS6detail15normal_iteratorINSC_10device_ptrIKfEEEESI_EEEEESK_NSA_INS5_IJNSE_INSF_IfEEEESM_EEEEEPS7_SP_SP_NSC_11hip_rocprim7__merge17predicate_wrapperIffNSC_7greaterIfEEEEEE10hipError_tPvRmT0_T1_T2_T3_T4_T5_mmT6_P12ihipStream_tbEUlT_E_NS1_11comp_targetILNS1_3genE9ELNS1_11target_archE1100ELNS1_3gpuE3ELNS1_3repE0EEENS1_30default_config_static_selectorELNS0_4arch9wavefront6targetE0EEEvS10_
		.amdhsa_group_segment_fixed_size 0
		.amdhsa_private_segment_fixed_size 0
		.amdhsa_kernarg_size 64
		.amdhsa_user_sgpr_count 6
		.amdhsa_user_sgpr_private_segment_buffer 1
		.amdhsa_user_sgpr_dispatch_ptr 0
		.amdhsa_user_sgpr_queue_ptr 0
		.amdhsa_user_sgpr_kernarg_segment_ptr 1
		.amdhsa_user_sgpr_dispatch_id 0
		.amdhsa_user_sgpr_flat_scratch_init 0
		.amdhsa_user_sgpr_private_segment_size 0
		.amdhsa_wavefront_size32 1
		.amdhsa_uses_dynamic_stack 0
		.amdhsa_system_sgpr_private_segment_wavefront_offset 0
		.amdhsa_system_sgpr_workgroup_id_x 1
		.amdhsa_system_sgpr_workgroup_id_y 0
		.amdhsa_system_sgpr_workgroup_id_z 0
		.amdhsa_system_sgpr_workgroup_info 0
		.amdhsa_system_vgpr_workitem_id 0
		.amdhsa_next_free_vgpr 1
		.amdhsa_next_free_sgpr 1
		.amdhsa_reserve_vcc 0
		.amdhsa_reserve_flat_scratch 0
		.amdhsa_float_round_mode_32 0
		.amdhsa_float_round_mode_16_64 0
		.amdhsa_float_denorm_mode_32 3
		.amdhsa_float_denorm_mode_16_64 3
		.amdhsa_dx10_clamp 1
		.amdhsa_ieee_mode 1
		.amdhsa_fp16_overflow 0
		.amdhsa_workgroup_processor_mode 1
		.amdhsa_memory_ordered 1
		.amdhsa_forward_progress 1
		.amdhsa_shared_vgpr_count 0
		.amdhsa_exception_fp_ieee_invalid_op 0
		.amdhsa_exception_fp_denorm_src 0
		.amdhsa_exception_fp_ieee_div_zero 0
		.amdhsa_exception_fp_ieee_overflow 0
		.amdhsa_exception_fp_ieee_underflow 0
		.amdhsa_exception_fp_ieee_inexact 0
		.amdhsa_exception_int_div_zero 0
	.end_amdhsa_kernel
	.section	.text._ZN7rocprim17ROCPRIM_400000_NS6detail17trampoline_kernelINS0_14default_configENS1_21merge_config_selectorINS0_5tupleIJffEEENS0_10empty_typeEEEZNS1_10merge_implIS3_NS0_12zip_iteratorINS5_IJN6thrust23THRUST_200600_302600_NS6detail15normal_iteratorINSC_10device_ptrIKfEEEESI_EEEEESK_NSA_INS5_IJNSE_INSF_IfEEEESM_EEEEEPS7_SP_SP_NSC_11hip_rocprim7__merge17predicate_wrapperIffNSC_7greaterIfEEEEEE10hipError_tPvRmT0_T1_T2_T3_T4_T5_mmT6_P12ihipStream_tbEUlT_E_NS1_11comp_targetILNS1_3genE9ELNS1_11target_archE1100ELNS1_3gpuE3ELNS1_3repE0EEENS1_30default_config_static_selectorELNS0_4arch9wavefront6targetE0EEEvS10_,"axG",@progbits,_ZN7rocprim17ROCPRIM_400000_NS6detail17trampoline_kernelINS0_14default_configENS1_21merge_config_selectorINS0_5tupleIJffEEENS0_10empty_typeEEEZNS1_10merge_implIS3_NS0_12zip_iteratorINS5_IJN6thrust23THRUST_200600_302600_NS6detail15normal_iteratorINSC_10device_ptrIKfEEEESI_EEEEESK_NSA_INS5_IJNSE_INSF_IfEEEESM_EEEEEPS7_SP_SP_NSC_11hip_rocprim7__merge17predicate_wrapperIffNSC_7greaterIfEEEEEE10hipError_tPvRmT0_T1_T2_T3_T4_T5_mmT6_P12ihipStream_tbEUlT_E_NS1_11comp_targetILNS1_3genE9ELNS1_11target_archE1100ELNS1_3gpuE3ELNS1_3repE0EEENS1_30default_config_static_selectorELNS0_4arch9wavefront6targetE0EEEvS10_,comdat
.Lfunc_end342:
	.size	_ZN7rocprim17ROCPRIM_400000_NS6detail17trampoline_kernelINS0_14default_configENS1_21merge_config_selectorINS0_5tupleIJffEEENS0_10empty_typeEEEZNS1_10merge_implIS3_NS0_12zip_iteratorINS5_IJN6thrust23THRUST_200600_302600_NS6detail15normal_iteratorINSC_10device_ptrIKfEEEESI_EEEEESK_NSA_INS5_IJNSE_INSF_IfEEEESM_EEEEEPS7_SP_SP_NSC_11hip_rocprim7__merge17predicate_wrapperIffNSC_7greaterIfEEEEEE10hipError_tPvRmT0_T1_T2_T3_T4_T5_mmT6_P12ihipStream_tbEUlT_E_NS1_11comp_targetILNS1_3genE9ELNS1_11target_archE1100ELNS1_3gpuE3ELNS1_3repE0EEENS1_30default_config_static_selectorELNS0_4arch9wavefront6targetE0EEEvS10_, .Lfunc_end342-_ZN7rocprim17ROCPRIM_400000_NS6detail17trampoline_kernelINS0_14default_configENS1_21merge_config_selectorINS0_5tupleIJffEEENS0_10empty_typeEEEZNS1_10merge_implIS3_NS0_12zip_iteratorINS5_IJN6thrust23THRUST_200600_302600_NS6detail15normal_iteratorINSC_10device_ptrIKfEEEESI_EEEEESK_NSA_INS5_IJNSE_INSF_IfEEEESM_EEEEEPS7_SP_SP_NSC_11hip_rocprim7__merge17predicate_wrapperIffNSC_7greaterIfEEEEEE10hipError_tPvRmT0_T1_T2_T3_T4_T5_mmT6_P12ihipStream_tbEUlT_E_NS1_11comp_targetILNS1_3genE9ELNS1_11target_archE1100ELNS1_3gpuE3ELNS1_3repE0EEENS1_30default_config_static_selectorELNS0_4arch9wavefront6targetE0EEEvS10_
                                        ; -- End function
	.set _ZN7rocprim17ROCPRIM_400000_NS6detail17trampoline_kernelINS0_14default_configENS1_21merge_config_selectorINS0_5tupleIJffEEENS0_10empty_typeEEEZNS1_10merge_implIS3_NS0_12zip_iteratorINS5_IJN6thrust23THRUST_200600_302600_NS6detail15normal_iteratorINSC_10device_ptrIKfEEEESI_EEEEESK_NSA_INS5_IJNSE_INSF_IfEEEESM_EEEEEPS7_SP_SP_NSC_11hip_rocprim7__merge17predicate_wrapperIffNSC_7greaterIfEEEEEE10hipError_tPvRmT0_T1_T2_T3_T4_T5_mmT6_P12ihipStream_tbEUlT_E_NS1_11comp_targetILNS1_3genE9ELNS1_11target_archE1100ELNS1_3gpuE3ELNS1_3repE0EEENS1_30default_config_static_selectorELNS0_4arch9wavefront6targetE0EEEvS10_.num_vgpr, 0
	.set _ZN7rocprim17ROCPRIM_400000_NS6detail17trampoline_kernelINS0_14default_configENS1_21merge_config_selectorINS0_5tupleIJffEEENS0_10empty_typeEEEZNS1_10merge_implIS3_NS0_12zip_iteratorINS5_IJN6thrust23THRUST_200600_302600_NS6detail15normal_iteratorINSC_10device_ptrIKfEEEESI_EEEEESK_NSA_INS5_IJNSE_INSF_IfEEEESM_EEEEEPS7_SP_SP_NSC_11hip_rocprim7__merge17predicate_wrapperIffNSC_7greaterIfEEEEEE10hipError_tPvRmT0_T1_T2_T3_T4_T5_mmT6_P12ihipStream_tbEUlT_E_NS1_11comp_targetILNS1_3genE9ELNS1_11target_archE1100ELNS1_3gpuE3ELNS1_3repE0EEENS1_30default_config_static_selectorELNS0_4arch9wavefront6targetE0EEEvS10_.num_agpr, 0
	.set _ZN7rocprim17ROCPRIM_400000_NS6detail17trampoline_kernelINS0_14default_configENS1_21merge_config_selectorINS0_5tupleIJffEEENS0_10empty_typeEEEZNS1_10merge_implIS3_NS0_12zip_iteratorINS5_IJN6thrust23THRUST_200600_302600_NS6detail15normal_iteratorINSC_10device_ptrIKfEEEESI_EEEEESK_NSA_INS5_IJNSE_INSF_IfEEEESM_EEEEEPS7_SP_SP_NSC_11hip_rocprim7__merge17predicate_wrapperIffNSC_7greaterIfEEEEEE10hipError_tPvRmT0_T1_T2_T3_T4_T5_mmT6_P12ihipStream_tbEUlT_E_NS1_11comp_targetILNS1_3genE9ELNS1_11target_archE1100ELNS1_3gpuE3ELNS1_3repE0EEENS1_30default_config_static_selectorELNS0_4arch9wavefront6targetE0EEEvS10_.numbered_sgpr, 0
	.set _ZN7rocprim17ROCPRIM_400000_NS6detail17trampoline_kernelINS0_14default_configENS1_21merge_config_selectorINS0_5tupleIJffEEENS0_10empty_typeEEEZNS1_10merge_implIS3_NS0_12zip_iteratorINS5_IJN6thrust23THRUST_200600_302600_NS6detail15normal_iteratorINSC_10device_ptrIKfEEEESI_EEEEESK_NSA_INS5_IJNSE_INSF_IfEEEESM_EEEEEPS7_SP_SP_NSC_11hip_rocprim7__merge17predicate_wrapperIffNSC_7greaterIfEEEEEE10hipError_tPvRmT0_T1_T2_T3_T4_T5_mmT6_P12ihipStream_tbEUlT_E_NS1_11comp_targetILNS1_3genE9ELNS1_11target_archE1100ELNS1_3gpuE3ELNS1_3repE0EEENS1_30default_config_static_selectorELNS0_4arch9wavefront6targetE0EEEvS10_.num_named_barrier, 0
	.set _ZN7rocprim17ROCPRIM_400000_NS6detail17trampoline_kernelINS0_14default_configENS1_21merge_config_selectorINS0_5tupleIJffEEENS0_10empty_typeEEEZNS1_10merge_implIS3_NS0_12zip_iteratorINS5_IJN6thrust23THRUST_200600_302600_NS6detail15normal_iteratorINSC_10device_ptrIKfEEEESI_EEEEESK_NSA_INS5_IJNSE_INSF_IfEEEESM_EEEEEPS7_SP_SP_NSC_11hip_rocprim7__merge17predicate_wrapperIffNSC_7greaterIfEEEEEE10hipError_tPvRmT0_T1_T2_T3_T4_T5_mmT6_P12ihipStream_tbEUlT_E_NS1_11comp_targetILNS1_3genE9ELNS1_11target_archE1100ELNS1_3gpuE3ELNS1_3repE0EEENS1_30default_config_static_selectorELNS0_4arch9wavefront6targetE0EEEvS10_.private_seg_size, 0
	.set _ZN7rocprim17ROCPRIM_400000_NS6detail17trampoline_kernelINS0_14default_configENS1_21merge_config_selectorINS0_5tupleIJffEEENS0_10empty_typeEEEZNS1_10merge_implIS3_NS0_12zip_iteratorINS5_IJN6thrust23THRUST_200600_302600_NS6detail15normal_iteratorINSC_10device_ptrIKfEEEESI_EEEEESK_NSA_INS5_IJNSE_INSF_IfEEEESM_EEEEEPS7_SP_SP_NSC_11hip_rocprim7__merge17predicate_wrapperIffNSC_7greaterIfEEEEEE10hipError_tPvRmT0_T1_T2_T3_T4_T5_mmT6_P12ihipStream_tbEUlT_E_NS1_11comp_targetILNS1_3genE9ELNS1_11target_archE1100ELNS1_3gpuE3ELNS1_3repE0EEENS1_30default_config_static_selectorELNS0_4arch9wavefront6targetE0EEEvS10_.uses_vcc, 0
	.set _ZN7rocprim17ROCPRIM_400000_NS6detail17trampoline_kernelINS0_14default_configENS1_21merge_config_selectorINS0_5tupleIJffEEENS0_10empty_typeEEEZNS1_10merge_implIS3_NS0_12zip_iteratorINS5_IJN6thrust23THRUST_200600_302600_NS6detail15normal_iteratorINSC_10device_ptrIKfEEEESI_EEEEESK_NSA_INS5_IJNSE_INSF_IfEEEESM_EEEEEPS7_SP_SP_NSC_11hip_rocprim7__merge17predicate_wrapperIffNSC_7greaterIfEEEEEE10hipError_tPvRmT0_T1_T2_T3_T4_T5_mmT6_P12ihipStream_tbEUlT_E_NS1_11comp_targetILNS1_3genE9ELNS1_11target_archE1100ELNS1_3gpuE3ELNS1_3repE0EEENS1_30default_config_static_selectorELNS0_4arch9wavefront6targetE0EEEvS10_.uses_flat_scratch, 0
	.set _ZN7rocprim17ROCPRIM_400000_NS6detail17trampoline_kernelINS0_14default_configENS1_21merge_config_selectorINS0_5tupleIJffEEENS0_10empty_typeEEEZNS1_10merge_implIS3_NS0_12zip_iteratorINS5_IJN6thrust23THRUST_200600_302600_NS6detail15normal_iteratorINSC_10device_ptrIKfEEEESI_EEEEESK_NSA_INS5_IJNSE_INSF_IfEEEESM_EEEEEPS7_SP_SP_NSC_11hip_rocprim7__merge17predicate_wrapperIffNSC_7greaterIfEEEEEE10hipError_tPvRmT0_T1_T2_T3_T4_T5_mmT6_P12ihipStream_tbEUlT_E_NS1_11comp_targetILNS1_3genE9ELNS1_11target_archE1100ELNS1_3gpuE3ELNS1_3repE0EEENS1_30default_config_static_selectorELNS0_4arch9wavefront6targetE0EEEvS10_.has_dyn_sized_stack, 0
	.set _ZN7rocprim17ROCPRIM_400000_NS6detail17trampoline_kernelINS0_14default_configENS1_21merge_config_selectorINS0_5tupleIJffEEENS0_10empty_typeEEEZNS1_10merge_implIS3_NS0_12zip_iteratorINS5_IJN6thrust23THRUST_200600_302600_NS6detail15normal_iteratorINSC_10device_ptrIKfEEEESI_EEEEESK_NSA_INS5_IJNSE_INSF_IfEEEESM_EEEEEPS7_SP_SP_NSC_11hip_rocprim7__merge17predicate_wrapperIffNSC_7greaterIfEEEEEE10hipError_tPvRmT0_T1_T2_T3_T4_T5_mmT6_P12ihipStream_tbEUlT_E_NS1_11comp_targetILNS1_3genE9ELNS1_11target_archE1100ELNS1_3gpuE3ELNS1_3repE0EEENS1_30default_config_static_selectorELNS0_4arch9wavefront6targetE0EEEvS10_.has_recursion, 0
	.set _ZN7rocprim17ROCPRIM_400000_NS6detail17trampoline_kernelINS0_14default_configENS1_21merge_config_selectorINS0_5tupleIJffEEENS0_10empty_typeEEEZNS1_10merge_implIS3_NS0_12zip_iteratorINS5_IJN6thrust23THRUST_200600_302600_NS6detail15normal_iteratorINSC_10device_ptrIKfEEEESI_EEEEESK_NSA_INS5_IJNSE_INSF_IfEEEESM_EEEEEPS7_SP_SP_NSC_11hip_rocprim7__merge17predicate_wrapperIffNSC_7greaterIfEEEEEE10hipError_tPvRmT0_T1_T2_T3_T4_T5_mmT6_P12ihipStream_tbEUlT_E_NS1_11comp_targetILNS1_3genE9ELNS1_11target_archE1100ELNS1_3gpuE3ELNS1_3repE0EEENS1_30default_config_static_selectorELNS0_4arch9wavefront6targetE0EEEvS10_.has_indirect_call, 0
	.section	.AMDGPU.csdata,"",@progbits
; Kernel info:
; codeLenInByte = 0
; TotalNumSgprs: 0
; NumVgprs: 0
; ScratchSize: 0
; MemoryBound: 0
; FloatMode: 240
; IeeeMode: 1
; LDSByteSize: 0 bytes/workgroup (compile time only)
; SGPRBlocks: 0
; VGPRBlocks: 0
; NumSGPRsForWavesPerEU: 1
; NumVGPRsForWavesPerEU: 1
; Occupancy: 16
; WaveLimiterHint : 0
; COMPUTE_PGM_RSRC2:SCRATCH_EN: 0
; COMPUTE_PGM_RSRC2:USER_SGPR: 6
; COMPUTE_PGM_RSRC2:TRAP_HANDLER: 0
; COMPUTE_PGM_RSRC2:TGID_X_EN: 1
; COMPUTE_PGM_RSRC2:TGID_Y_EN: 0
; COMPUTE_PGM_RSRC2:TGID_Z_EN: 0
; COMPUTE_PGM_RSRC2:TIDIG_COMP_CNT: 0
	.section	.text._ZN7rocprim17ROCPRIM_400000_NS6detail17trampoline_kernelINS0_14default_configENS1_21merge_config_selectorINS0_5tupleIJffEEENS0_10empty_typeEEEZNS1_10merge_implIS3_NS0_12zip_iteratorINS5_IJN6thrust23THRUST_200600_302600_NS6detail15normal_iteratorINSC_10device_ptrIKfEEEESI_EEEEESK_NSA_INS5_IJNSE_INSF_IfEEEESM_EEEEEPS7_SP_SP_NSC_11hip_rocprim7__merge17predicate_wrapperIffNSC_7greaterIfEEEEEE10hipError_tPvRmT0_T1_T2_T3_T4_T5_mmT6_P12ihipStream_tbEUlT_E_NS1_11comp_targetILNS1_3genE8ELNS1_11target_archE1030ELNS1_3gpuE2ELNS1_3repE0EEENS1_30default_config_static_selectorELNS0_4arch9wavefront6targetE0EEEvS10_,"axG",@progbits,_ZN7rocprim17ROCPRIM_400000_NS6detail17trampoline_kernelINS0_14default_configENS1_21merge_config_selectorINS0_5tupleIJffEEENS0_10empty_typeEEEZNS1_10merge_implIS3_NS0_12zip_iteratorINS5_IJN6thrust23THRUST_200600_302600_NS6detail15normal_iteratorINSC_10device_ptrIKfEEEESI_EEEEESK_NSA_INS5_IJNSE_INSF_IfEEEESM_EEEEEPS7_SP_SP_NSC_11hip_rocprim7__merge17predicate_wrapperIffNSC_7greaterIfEEEEEE10hipError_tPvRmT0_T1_T2_T3_T4_T5_mmT6_P12ihipStream_tbEUlT_E_NS1_11comp_targetILNS1_3genE8ELNS1_11target_archE1030ELNS1_3gpuE2ELNS1_3repE0EEENS1_30default_config_static_selectorELNS0_4arch9wavefront6targetE0EEEvS10_,comdat
	.protected	_ZN7rocprim17ROCPRIM_400000_NS6detail17trampoline_kernelINS0_14default_configENS1_21merge_config_selectorINS0_5tupleIJffEEENS0_10empty_typeEEEZNS1_10merge_implIS3_NS0_12zip_iteratorINS5_IJN6thrust23THRUST_200600_302600_NS6detail15normal_iteratorINSC_10device_ptrIKfEEEESI_EEEEESK_NSA_INS5_IJNSE_INSF_IfEEEESM_EEEEEPS7_SP_SP_NSC_11hip_rocprim7__merge17predicate_wrapperIffNSC_7greaterIfEEEEEE10hipError_tPvRmT0_T1_T2_T3_T4_T5_mmT6_P12ihipStream_tbEUlT_E_NS1_11comp_targetILNS1_3genE8ELNS1_11target_archE1030ELNS1_3gpuE2ELNS1_3repE0EEENS1_30default_config_static_selectorELNS0_4arch9wavefront6targetE0EEEvS10_ ; -- Begin function _ZN7rocprim17ROCPRIM_400000_NS6detail17trampoline_kernelINS0_14default_configENS1_21merge_config_selectorINS0_5tupleIJffEEENS0_10empty_typeEEEZNS1_10merge_implIS3_NS0_12zip_iteratorINS5_IJN6thrust23THRUST_200600_302600_NS6detail15normal_iteratorINSC_10device_ptrIKfEEEESI_EEEEESK_NSA_INS5_IJNSE_INSF_IfEEEESM_EEEEEPS7_SP_SP_NSC_11hip_rocprim7__merge17predicate_wrapperIffNSC_7greaterIfEEEEEE10hipError_tPvRmT0_T1_T2_T3_T4_T5_mmT6_P12ihipStream_tbEUlT_E_NS1_11comp_targetILNS1_3genE8ELNS1_11target_archE1030ELNS1_3gpuE2ELNS1_3repE0EEENS1_30default_config_static_selectorELNS0_4arch9wavefront6targetE0EEEvS10_
	.globl	_ZN7rocprim17ROCPRIM_400000_NS6detail17trampoline_kernelINS0_14default_configENS1_21merge_config_selectorINS0_5tupleIJffEEENS0_10empty_typeEEEZNS1_10merge_implIS3_NS0_12zip_iteratorINS5_IJN6thrust23THRUST_200600_302600_NS6detail15normal_iteratorINSC_10device_ptrIKfEEEESI_EEEEESK_NSA_INS5_IJNSE_INSF_IfEEEESM_EEEEEPS7_SP_SP_NSC_11hip_rocprim7__merge17predicate_wrapperIffNSC_7greaterIfEEEEEE10hipError_tPvRmT0_T1_T2_T3_T4_T5_mmT6_P12ihipStream_tbEUlT_E_NS1_11comp_targetILNS1_3genE8ELNS1_11target_archE1030ELNS1_3gpuE2ELNS1_3repE0EEENS1_30default_config_static_selectorELNS0_4arch9wavefront6targetE0EEEvS10_
	.p2align	8
	.type	_ZN7rocprim17ROCPRIM_400000_NS6detail17trampoline_kernelINS0_14default_configENS1_21merge_config_selectorINS0_5tupleIJffEEENS0_10empty_typeEEEZNS1_10merge_implIS3_NS0_12zip_iteratorINS5_IJN6thrust23THRUST_200600_302600_NS6detail15normal_iteratorINSC_10device_ptrIKfEEEESI_EEEEESK_NSA_INS5_IJNSE_INSF_IfEEEESM_EEEEEPS7_SP_SP_NSC_11hip_rocprim7__merge17predicate_wrapperIffNSC_7greaterIfEEEEEE10hipError_tPvRmT0_T1_T2_T3_T4_T5_mmT6_P12ihipStream_tbEUlT_E_NS1_11comp_targetILNS1_3genE8ELNS1_11target_archE1030ELNS1_3gpuE2ELNS1_3repE0EEENS1_30default_config_static_selectorELNS0_4arch9wavefront6targetE0EEEvS10_,@function
_ZN7rocprim17ROCPRIM_400000_NS6detail17trampoline_kernelINS0_14default_configENS1_21merge_config_selectorINS0_5tupleIJffEEENS0_10empty_typeEEEZNS1_10merge_implIS3_NS0_12zip_iteratorINS5_IJN6thrust23THRUST_200600_302600_NS6detail15normal_iteratorINSC_10device_ptrIKfEEEESI_EEEEESK_NSA_INS5_IJNSE_INSF_IfEEEESM_EEEEEPS7_SP_SP_NSC_11hip_rocprim7__merge17predicate_wrapperIffNSC_7greaterIfEEEEEE10hipError_tPvRmT0_T1_T2_T3_T4_T5_mmT6_P12ihipStream_tbEUlT_E_NS1_11comp_targetILNS1_3genE8ELNS1_11target_archE1030ELNS1_3gpuE2ELNS1_3repE0EEENS1_30default_config_static_selectorELNS0_4arch9wavefront6targetE0EEEvS10_: ; @_ZN7rocprim17ROCPRIM_400000_NS6detail17trampoline_kernelINS0_14default_configENS1_21merge_config_selectorINS0_5tupleIJffEEENS0_10empty_typeEEEZNS1_10merge_implIS3_NS0_12zip_iteratorINS5_IJN6thrust23THRUST_200600_302600_NS6detail15normal_iteratorINSC_10device_ptrIKfEEEESI_EEEEESK_NSA_INS5_IJNSE_INSF_IfEEEESM_EEEEEPS7_SP_SP_NSC_11hip_rocprim7__merge17predicate_wrapperIffNSC_7greaterIfEEEEEE10hipError_tPvRmT0_T1_T2_T3_T4_T5_mmT6_P12ihipStream_tbEUlT_E_NS1_11comp_targetILNS1_3genE8ELNS1_11target_archE1030ELNS1_3gpuE2ELNS1_3repE0EEENS1_30default_config_static_selectorELNS0_4arch9wavefront6targetE0EEEvS10_
; %bb.0:
	s_clause 0x2
	s_load_dword s2, s[4:5], 0x38
	s_load_dword s0, s[4:5], 0x4c
	s_load_dwordx4 s[12:15], s[4:5], 0x28
	s_waitcnt lgkmcnt(0)
	v_cvt_f32_u32_e32 v1, s2
	s_and_b32 s3, s0, 0xffff
	s_add_u32 s0, s14, s12
	s_addc_u32 s1, s15, s13
	s_sub_i32 s8, 0, s2
	v_rcp_iflag_f32_e32 v1, v1
	s_add_i32 s9, s2, s0
	s_add_i32 s9, s9, -1
	v_mul_f32_e32 v1, 0x4f7ffffe, v1
	v_cvt_u32_f32_e32 v1, v1
	v_readfirstlane_b32 s7, v1
	v_mad_u64_u32 v[0:1], null, s6, s3, v[0:1]
	s_mul_i32 s8, s8, s7
	s_mul_hi_u32 s8, s7, s8
	s_add_i32 s7, s7, s8
	s_mul_hi_u32 s7, s9, s7
	s_mul_i32 s8, s7, s2
	s_sub_i32 s8, s9, s8
	s_add_i32 s9, s7, 1
	s_sub_i32 s10, s8, s2
	s_cmp_ge_u32 s8, s2
	s_cselect_b32 s3, s9, s7
	s_cselect_b32 s6, s10, s8
	s_add_i32 s7, s3, 1
	s_cmp_ge_u32 s6, s2
	s_cselect_b32 s3, s7, s3
	v_cmp_ge_u32_e32 vcc_lo, s3, v0
	s_and_saveexec_b32 s3, vcc_lo
	s_cbranch_execz .LBB343_6
; %bb.1:
	v_mul_lo_u32 v1, v0, s2
	v_mov_b32_e32 v2, 0
	s_load_dwordx4 s[8:11], s[4:5], 0x0
	v_cmp_gt_u64_e32 vcc_lo, s[0:1], v[1:2]
	v_cndmask_b32_e32 v6, s0, v1, vcc_lo
	v_cndmask_b32_e64 v7, s1, 0, vcc_lo
	v_sub_co_u32 v1, vcc_lo, v6, s14
	v_subrev_co_ci_u32_e64 v2, null, s15, v7, vcc_lo
	v_cmp_gt_u64_e64 s0, s[12:13], v[6:7]
	v_cmp_gt_u64_e32 vcc_lo, v[1:2], v[6:7]
	v_cndmask_b32_e64 v5, s13, v7, s0
	v_cndmask_b32_e64 v4, s12, v6, s0
	s_mov_b32 s0, exec_lo
	v_cndmask_b32_e64 v3, v2, 0, vcc_lo
	v_cndmask_b32_e64 v2, v1, 0, vcc_lo
	v_cmpx_lt_u64_e64 v[2:3], v[4:5]
	s_cbranch_execz .LBB343_5
; %bb.2:
	s_load_dwordx2 s[2:3], s[4:5], 0x18
	v_lshlrev_b64 v[6:7], 2, v[6:7]
	s_mov_b32 s1, 0
	s_waitcnt lgkmcnt(0)
	v_add_co_u32 v1, vcc_lo, s2, v6
	v_add_co_ci_u32_e64 v6, null, s3, v7, vcc_lo
	s_inst_prefetch 0x1
	.p2align	6
.LBB343_3:                              ; =>This Inner Loop Header: Depth=1
	v_add_co_u32 v7, vcc_lo, v4, v2
	v_add_co_ci_u32_e64 v8, null, v5, v3, vcc_lo
	v_lshrrev_b64 v[7:8], 1, v[7:8]
	v_lshlrev_b64 v[9:10], 2, v[7:8]
	v_xor_b32_e32 v11, -4, v9
	v_xor_b32_e32 v12, -1, v10
	v_add_co_u32 v9, vcc_lo, s10, v9
	v_add_co_ci_u32_e64 v10, null, s11, v10, vcc_lo
	v_add_co_u32 v11, vcc_lo, v1, v11
	v_add_co_ci_u32_e64 v12, null, v6, v12, vcc_lo
	global_load_dword v9, v[9:10], off
	global_load_dword v10, v[11:12], off
	v_add_co_u32 v11, vcc_lo, v7, 1
	v_add_co_ci_u32_e64 v12, null, 0, v8, vcc_lo
	s_waitcnt vmcnt(0)
	v_cmp_gt_f32_e32 vcc_lo, v10, v9
	v_cndmask_b32_e32 v5, v5, v8, vcc_lo
	v_cndmask_b32_e32 v4, v4, v7, vcc_lo
	v_cndmask_b32_e32 v3, v12, v3, vcc_lo
	v_cndmask_b32_e32 v2, v11, v2, vcc_lo
	v_cmp_ge_u64_e32 vcc_lo, v[2:3], v[4:5]
	s_or_b32 s1, vcc_lo, s1
	s_andn2_b32 exec_lo, exec_lo, s1
	s_cbranch_execnz .LBB343_3
; %bb.4:
	s_inst_prefetch 0x2
	s_or_b32 exec_lo, exec_lo, s1
.LBB343_5:
	s_or_b32 exec_lo, exec_lo, s0
	v_mov_b32_e32 v1, 0
	v_lshlrev_b64 v[0:1], 2, v[0:1]
	s_waitcnt lgkmcnt(0)
	v_add_co_u32 v0, vcc_lo, s8, v0
	v_add_co_ci_u32_e64 v1, null, s9, v1, vcc_lo
	global_store_dword v[0:1], v2, off
.LBB343_6:
	s_endpgm
	.section	.rodata,"a",@progbits
	.p2align	6, 0x0
	.amdhsa_kernel _ZN7rocprim17ROCPRIM_400000_NS6detail17trampoline_kernelINS0_14default_configENS1_21merge_config_selectorINS0_5tupleIJffEEENS0_10empty_typeEEEZNS1_10merge_implIS3_NS0_12zip_iteratorINS5_IJN6thrust23THRUST_200600_302600_NS6detail15normal_iteratorINSC_10device_ptrIKfEEEESI_EEEEESK_NSA_INS5_IJNSE_INSF_IfEEEESM_EEEEEPS7_SP_SP_NSC_11hip_rocprim7__merge17predicate_wrapperIffNSC_7greaterIfEEEEEE10hipError_tPvRmT0_T1_T2_T3_T4_T5_mmT6_P12ihipStream_tbEUlT_E_NS1_11comp_targetILNS1_3genE8ELNS1_11target_archE1030ELNS1_3gpuE2ELNS1_3repE0EEENS1_30default_config_static_selectorELNS0_4arch9wavefront6targetE0EEEvS10_
		.amdhsa_group_segment_fixed_size 0
		.amdhsa_private_segment_fixed_size 0
		.amdhsa_kernarg_size 320
		.amdhsa_user_sgpr_count 6
		.amdhsa_user_sgpr_private_segment_buffer 1
		.amdhsa_user_sgpr_dispatch_ptr 0
		.amdhsa_user_sgpr_queue_ptr 0
		.amdhsa_user_sgpr_kernarg_segment_ptr 1
		.amdhsa_user_sgpr_dispatch_id 0
		.amdhsa_user_sgpr_flat_scratch_init 0
		.amdhsa_user_sgpr_private_segment_size 0
		.amdhsa_wavefront_size32 1
		.amdhsa_uses_dynamic_stack 0
		.amdhsa_system_sgpr_private_segment_wavefront_offset 0
		.amdhsa_system_sgpr_workgroup_id_x 1
		.amdhsa_system_sgpr_workgroup_id_y 0
		.amdhsa_system_sgpr_workgroup_id_z 0
		.amdhsa_system_sgpr_workgroup_info 0
		.amdhsa_system_vgpr_workitem_id 0
		.amdhsa_next_free_vgpr 13
		.amdhsa_next_free_sgpr 16
		.amdhsa_reserve_vcc 1
		.amdhsa_reserve_flat_scratch 0
		.amdhsa_float_round_mode_32 0
		.amdhsa_float_round_mode_16_64 0
		.amdhsa_float_denorm_mode_32 3
		.amdhsa_float_denorm_mode_16_64 3
		.amdhsa_dx10_clamp 1
		.amdhsa_ieee_mode 1
		.amdhsa_fp16_overflow 0
		.amdhsa_workgroup_processor_mode 1
		.amdhsa_memory_ordered 1
		.amdhsa_forward_progress 1
		.amdhsa_shared_vgpr_count 0
		.amdhsa_exception_fp_ieee_invalid_op 0
		.amdhsa_exception_fp_denorm_src 0
		.amdhsa_exception_fp_ieee_div_zero 0
		.amdhsa_exception_fp_ieee_overflow 0
		.amdhsa_exception_fp_ieee_underflow 0
		.amdhsa_exception_fp_ieee_inexact 0
		.amdhsa_exception_int_div_zero 0
	.end_amdhsa_kernel
	.section	.text._ZN7rocprim17ROCPRIM_400000_NS6detail17trampoline_kernelINS0_14default_configENS1_21merge_config_selectorINS0_5tupleIJffEEENS0_10empty_typeEEEZNS1_10merge_implIS3_NS0_12zip_iteratorINS5_IJN6thrust23THRUST_200600_302600_NS6detail15normal_iteratorINSC_10device_ptrIKfEEEESI_EEEEESK_NSA_INS5_IJNSE_INSF_IfEEEESM_EEEEEPS7_SP_SP_NSC_11hip_rocprim7__merge17predicate_wrapperIffNSC_7greaterIfEEEEEE10hipError_tPvRmT0_T1_T2_T3_T4_T5_mmT6_P12ihipStream_tbEUlT_E_NS1_11comp_targetILNS1_3genE8ELNS1_11target_archE1030ELNS1_3gpuE2ELNS1_3repE0EEENS1_30default_config_static_selectorELNS0_4arch9wavefront6targetE0EEEvS10_,"axG",@progbits,_ZN7rocprim17ROCPRIM_400000_NS6detail17trampoline_kernelINS0_14default_configENS1_21merge_config_selectorINS0_5tupleIJffEEENS0_10empty_typeEEEZNS1_10merge_implIS3_NS0_12zip_iteratorINS5_IJN6thrust23THRUST_200600_302600_NS6detail15normal_iteratorINSC_10device_ptrIKfEEEESI_EEEEESK_NSA_INS5_IJNSE_INSF_IfEEEESM_EEEEEPS7_SP_SP_NSC_11hip_rocprim7__merge17predicate_wrapperIffNSC_7greaterIfEEEEEE10hipError_tPvRmT0_T1_T2_T3_T4_T5_mmT6_P12ihipStream_tbEUlT_E_NS1_11comp_targetILNS1_3genE8ELNS1_11target_archE1030ELNS1_3gpuE2ELNS1_3repE0EEENS1_30default_config_static_selectorELNS0_4arch9wavefront6targetE0EEEvS10_,comdat
.Lfunc_end343:
	.size	_ZN7rocprim17ROCPRIM_400000_NS6detail17trampoline_kernelINS0_14default_configENS1_21merge_config_selectorINS0_5tupleIJffEEENS0_10empty_typeEEEZNS1_10merge_implIS3_NS0_12zip_iteratorINS5_IJN6thrust23THRUST_200600_302600_NS6detail15normal_iteratorINSC_10device_ptrIKfEEEESI_EEEEESK_NSA_INS5_IJNSE_INSF_IfEEEESM_EEEEEPS7_SP_SP_NSC_11hip_rocprim7__merge17predicate_wrapperIffNSC_7greaterIfEEEEEE10hipError_tPvRmT0_T1_T2_T3_T4_T5_mmT6_P12ihipStream_tbEUlT_E_NS1_11comp_targetILNS1_3genE8ELNS1_11target_archE1030ELNS1_3gpuE2ELNS1_3repE0EEENS1_30default_config_static_selectorELNS0_4arch9wavefront6targetE0EEEvS10_, .Lfunc_end343-_ZN7rocprim17ROCPRIM_400000_NS6detail17trampoline_kernelINS0_14default_configENS1_21merge_config_selectorINS0_5tupleIJffEEENS0_10empty_typeEEEZNS1_10merge_implIS3_NS0_12zip_iteratorINS5_IJN6thrust23THRUST_200600_302600_NS6detail15normal_iteratorINSC_10device_ptrIKfEEEESI_EEEEESK_NSA_INS5_IJNSE_INSF_IfEEEESM_EEEEEPS7_SP_SP_NSC_11hip_rocprim7__merge17predicate_wrapperIffNSC_7greaterIfEEEEEE10hipError_tPvRmT0_T1_T2_T3_T4_T5_mmT6_P12ihipStream_tbEUlT_E_NS1_11comp_targetILNS1_3genE8ELNS1_11target_archE1030ELNS1_3gpuE2ELNS1_3repE0EEENS1_30default_config_static_selectorELNS0_4arch9wavefront6targetE0EEEvS10_
                                        ; -- End function
	.set _ZN7rocprim17ROCPRIM_400000_NS6detail17trampoline_kernelINS0_14default_configENS1_21merge_config_selectorINS0_5tupleIJffEEENS0_10empty_typeEEEZNS1_10merge_implIS3_NS0_12zip_iteratorINS5_IJN6thrust23THRUST_200600_302600_NS6detail15normal_iteratorINSC_10device_ptrIKfEEEESI_EEEEESK_NSA_INS5_IJNSE_INSF_IfEEEESM_EEEEEPS7_SP_SP_NSC_11hip_rocprim7__merge17predicate_wrapperIffNSC_7greaterIfEEEEEE10hipError_tPvRmT0_T1_T2_T3_T4_T5_mmT6_P12ihipStream_tbEUlT_E_NS1_11comp_targetILNS1_3genE8ELNS1_11target_archE1030ELNS1_3gpuE2ELNS1_3repE0EEENS1_30default_config_static_selectorELNS0_4arch9wavefront6targetE0EEEvS10_.num_vgpr, 13
	.set _ZN7rocprim17ROCPRIM_400000_NS6detail17trampoline_kernelINS0_14default_configENS1_21merge_config_selectorINS0_5tupleIJffEEENS0_10empty_typeEEEZNS1_10merge_implIS3_NS0_12zip_iteratorINS5_IJN6thrust23THRUST_200600_302600_NS6detail15normal_iteratorINSC_10device_ptrIKfEEEESI_EEEEESK_NSA_INS5_IJNSE_INSF_IfEEEESM_EEEEEPS7_SP_SP_NSC_11hip_rocprim7__merge17predicate_wrapperIffNSC_7greaterIfEEEEEE10hipError_tPvRmT0_T1_T2_T3_T4_T5_mmT6_P12ihipStream_tbEUlT_E_NS1_11comp_targetILNS1_3genE8ELNS1_11target_archE1030ELNS1_3gpuE2ELNS1_3repE0EEENS1_30default_config_static_selectorELNS0_4arch9wavefront6targetE0EEEvS10_.num_agpr, 0
	.set _ZN7rocprim17ROCPRIM_400000_NS6detail17trampoline_kernelINS0_14default_configENS1_21merge_config_selectorINS0_5tupleIJffEEENS0_10empty_typeEEEZNS1_10merge_implIS3_NS0_12zip_iteratorINS5_IJN6thrust23THRUST_200600_302600_NS6detail15normal_iteratorINSC_10device_ptrIKfEEEESI_EEEEESK_NSA_INS5_IJNSE_INSF_IfEEEESM_EEEEEPS7_SP_SP_NSC_11hip_rocprim7__merge17predicate_wrapperIffNSC_7greaterIfEEEEEE10hipError_tPvRmT0_T1_T2_T3_T4_T5_mmT6_P12ihipStream_tbEUlT_E_NS1_11comp_targetILNS1_3genE8ELNS1_11target_archE1030ELNS1_3gpuE2ELNS1_3repE0EEENS1_30default_config_static_selectorELNS0_4arch9wavefront6targetE0EEEvS10_.numbered_sgpr, 16
	.set _ZN7rocprim17ROCPRIM_400000_NS6detail17trampoline_kernelINS0_14default_configENS1_21merge_config_selectorINS0_5tupleIJffEEENS0_10empty_typeEEEZNS1_10merge_implIS3_NS0_12zip_iteratorINS5_IJN6thrust23THRUST_200600_302600_NS6detail15normal_iteratorINSC_10device_ptrIKfEEEESI_EEEEESK_NSA_INS5_IJNSE_INSF_IfEEEESM_EEEEEPS7_SP_SP_NSC_11hip_rocprim7__merge17predicate_wrapperIffNSC_7greaterIfEEEEEE10hipError_tPvRmT0_T1_T2_T3_T4_T5_mmT6_P12ihipStream_tbEUlT_E_NS1_11comp_targetILNS1_3genE8ELNS1_11target_archE1030ELNS1_3gpuE2ELNS1_3repE0EEENS1_30default_config_static_selectorELNS0_4arch9wavefront6targetE0EEEvS10_.num_named_barrier, 0
	.set _ZN7rocprim17ROCPRIM_400000_NS6detail17trampoline_kernelINS0_14default_configENS1_21merge_config_selectorINS0_5tupleIJffEEENS0_10empty_typeEEEZNS1_10merge_implIS3_NS0_12zip_iteratorINS5_IJN6thrust23THRUST_200600_302600_NS6detail15normal_iteratorINSC_10device_ptrIKfEEEESI_EEEEESK_NSA_INS5_IJNSE_INSF_IfEEEESM_EEEEEPS7_SP_SP_NSC_11hip_rocprim7__merge17predicate_wrapperIffNSC_7greaterIfEEEEEE10hipError_tPvRmT0_T1_T2_T3_T4_T5_mmT6_P12ihipStream_tbEUlT_E_NS1_11comp_targetILNS1_3genE8ELNS1_11target_archE1030ELNS1_3gpuE2ELNS1_3repE0EEENS1_30default_config_static_selectorELNS0_4arch9wavefront6targetE0EEEvS10_.private_seg_size, 0
	.set _ZN7rocprim17ROCPRIM_400000_NS6detail17trampoline_kernelINS0_14default_configENS1_21merge_config_selectorINS0_5tupleIJffEEENS0_10empty_typeEEEZNS1_10merge_implIS3_NS0_12zip_iteratorINS5_IJN6thrust23THRUST_200600_302600_NS6detail15normal_iteratorINSC_10device_ptrIKfEEEESI_EEEEESK_NSA_INS5_IJNSE_INSF_IfEEEESM_EEEEEPS7_SP_SP_NSC_11hip_rocprim7__merge17predicate_wrapperIffNSC_7greaterIfEEEEEE10hipError_tPvRmT0_T1_T2_T3_T4_T5_mmT6_P12ihipStream_tbEUlT_E_NS1_11comp_targetILNS1_3genE8ELNS1_11target_archE1030ELNS1_3gpuE2ELNS1_3repE0EEENS1_30default_config_static_selectorELNS0_4arch9wavefront6targetE0EEEvS10_.uses_vcc, 1
	.set _ZN7rocprim17ROCPRIM_400000_NS6detail17trampoline_kernelINS0_14default_configENS1_21merge_config_selectorINS0_5tupleIJffEEENS0_10empty_typeEEEZNS1_10merge_implIS3_NS0_12zip_iteratorINS5_IJN6thrust23THRUST_200600_302600_NS6detail15normal_iteratorINSC_10device_ptrIKfEEEESI_EEEEESK_NSA_INS5_IJNSE_INSF_IfEEEESM_EEEEEPS7_SP_SP_NSC_11hip_rocprim7__merge17predicate_wrapperIffNSC_7greaterIfEEEEEE10hipError_tPvRmT0_T1_T2_T3_T4_T5_mmT6_P12ihipStream_tbEUlT_E_NS1_11comp_targetILNS1_3genE8ELNS1_11target_archE1030ELNS1_3gpuE2ELNS1_3repE0EEENS1_30default_config_static_selectorELNS0_4arch9wavefront6targetE0EEEvS10_.uses_flat_scratch, 0
	.set _ZN7rocprim17ROCPRIM_400000_NS6detail17trampoline_kernelINS0_14default_configENS1_21merge_config_selectorINS0_5tupleIJffEEENS0_10empty_typeEEEZNS1_10merge_implIS3_NS0_12zip_iteratorINS5_IJN6thrust23THRUST_200600_302600_NS6detail15normal_iteratorINSC_10device_ptrIKfEEEESI_EEEEESK_NSA_INS5_IJNSE_INSF_IfEEEESM_EEEEEPS7_SP_SP_NSC_11hip_rocprim7__merge17predicate_wrapperIffNSC_7greaterIfEEEEEE10hipError_tPvRmT0_T1_T2_T3_T4_T5_mmT6_P12ihipStream_tbEUlT_E_NS1_11comp_targetILNS1_3genE8ELNS1_11target_archE1030ELNS1_3gpuE2ELNS1_3repE0EEENS1_30default_config_static_selectorELNS0_4arch9wavefront6targetE0EEEvS10_.has_dyn_sized_stack, 0
	.set _ZN7rocprim17ROCPRIM_400000_NS6detail17trampoline_kernelINS0_14default_configENS1_21merge_config_selectorINS0_5tupleIJffEEENS0_10empty_typeEEEZNS1_10merge_implIS3_NS0_12zip_iteratorINS5_IJN6thrust23THRUST_200600_302600_NS6detail15normal_iteratorINSC_10device_ptrIKfEEEESI_EEEEESK_NSA_INS5_IJNSE_INSF_IfEEEESM_EEEEEPS7_SP_SP_NSC_11hip_rocprim7__merge17predicate_wrapperIffNSC_7greaterIfEEEEEE10hipError_tPvRmT0_T1_T2_T3_T4_T5_mmT6_P12ihipStream_tbEUlT_E_NS1_11comp_targetILNS1_3genE8ELNS1_11target_archE1030ELNS1_3gpuE2ELNS1_3repE0EEENS1_30default_config_static_selectorELNS0_4arch9wavefront6targetE0EEEvS10_.has_recursion, 0
	.set _ZN7rocprim17ROCPRIM_400000_NS6detail17trampoline_kernelINS0_14default_configENS1_21merge_config_selectorINS0_5tupleIJffEEENS0_10empty_typeEEEZNS1_10merge_implIS3_NS0_12zip_iteratorINS5_IJN6thrust23THRUST_200600_302600_NS6detail15normal_iteratorINSC_10device_ptrIKfEEEESI_EEEEESK_NSA_INS5_IJNSE_INSF_IfEEEESM_EEEEEPS7_SP_SP_NSC_11hip_rocprim7__merge17predicate_wrapperIffNSC_7greaterIfEEEEEE10hipError_tPvRmT0_T1_T2_T3_T4_T5_mmT6_P12ihipStream_tbEUlT_E_NS1_11comp_targetILNS1_3genE8ELNS1_11target_archE1030ELNS1_3gpuE2ELNS1_3repE0EEENS1_30default_config_static_selectorELNS0_4arch9wavefront6targetE0EEEvS10_.has_indirect_call, 0
	.section	.AMDGPU.csdata,"",@progbits
; Kernel info:
; codeLenInByte = 520
; TotalNumSgprs: 18
; NumVgprs: 13
; ScratchSize: 0
; MemoryBound: 0
; FloatMode: 240
; IeeeMode: 1
; LDSByteSize: 0 bytes/workgroup (compile time only)
; SGPRBlocks: 0
; VGPRBlocks: 1
; NumSGPRsForWavesPerEU: 18
; NumVGPRsForWavesPerEU: 13
; Occupancy: 16
; WaveLimiterHint : 0
; COMPUTE_PGM_RSRC2:SCRATCH_EN: 0
; COMPUTE_PGM_RSRC2:USER_SGPR: 6
; COMPUTE_PGM_RSRC2:TRAP_HANDLER: 0
; COMPUTE_PGM_RSRC2:TGID_X_EN: 1
; COMPUTE_PGM_RSRC2:TGID_Y_EN: 0
; COMPUTE_PGM_RSRC2:TGID_Z_EN: 0
; COMPUTE_PGM_RSRC2:TIDIG_COMP_CNT: 0
	.section	.text._ZN7rocprim17ROCPRIM_400000_NS6detail17trampoline_kernelINS0_14default_configENS1_21merge_config_selectorINS0_5tupleIJffEEENS0_10empty_typeEEEZNS1_10merge_implIS3_NS0_12zip_iteratorINS5_IJN6thrust23THRUST_200600_302600_NS6detail15normal_iteratorINSC_10device_ptrIKfEEEESI_EEEEESK_NSA_INS5_IJNSE_INSF_IfEEEESM_EEEEEPS7_SP_SP_NSC_11hip_rocprim7__merge17predicate_wrapperIffNSC_7greaterIfEEEEEE10hipError_tPvRmT0_T1_T2_T3_T4_T5_mmT6_P12ihipStream_tbEUlT_E0_NS1_11comp_targetILNS1_3genE0ELNS1_11target_archE4294967295ELNS1_3gpuE0ELNS1_3repE0EEENS1_30default_config_static_selectorELNS0_4arch9wavefront6targetE0EEEvS10_,"axG",@progbits,_ZN7rocprim17ROCPRIM_400000_NS6detail17trampoline_kernelINS0_14default_configENS1_21merge_config_selectorINS0_5tupleIJffEEENS0_10empty_typeEEEZNS1_10merge_implIS3_NS0_12zip_iteratorINS5_IJN6thrust23THRUST_200600_302600_NS6detail15normal_iteratorINSC_10device_ptrIKfEEEESI_EEEEESK_NSA_INS5_IJNSE_INSF_IfEEEESM_EEEEEPS7_SP_SP_NSC_11hip_rocprim7__merge17predicate_wrapperIffNSC_7greaterIfEEEEEE10hipError_tPvRmT0_T1_T2_T3_T4_T5_mmT6_P12ihipStream_tbEUlT_E0_NS1_11comp_targetILNS1_3genE0ELNS1_11target_archE4294967295ELNS1_3gpuE0ELNS1_3repE0EEENS1_30default_config_static_selectorELNS0_4arch9wavefront6targetE0EEEvS10_,comdat
	.protected	_ZN7rocprim17ROCPRIM_400000_NS6detail17trampoline_kernelINS0_14default_configENS1_21merge_config_selectorINS0_5tupleIJffEEENS0_10empty_typeEEEZNS1_10merge_implIS3_NS0_12zip_iteratorINS5_IJN6thrust23THRUST_200600_302600_NS6detail15normal_iteratorINSC_10device_ptrIKfEEEESI_EEEEESK_NSA_INS5_IJNSE_INSF_IfEEEESM_EEEEEPS7_SP_SP_NSC_11hip_rocprim7__merge17predicate_wrapperIffNSC_7greaterIfEEEEEE10hipError_tPvRmT0_T1_T2_T3_T4_T5_mmT6_P12ihipStream_tbEUlT_E0_NS1_11comp_targetILNS1_3genE0ELNS1_11target_archE4294967295ELNS1_3gpuE0ELNS1_3repE0EEENS1_30default_config_static_selectorELNS0_4arch9wavefront6targetE0EEEvS10_ ; -- Begin function _ZN7rocprim17ROCPRIM_400000_NS6detail17trampoline_kernelINS0_14default_configENS1_21merge_config_selectorINS0_5tupleIJffEEENS0_10empty_typeEEEZNS1_10merge_implIS3_NS0_12zip_iteratorINS5_IJN6thrust23THRUST_200600_302600_NS6detail15normal_iteratorINSC_10device_ptrIKfEEEESI_EEEEESK_NSA_INS5_IJNSE_INSF_IfEEEESM_EEEEEPS7_SP_SP_NSC_11hip_rocprim7__merge17predicate_wrapperIffNSC_7greaterIfEEEEEE10hipError_tPvRmT0_T1_T2_T3_T4_T5_mmT6_P12ihipStream_tbEUlT_E0_NS1_11comp_targetILNS1_3genE0ELNS1_11target_archE4294967295ELNS1_3gpuE0ELNS1_3repE0EEENS1_30default_config_static_selectorELNS0_4arch9wavefront6targetE0EEEvS10_
	.globl	_ZN7rocprim17ROCPRIM_400000_NS6detail17trampoline_kernelINS0_14default_configENS1_21merge_config_selectorINS0_5tupleIJffEEENS0_10empty_typeEEEZNS1_10merge_implIS3_NS0_12zip_iteratorINS5_IJN6thrust23THRUST_200600_302600_NS6detail15normal_iteratorINSC_10device_ptrIKfEEEESI_EEEEESK_NSA_INS5_IJNSE_INSF_IfEEEESM_EEEEEPS7_SP_SP_NSC_11hip_rocprim7__merge17predicate_wrapperIffNSC_7greaterIfEEEEEE10hipError_tPvRmT0_T1_T2_T3_T4_T5_mmT6_P12ihipStream_tbEUlT_E0_NS1_11comp_targetILNS1_3genE0ELNS1_11target_archE4294967295ELNS1_3gpuE0ELNS1_3repE0EEENS1_30default_config_static_selectorELNS0_4arch9wavefront6targetE0EEEvS10_
	.p2align	8
	.type	_ZN7rocprim17ROCPRIM_400000_NS6detail17trampoline_kernelINS0_14default_configENS1_21merge_config_selectorINS0_5tupleIJffEEENS0_10empty_typeEEEZNS1_10merge_implIS3_NS0_12zip_iteratorINS5_IJN6thrust23THRUST_200600_302600_NS6detail15normal_iteratorINSC_10device_ptrIKfEEEESI_EEEEESK_NSA_INS5_IJNSE_INSF_IfEEEESM_EEEEEPS7_SP_SP_NSC_11hip_rocprim7__merge17predicate_wrapperIffNSC_7greaterIfEEEEEE10hipError_tPvRmT0_T1_T2_T3_T4_T5_mmT6_P12ihipStream_tbEUlT_E0_NS1_11comp_targetILNS1_3genE0ELNS1_11target_archE4294967295ELNS1_3gpuE0ELNS1_3repE0EEENS1_30default_config_static_selectorELNS0_4arch9wavefront6targetE0EEEvS10_,@function
_ZN7rocprim17ROCPRIM_400000_NS6detail17trampoline_kernelINS0_14default_configENS1_21merge_config_selectorINS0_5tupleIJffEEENS0_10empty_typeEEEZNS1_10merge_implIS3_NS0_12zip_iteratorINS5_IJN6thrust23THRUST_200600_302600_NS6detail15normal_iteratorINSC_10device_ptrIKfEEEESI_EEEEESK_NSA_INS5_IJNSE_INSF_IfEEEESM_EEEEEPS7_SP_SP_NSC_11hip_rocprim7__merge17predicate_wrapperIffNSC_7greaterIfEEEEEE10hipError_tPvRmT0_T1_T2_T3_T4_T5_mmT6_P12ihipStream_tbEUlT_E0_NS1_11comp_targetILNS1_3genE0ELNS1_11target_archE4294967295ELNS1_3gpuE0ELNS1_3repE0EEENS1_30default_config_static_selectorELNS0_4arch9wavefront6targetE0EEEvS10_: ; @_ZN7rocprim17ROCPRIM_400000_NS6detail17trampoline_kernelINS0_14default_configENS1_21merge_config_selectorINS0_5tupleIJffEEENS0_10empty_typeEEEZNS1_10merge_implIS3_NS0_12zip_iteratorINS5_IJN6thrust23THRUST_200600_302600_NS6detail15normal_iteratorINSC_10device_ptrIKfEEEESI_EEEEESK_NSA_INS5_IJNSE_INSF_IfEEEESM_EEEEEPS7_SP_SP_NSC_11hip_rocprim7__merge17predicate_wrapperIffNSC_7greaterIfEEEEEE10hipError_tPvRmT0_T1_T2_T3_T4_T5_mmT6_P12ihipStream_tbEUlT_E0_NS1_11comp_targetILNS1_3genE0ELNS1_11target_archE4294967295ELNS1_3gpuE0ELNS1_3repE0EEENS1_30default_config_static_selectorELNS0_4arch9wavefront6targetE0EEEvS10_
; %bb.0:
	.section	.rodata,"a",@progbits
	.p2align	6, 0x0
	.amdhsa_kernel _ZN7rocprim17ROCPRIM_400000_NS6detail17trampoline_kernelINS0_14default_configENS1_21merge_config_selectorINS0_5tupleIJffEEENS0_10empty_typeEEEZNS1_10merge_implIS3_NS0_12zip_iteratorINS5_IJN6thrust23THRUST_200600_302600_NS6detail15normal_iteratorINSC_10device_ptrIKfEEEESI_EEEEESK_NSA_INS5_IJNSE_INSF_IfEEEESM_EEEEEPS7_SP_SP_NSC_11hip_rocprim7__merge17predicate_wrapperIffNSC_7greaterIfEEEEEE10hipError_tPvRmT0_T1_T2_T3_T4_T5_mmT6_P12ihipStream_tbEUlT_E0_NS1_11comp_targetILNS1_3genE0ELNS1_11target_archE4294967295ELNS1_3gpuE0ELNS1_3repE0EEENS1_30default_config_static_selectorELNS0_4arch9wavefront6targetE0EEEvS10_
		.amdhsa_group_segment_fixed_size 0
		.amdhsa_private_segment_fixed_size 0
		.amdhsa_kernarg_size 112
		.amdhsa_user_sgpr_count 6
		.amdhsa_user_sgpr_private_segment_buffer 1
		.amdhsa_user_sgpr_dispatch_ptr 0
		.amdhsa_user_sgpr_queue_ptr 0
		.amdhsa_user_sgpr_kernarg_segment_ptr 1
		.amdhsa_user_sgpr_dispatch_id 0
		.amdhsa_user_sgpr_flat_scratch_init 0
		.amdhsa_user_sgpr_private_segment_size 0
		.amdhsa_wavefront_size32 1
		.amdhsa_uses_dynamic_stack 0
		.amdhsa_system_sgpr_private_segment_wavefront_offset 0
		.amdhsa_system_sgpr_workgroup_id_x 1
		.amdhsa_system_sgpr_workgroup_id_y 0
		.amdhsa_system_sgpr_workgroup_id_z 0
		.amdhsa_system_sgpr_workgroup_info 0
		.amdhsa_system_vgpr_workitem_id 0
		.amdhsa_next_free_vgpr 1
		.amdhsa_next_free_sgpr 1
		.amdhsa_reserve_vcc 0
		.amdhsa_reserve_flat_scratch 0
		.amdhsa_float_round_mode_32 0
		.amdhsa_float_round_mode_16_64 0
		.amdhsa_float_denorm_mode_32 3
		.amdhsa_float_denorm_mode_16_64 3
		.amdhsa_dx10_clamp 1
		.amdhsa_ieee_mode 1
		.amdhsa_fp16_overflow 0
		.amdhsa_workgroup_processor_mode 1
		.amdhsa_memory_ordered 1
		.amdhsa_forward_progress 1
		.amdhsa_shared_vgpr_count 0
		.amdhsa_exception_fp_ieee_invalid_op 0
		.amdhsa_exception_fp_denorm_src 0
		.amdhsa_exception_fp_ieee_div_zero 0
		.amdhsa_exception_fp_ieee_overflow 0
		.amdhsa_exception_fp_ieee_underflow 0
		.amdhsa_exception_fp_ieee_inexact 0
		.amdhsa_exception_int_div_zero 0
	.end_amdhsa_kernel
	.section	.text._ZN7rocprim17ROCPRIM_400000_NS6detail17trampoline_kernelINS0_14default_configENS1_21merge_config_selectorINS0_5tupleIJffEEENS0_10empty_typeEEEZNS1_10merge_implIS3_NS0_12zip_iteratorINS5_IJN6thrust23THRUST_200600_302600_NS6detail15normal_iteratorINSC_10device_ptrIKfEEEESI_EEEEESK_NSA_INS5_IJNSE_INSF_IfEEEESM_EEEEEPS7_SP_SP_NSC_11hip_rocprim7__merge17predicate_wrapperIffNSC_7greaterIfEEEEEE10hipError_tPvRmT0_T1_T2_T3_T4_T5_mmT6_P12ihipStream_tbEUlT_E0_NS1_11comp_targetILNS1_3genE0ELNS1_11target_archE4294967295ELNS1_3gpuE0ELNS1_3repE0EEENS1_30default_config_static_selectorELNS0_4arch9wavefront6targetE0EEEvS10_,"axG",@progbits,_ZN7rocprim17ROCPRIM_400000_NS6detail17trampoline_kernelINS0_14default_configENS1_21merge_config_selectorINS0_5tupleIJffEEENS0_10empty_typeEEEZNS1_10merge_implIS3_NS0_12zip_iteratorINS5_IJN6thrust23THRUST_200600_302600_NS6detail15normal_iteratorINSC_10device_ptrIKfEEEESI_EEEEESK_NSA_INS5_IJNSE_INSF_IfEEEESM_EEEEEPS7_SP_SP_NSC_11hip_rocprim7__merge17predicate_wrapperIffNSC_7greaterIfEEEEEE10hipError_tPvRmT0_T1_T2_T3_T4_T5_mmT6_P12ihipStream_tbEUlT_E0_NS1_11comp_targetILNS1_3genE0ELNS1_11target_archE4294967295ELNS1_3gpuE0ELNS1_3repE0EEENS1_30default_config_static_selectorELNS0_4arch9wavefront6targetE0EEEvS10_,comdat
.Lfunc_end344:
	.size	_ZN7rocprim17ROCPRIM_400000_NS6detail17trampoline_kernelINS0_14default_configENS1_21merge_config_selectorINS0_5tupleIJffEEENS0_10empty_typeEEEZNS1_10merge_implIS3_NS0_12zip_iteratorINS5_IJN6thrust23THRUST_200600_302600_NS6detail15normal_iteratorINSC_10device_ptrIKfEEEESI_EEEEESK_NSA_INS5_IJNSE_INSF_IfEEEESM_EEEEEPS7_SP_SP_NSC_11hip_rocprim7__merge17predicate_wrapperIffNSC_7greaterIfEEEEEE10hipError_tPvRmT0_T1_T2_T3_T4_T5_mmT6_P12ihipStream_tbEUlT_E0_NS1_11comp_targetILNS1_3genE0ELNS1_11target_archE4294967295ELNS1_3gpuE0ELNS1_3repE0EEENS1_30default_config_static_selectorELNS0_4arch9wavefront6targetE0EEEvS10_, .Lfunc_end344-_ZN7rocprim17ROCPRIM_400000_NS6detail17trampoline_kernelINS0_14default_configENS1_21merge_config_selectorINS0_5tupleIJffEEENS0_10empty_typeEEEZNS1_10merge_implIS3_NS0_12zip_iteratorINS5_IJN6thrust23THRUST_200600_302600_NS6detail15normal_iteratorINSC_10device_ptrIKfEEEESI_EEEEESK_NSA_INS5_IJNSE_INSF_IfEEEESM_EEEEEPS7_SP_SP_NSC_11hip_rocprim7__merge17predicate_wrapperIffNSC_7greaterIfEEEEEE10hipError_tPvRmT0_T1_T2_T3_T4_T5_mmT6_P12ihipStream_tbEUlT_E0_NS1_11comp_targetILNS1_3genE0ELNS1_11target_archE4294967295ELNS1_3gpuE0ELNS1_3repE0EEENS1_30default_config_static_selectorELNS0_4arch9wavefront6targetE0EEEvS10_
                                        ; -- End function
	.set _ZN7rocprim17ROCPRIM_400000_NS6detail17trampoline_kernelINS0_14default_configENS1_21merge_config_selectorINS0_5tupleIJffEEENS0_10empty_typeEEEZNS1_10merge_implIS3_NS0_12zip_iteratorINS5_IJN6thrust23THRUST_200600_302600_NS6detail15normal_iteratorINSC_10device_ptrIKfEEEESI_EEEEESK_NSA_INS5_IJNSE_INSF_IfEEEESM_EEEEEPS7_SP_SP_NSC_11hip_rocprim7__merge17predicate_wrapperIffNSC_7greaterIfEEEEEE10hipError_tPvRmT0_T1_T2_T3_T4_T5_mmT6_P12ihipStream_tbEUlT_E0_NS1_11comp_targetILNS1_3genE0ELNS1_11target_archE4294967295ELNS1_3gpuE0ELNS1_3repE0EEENS1_30default_config_static_selectorELNS0_4arch9wavefront6targetE0EEEvS10_.num_vgpr, 0
	.set _ZN7rocprim17ROCPRIM_400000_NS6detail17trampoline_kernelINS0_14default_configENS1_21merge_config_selectorINS0_5tupleIJffEEENS0_10empty_typeEEEZNS1_10merge_implIS3_NS0_12zip_iteratorINS5_IJN6thrust23THRUST_200600_302600_NS6detail15normal_iteratorINSC_10device_ptrIKfEEEESI_EEEEESK_NSA_INS5_IJNSE_INSF_IfEEEESM_EEEEEPS7_SP_SP_NSC_11hip_rocprim7__merge17predicate_wrapperIffNSC_7greaterIfEEEEEE10hipError_tPvRmT0_T1_T2_T3_T4_T5_mmT6_P12ihipStream_tbEUlT_E0_NS1_11comp_targetILNS1_3genE0ELNS1_11target_archE4294967295ELNS1_3gpuE0ELNS1_3repE0EEENS1_30default_config_static_selectorELNS0_4arch9wavefront6targetE0EEEvS10_.num_agpr, 0
	.set _ZN7rocprim17ROCPRIM_400000_NS6detail17trampoline_kernelINS0_14default_configENS1_21merge_config_selectorINS0_5tupleIJffEEENS0_10empty_typeEEEZNS1_10merge_implIS3_NS0_12zip_iteratorINS5_IJN6thrust23THRUST_200600_302600_NS6detail15normal_iteratorINSC_10device_ptrIKfEEEESI_EEEEESK_NSA_INS5_IJNSE_INSF_IfEEEESM_EEEEEPS7_SP_SP_NSC_11hip_rocprim7__merge17predicate_wrapperIffNSC_7greaterIfEEEEEE10hipError_tPvRmT0_T1_T2_T3_T4_T5_mmT6_P12ihipStream_tbEUlT_E0_NS1_11comp_targetILNS1_3genE0ELNS1_11target_archE4294967295ELNS1_3gpuE0ELNS1_3repE0EEENS1_30default_config_static_selectorELNS0_4arch9wavefront6targetE0EEEvS10_.numbered_sgpr, 0
	.set _ZN7rocprim17ROCPRIM_400000_NS6detail17trampoline_kernelINS0_14default_configENS1_21merge_config_selectorINS0_5tupleIJffEEENS0_10empty_typeEEEZNS1_10merge_implIS3_NS0_12zip_iteratorINS5_IJN6thrust23THRUST_200600_302600_NS6detail15normal_iteratorINSC_10device_ptrIKfEEEESI_EEEEESK_NSA_INS5_IJNSE_INSF_IfEEEESM_EEEEEPS7_SP_SP_NSC_11hip_rocprim7__merge17predicate_wrapperIffNSC_7greaterIfEEEEEE10hipError_tPvRmT0_T1_T2_T3_T4_T5_mmT6_P12ihipStream_tbEUlT_E0_NS1_11comp_targetILNS1_3genE0ELNS1_11target_archE4294967295ELNS1_3gpuE0ELNS1_3repE0EEENS1_30default_config_static_selectorELNS0_4arch9wavefront6targetE0EEEvS10_.num_named_barrier, 0
	.set _ZN7rocprim17ROCPRIM_400000_NS6detail17trampoline_kernelINS0_14default_configENS1_21merge_config_selectorINS0_5tupleIJffEEENS0_10empty_typeEEEZNS1_10merge_implIS3_NS0_12zip_iteratorINS5_IJN6thrust23THRUST_200600_302600_NS6detail15normal_iteratorINSC_10device_ptrIKfEEEESI_EEEEESK_NSA_INS5_IJNSE_INSF_IfEEEESM_EEEEEPS7_SP_SP_NSC_11hip_rocprim7__merge17predicate_wrapperIffNSC_7greaterIfEEEEEE10hipError_tPvRmT0_T1_T2_T3_T4_T5_mmT6_P12ihipStream_tbEUlT_E0_NS1_11comp_targetILNS1_3genE0ELNS1_11target_archE4294967295ELNS1_3gpuE0ELNS1_3repE0EEENS1_30default_config_static_selectorELNS0_4arch9wavefront6targetE0EEEvS10_.private_seg_size, 0
	.set _ZN7rocprim17ROCPRIM_400000_NS6detail17trampoline_kernelINS0_14default_configENS1_21merge_config_selectorINS0_5tupleIJffEEENS0_10empty_typeEEEZNS1_10merge_implIS3_NS0_12zip_iteratorINS5_IJN6thrust23THRUST_200600_302600_NS6detail15normal_iteratorINSC_10device_ptrIKfEEEESI_EEEEESK_NSA_INS5_IJNSE_INSF_IfEEEESM_EEEEEPS7_SP_SP_NSC_11hip_rocprim7__merge17predicate_wrapperIffNSC_7greaterIfEEEEEE10hipError_tPvRmT0_T1_T2_T3_T4_T5_mmT6_P12ihipStream_tbEUlT_E0_NS1_11comp_targetILNS1_3genE0ELNS1_11target_archE4294967295ELNS1_3gpuE0ELNS1_3repE0EEENS1_30default_config_static_selectorELNS0_4arch9wavefront6targetE0EEEvS10_.uses_vcc, 0
	.set _ZN7rocprim17ROCPRIM_400000_NS6detail17trampoline_kernelINS0_14default_configENS1_21merge_config_selectorINS0_5tupleIJffEEENS0_10empty_typeEEEZNS1_10merge_implIS3_NS0_12zip_iteratorINS5_IJN6thrust23THRUST_200600_302600_NS6detail15normal_iteratorINSC_10device_ptrIKfEEEESI_EEEEESK_NSA_INS5_IJNSE_INSF_IfEEEESM_EEEEEPS7_SP_SP_NSC_11hip_rocprim7__merge17predicate_wrapperIffNSC_7greaterIfEEEEEE10hipError_tPvRmT0_T1_T2_T3_T4_T5_mmT6_P12ihipStream_tbEUlT_E0_NS1_11comp_targetILNS1_3genE0ELNS1_11target_archE4294967295ELNS1_3gpuE0ELNS1_3repE0EEENS1_30default_config_static_selectorELNS0_4arch9wavefront6targetE0EEEvS10_.uses_flat_scratch, 0
	.set _ZN7rocprim17ROCPRIM_400000_NS6detail17trampoline_kernelINS0_14default_configENS1_21merge_config_selectorINS0_5tupleIJffEEENS0_10empty_typeEEEZNS1_10merge_implIS3_NS0_12zip_iteratorINS5_IJN6thrust23THRUST_200600_302600_NS6detail15normal_iteratorINSC_10device_ptrIKfEEEESI_EEEEESK_NSA_INS5_IJNSE_INSF_IfEEEESM_EEEEEPS7_SP_SP_NSC_11hip_rocprim7__merge17predicate_wrapperIffNSC_7greaterIfEEEEEE10hipError_tPvRmT0_T1_T2_T3_T4_T5_mmT6_P12ihipStream_tbEUlT_E0_NS1_11comp_targetILNS1_3genE0ELNS1_11target_archE4294967295ELNS1_3gpuE0ELNS1_3repE0EEENS1_30default_config_static_selectorELNS0_4arch9wavefront6targetE0EEEvS10_.has_dyn_sized_stack, 0
	.set _ZN7rocprim17ROCPRIM_400000_NS6detail17trampoline_kernelINS0_14default_configENS1_21merge_config_selectorINS0_5tupleIJffEEENS0_10empty_typeEEEZNS1_10merge_implIS3_NS0_12zip_iteratorINS5_IJN6thrust23THRUST_200600_302600_NS6detail15normal_iteratorINSC_10device_ptrIKfEEEESI_EEEEESK_NSA_INS5_IJNSE_INSF_IfEEEESM_EEEEEPS7_SP_SP_NSC_11hip_rocprim7__merge17predicate_wrapperIffNSC_7greaterIfEEEEEE10hipError_tPvRmT0_T1_T2_T3_T4_T5_mmT6_P12ihipStream_tbEUlT_E0_NS1_11comp_targetILNS1_3genE0ELNS1_11target_archE4294967295ELNS1_3gpuE0ELNS1_3repE0EEENS1_30default_config_static_selectorELNS0_4arch9wavefront6targetE0EEEvS10_.has_recursion, 0
	.set _ZN7rocprim17ROCPRIM_400000_NS6detail17trampoline_kernelINS0_14default_configENS1_21merge_config_selectorINS0_5tupleIJffEEENS0_10empty_typeEEEZNS1_10merge_implIS3_NS0_12zip_iteratorINS5_IJN6thrust23THRUST_200600_302600_NS6detail15normal_iteratorINSC_10device_ptrIKfEEEESI_EEEEESK_NSA_INS5_IJNSE_INSF_IfEEEESM_EEEEEPS7_SP_SP_NSC_11hip_rocprim7__merge17predicate_wrapperIffNSC_7greaterIfEEEEEE10hipError_tPvRmT0_T1_T2_T3_T4_T5_mmT6_P12ihipStream_tbEUlT_E0_NS1_11comp_targetILNS1_3genE0ELNS1_11target_archE4294967295ELNS1_3gpuE0ELNS1_3repE0EEENS1_30default_config_static_selectorELNS0_4arch9wavefront6targetE0EEEvS10_.has_indirect_call, 0
	.section	.AMDGPU.csdata,"",@progbits
; Kernel info:
; codeLenInByte = 0
; TotalNumSgprs: 0
; NumVgprs: 0
; ScratchSize: 0
; MemoryBound: 0
; FloatMode: 240
; IeeeMode: 1
; LDSByteSize: 0 bytes/workgroup (compile time only)
; SGPRBlocks: 0
; VGPRBlocks: 0
; NumSGPRsForWavesPerEU: 1
; NumVGPRsForWavesPerEU: 1
; Occupancy: 16
; WaveLimiterHint : 0
; COMPUTE_PGM_RSRC2:SCRATCH_EN: 0
; COMPUTE_PGM_RSRC2:USER_SGPR: 6
; COMPUTE_PGM_RSRC2:TRAP_HANDLER: 0
; COMPUTE_PGM_RSRC2:TGID_X_EN: 1
; COMPUTE_PGM_RSRC2:TGID_Y_EN: 0
; COMPUTE_PGM_RSRC2:TGID_Z_EN: 0
; COMPUTE_PGM_RSRC2:TIDIG_COMP_CNT: 0
	.section	.text._ZN7rocprim17ROCPRIM_400000_NS6detail17trampoline_kernelINS0_14default_configENS1_21merge_config_selectorINS0_5tupleIJffEEENS0_10empty_typeEEEZNS1_10merge_implIS3_NS0_12zip_iteratorINS5_IJN6thrust23THRUST_200600_302600_NS6detail15normal_iteratorINSC_10device_ptrIKfEEEESI_EEEEESK_NSA_INS5_IJNSE_INSF_IfEEEESM_EEEEEPS7_SP_SP_NSC_11hip_rocprim7__merge17predicate_wrapperIffNSC_7greaterIfEEEEEE10hipError_tPvRmT0_T1_T2_T3_T4_T5_mmT6_P12ihipStream_tbEUlT_E0_NS1_11comp_targetILNS1_3genE5ELNS1_11target_archE942ELNS1_3gpuE9ELNS1_3repE0EEENS1_30default_config_static_selectorELNS0_4arch9wavefront6targetE0EEEvS10_,"axG",@progbits,_ZN7rocprim17ROCPRIM_400000_NS6detail17trampoline_kernelINS0_14default_configENS1_21merge_config_selectorINS0_5tupleIJffEEENS0_10empty_typeEEEZNS1_10merge_implIS3_NS0_12zip_iteratorINS5_IJN6thrust23THRUST_200600_302600_NS6detail15normal_iteratorINSC_10device_ptrIKfEEEESI_EEEEESK_NSA_INS5_IJNSE_INSF_IfEEEESM_EEEEEPS7_SP_SP_NSC_11hip_rocprim7__merge17predicate_wrapperIffNSC_7greaterIfEEEEEE10hipError_tPvRmT0_T1_T2_T3_T4_T5_mmT6_P12ihipStream_tbEUlT_E0_NS1_11comp_targetILNS1_3genE5ELNS1_11target_archE942ELNS1_3gpuE9ELNS1_3repE0EEENS1_30default_config_static_selectorELNS0_4arch9wavefront6targetE0EEEvS10_,comdat
	.protected	_ZN7rocprim17ROCPRIM_400000_NS6detail17trampoline_kernelINS0_14default_configENS1_21merge_config_selectorINS0_5tupleIJffEEENS0_10empty_typeEEEZNS1_10merge_implIS3_NS0_12zip_iteratorINS5_IJN6thrust23THRUST_200600_302600_NS6detail15normal_iteratorINSC_10device_ptrIKfEEEESI_EEEEESK_NSA_INS5_IJNSE_INSF_IfEEEESM_EEEEEPS7_SP_SP_NSC_11hip_rocprim7__merge17predicate_wrapperIffNSC_7greaterIfEEEEEE10hipError_tPvRmT0_T1_T2_T3_T4_T5_mmT6_P12ihipStream_tbEUlT_E0_NS1_11comp_targetILNS1_3genE5ELNS1_11target_archE942ELNS1_3gpuE9ELNS1_3repE0EEENS1_30default_config_static_selectorELNS0_4arch9wavefront6targetE0EEEvS10_ ; -- Begin function _ZN7rocprim17ROCPRIM_400000_NS6detail17trampoline_kernelINS0_14default_configENS1_21merge_config_selectorINS0_5tupleIJffEEENS0_10empty_typeEEEZNS1_10merge_implIS3_NS0_12zip_iteratorINS5_IJN6thrust23THRUST_200600_302600_NS6detail15normal_iteratorINSC_10device_ptrIKfEEEESI_EEEEESK_NSA_INS5_IJNSE_INSF_IfEEEESM_EEEEEPS7_SP_SP_NSC_11hip_rocprim7__merge17predicate_wrapperIffNSC_7greaterIfEEEEEE10hipError_tPvRmT0_T1_T2_T3_T4_T5_mmT6_P12ihipStream_tbEUlT_E0_NS1_11comp_targetILNS1_3genE5ELNS1_11target_archE942ELNS1_3gpuE9ELNS1_3repE0EEENS1_30default_config_static_selectorELNS0_4arch9wavefront6targetE0EEEvS10_
	.globl	_ZN7rocprim17ROCPRIM_400000_NS6detail17trampoline_kernelINS0_14default_configENS1_21merge_config_selectorINS0_5tupleIJffEEENS0_10empty_typeEEEZNS1_10merge_implIS3_NS0_12zip_iteratorINS5_IJN6thrust23THRUST_200600_302600_NS6detail15normal_iteratorINSC_10device_ptrIKfEEEESI_EEEEESK_NSA_INS5_IJNSE_INSF_IfEEEESM_EEEEEPS7_SP_SP_NSC_11hip_rocprim7__merge17predicate_wrapperIffNSC_7greaterIfEEEEEE10hipError_tPvRmT0_T1_T2_T3_T4_T5_mmT6_P12ihipStream_tbEUlT_E0_NS1_11comp_targetILNS1_3genE5ELNS1_11target_archE942ELNS1_3gpuE9ELNS1_3repE0EEENS1_30default_config_static_selectorELNS0_4arch9wavefront6targetE0EEEvS10_
	.p2align	8
	.type	_ZN7rocprim17ROCPRIM_400000_NS6detail17trampoline_kernelINS0_14default_configENS1_21merge_config_selectorINS0_5tupleIJffEEENS0_10empty_typeEEEZNS1_10merge_implIS3_NS0_12zip_iteratorINS5_IJN6thrust23THRUST_200600_302600_NS6detail15normal_iteratorINSC_10device_ptrIKfEEEESI_EEEEESK_NSA_INS5_IJNSE_INSF_IfEEEESM_EEEEEPS7_SP_SP_NSC_11hip_rocprim7__merge17predicate_wrapperIffNSC_7greaterIfEEEEEE10hipError_tPvRmT0_T1_T2_T3_T4_T5_mmT6_P12ihipStream_tbEUlT_E0_NS1_11comp_targetILNS1_3genE5ELNS1_11target_archE942ELNS1_3gpuE9ELNS1_3repE0EEENS1_30default_config_static_selectorELNS0_4arch9wavefront6targetE0EEEvS10_,@function
_ZN7rocprim17ROCPRIM_400000_NS6detail17trampoline_kernelINS0_14default_configENS1_21merge_config_selectorINS0_5tupleIJffEEENS0_10empty_typeEEEZNS1_10merge_implIS3_NS0_12zip_iteratorINS5_IJN6thrust23THRUST_200600_302600_NS6detail15normal_iteratorINSC_10device_ptrIKfEEEESI_EEEEESK_NSA_INS5_IJNSE_INSF_IfEEEESM_EEEEEPS7_SP_SP_NSC_11hip_rocprim7__merge17predicate_wrapperIffNSC_7greaterIfEEEEEE10hipError_tPvRmT0_T1_T2_T3_T4_T5_mmT6_P12ihipStream_tbEUlT_E0_NS1_11comp_targetILNS1_3genE5ELNS1_11target_archE942ELNS1_3gpuE9ELNS1_3repE0EEENS1_30default_config_static_selectorELNS0_4arch9wavefront6targetE0EEEvS10_: ; @_ZN7rocprim17ROCPRIM_400000_NS6detail17trampoline_kernelINS0_14default_configENS1_21merge_config_selectorINS0_5tupleIJffEEENS0_10empty_typeEEEZNS1_10merge_implIS3_NS0_12zip_iteratorINS5_IJN6thrust23THRUST_200600_302600_NS6detail15normal_iteratorINSC_10device_ptrIKfEEEESI_EEEEESK_NSA_INS5_IJNSE_INSF_IfEEEESM_EEEEEPS7_SP_SP_NSC_11hip_rocprim7__merge17predicate_wrapperIffNSC_7greaterIfEEEEEE10hipError_tPvRmT0_T1_T2_T3_T4_T5_mmT6_P12ihipStream_tbEUlT_E0_NS1_11comp_targetILNS1_3genE5ELNS1_11target_archE942ELNS1_3gpuE9ELNS1_3repE0EEENS1_30default_config_static_selectorELNS0_4arch9wavefront6targetE0EEEvS10_
; %bb.0:
	.section	.rodata,"a",@progbits
	.p2align	6, 0x0
	.amdhsa_kernel _ZN7rocprim17ROCPRIM_400000_NS6detail17trampoline_kernelINS0_14default_configENS1_21merge_config_selectorINS0_5tupleIJffEEENS0_10empty_typeEEEZNS1_10merge_implIS3_NS0_12zip_iteratorINS5_IJN6thrust23THRUST_200600_302600_NS6detail15normal_iteratorINSC_10device_ptrIKfEEEESI_EEEEESK_NSA_INS5_IJNSE_INSF_IfEEEESM_EEEEEPS7_SP_SP_NSC_11hip_rocprim7__merge17predicate_wrapperIffNSC_7greaterIfEEEEEE10hipError_tPvRmT0_T1_T2_T3_T4_T5_mmT6_P12ihipStream_tbEUlT_E0_NS1_11comp_targetILNS1_3genE5ELNS1_11target_archE942ELNS1_3gpuE9ELNS1_3repE0EEENS1_30default_config_static_selectorELNS0_4arch9wavefront6targetE0EEEvS10_
		.amdhsa_group_segment_fixed_size 0
		.amdhsa_private_segment_fixed_size 0
		.amdhsa_kernarg_size 112
		.amdhsa_user_sgpr_count 6
		.amdhsa_user_sgpr_private_segment_buffer 1
		.amdhsa_user_sgpr_dispatch_ptr 0
		.amdhsa_user_sgpr_queue_ptr 0
		.amdhsa_user_sgpr_kernarg_segment_ptr 1
		.amdhsa_user_sgpr_dispatch_id 0
		.amdhsa_user_sgpr_flat_scratch_init 0
		.amdhsa_user_sgpr_private_segment_size 0
		.amdhsa_wavefront_size32 1
		.amdhsa_uses_dynamic_stack 0
		.amdhsa_system_sgpr_private_segment_wavefront_offset 0
		.amdhsa_system_sgpr_workgroup_id_x 1
		.amdhsa_system_sgpr_workgroup_id_y 0
		.amdhsa_system_sgpr_workgroup_id_z 0
		.amdhsa_system_sgpr_workgroup_info 0
		.amdhsa_system_vgpr_workitem_id 0
		.amdhsa_next_free_vgpr 1
		.amdhsa_next_free_sgpr 1
		.amdhsa_reserve_vcc 0
		.amdhsa_reserve_flat_scratch 0
		.amdhsa_float_round_mode_32 0
		.amdhsa_float_round_mode_16_64 0
		.amdhsa_float_denorm_mode_32 3
		.amdhsa_float_denorm_mode_16_64 3
		.amdhsa_dx10_clamp 1
		.amdhsa_ieee_mode 1
		.amdhsa_fp16_overflow 0
		.amdhsa_workgroup_processor_mode 1
		.amdhsa_memory_ordered 1
		.amdhsa_forward_progress 1
		.amdhsa_shared_vgpr_count 0
		.amdhsa_exception_fp_ieee_invalid_op 0
		.amdhsa_exception_fp_denorm_src 0
		.amdhsa_exception_fp_ieee_div_zero 0
		.amdhsa_exception_fp_ieee_overflow 0
		.amdhsa_exception_fp_ieee_underflow 0
		.amdhsa_exception_fp_ieee_inexact 0
		.amdhsa_exception_int_div_zero 0
	.end_amdhsa_kernel
	.section	.text._ZN7rocprim17ROCPRIM_400000_NS6detail17trampoline_kernelINS0_14default_configENS1_21merge_config_selectorINS0_5tupleIJffEEENS0_10empty_typeEEEZNS1_10merge_implIS3_NS0_12zip_iteratorINS5_IJN6thrust23THRUST_200600_302600_NS6detail15normal_iteratorINSC_10device_ptrIKfEEEESI_EEEEESK_NSA_INS5_IJNSE_INSF_IfEEEESM_EEEEEPS7_SP_SP_NSC_11hip_rocprim7__merge17predicate_wrapperIffNSC_7greaterIfEEEEEE10hipError_tPvRmT0_T1_T2_T3_T4_T5_mmT6_P12ihipStream_tbEUlT_E0_NS1_11comp_targetILNS1_3genE5ELNS1_11target_archE942ELNS1_3gpuE9ELNS1_3repE0EEENS1_30default_config_static_selectorELNS0_4arch9wavefront6targetE0EEEvS10_,"axG",@progbits,_ZN7rocprim17ROCPRIM_400000_NS6detail17trampoline_kernelINS0_14default_configENS1_21merge_config_selectorINS0_5tupleIJffEEENS0_10empty_typeEEEZNS1_10merge_implIS3_NS0_12zip_iteratorINS5_IJN6thrust23THRUST_200600_302600_NS6detail15normal_iteratorINSC_10device_ptrIKfEEEESI_EEEEESK_NSA_INS5_IJNSE_INSF_IfEEEESM_EEEEEPS7_SP_SP_NSC_11hip_rocprim7__merge17predicate_wrapperIffNSC_7greaterIfEEEEEE10hipError_tPvRmT0_T1_T2_T3_T4_T5_mmT6_P12ihipStream_tbEUlT_E0_NS1_11comp_targetILNS1_3genE5ELNS1_11target_archE942ELNS1_3gpuE9ELNS1_3repE0EEENS1_30default_config_static_selectorELNS0_4arch9wavefront6targetE0EEEvS10_,comdat
.Lfunc_end345:
	.size	_ZN7rocprim17ROCPRIM_400000_NS6detail17trampoline_kernelINS0_14default_configENS1_21merge_config_selectorINS0_5tupleIJffEEENS0_10empty_typeEEEZNS1_10merge_implIS3_NS0_12zip_iteratorINS5_IJN6thrust23THRUST_200600_302600_NS6detail15normal_iteratorINSC_10device_ptrIKfEEEESI_EEEEESK_NSA_INS5_IJNSE_INSF_IfEEEESM_EEEEEPS7_SP_SP_NSC_11hip_rocprim7__merge17predicate_wrapperIffNSC_7greaterIfEEEEEE10hipError_tPvRmT0_T1_T2_T3_T4_T5_mmT6_P12ihipStream_tbEUlT_E0_NS1_11comp_targetILNS1_3genE5ELNS1_11target_archE942ELNS1_3gpuE9ELNS1_3repE0EEENS1_30default_config_static_selectorELNS0_4arch9wavefront6targetE0EEEvS10_, .Lfunc_end345-_ZN7rocprim17ROCPRIM_400000_NS6detail17trampoline_kernelINS0_14default_configENS1_21merge_config_selectorINS0_5tupleIJffEEENS0_10empty_typeEEEZNS1_10merge_implIS3_NS0_12zip_iteratorINS5_IJN6thrust23THRUST_200600_302600_NS6detail15normal_iteratorINSC_10device_ptrIKfEEEESI_EEEEESK_NSA_INS5_IJNSE_INSF_IfEEEESM_EEEEEPS7_SP_SP_NSC_11hip_rocprim7__merge17predicate_wrapperIffNSC_7greaterIfEEEEEE10hipError_tPvRmT0_T1_T2_T3_T4_T5_mmT6_P12ihipStream_tbEUlT_E0_NS1_11comp_targetILNS1_3genE5ELNS1_11target_archE942ELNS1_3gpuE9ELNS1_3repE0EEENS1_30default_config_static_selectorELNS0_4arch9wavefront6targetE0EEEvS10_
                                        ; -- End function
	.set _ZN7rocprim17ROCPRIM_400000_NS6detail17trampoline_kernelINS0_14default_configENS1_21merge_config_selectorINS0_5tupleIJffEEENS0_10empty_typeEEEZNS1_10merge_implIS3_NS0_12zip_iteratorINS5_IJN6thrust23THRUST_200600_302600_NS6detail15normal_iteratorINSC_10device_ptrIKfEEEESI_EEEEESK_NSA_INS5_IJNSE_INSF_IfEEEESM_EEEEEPS7_SP_SP_NSC_11hip_rocprim7__merge17predicate_wrapperIffNSC_7greaterIfEEEEEE10hipError_tPvRmT0_T1_T2_T3_T4_T5_mmT6_P12ihipStream_tbEUlT_E0_NS1_11comp_targetILNS1_3genE5ELNS1_11target_archE942ELNS1_3gpuE9ELNS1_3repE0EEENS1_30default_config_static_selectorELNS0_4arch9wavefront6targetE0EEEvS10_.num_vgpr, 0
	.set _ZN7rocprim17ROCPRIM_400000_NS6detail17trampoline_kernelINS0_14default_configENS1_21merge_config_selectorINS0_5tupleIJffEEENS0_10empty_typeEEEZNS1_10merge_implIS3_NS0_12zip_iteratorINS5_IJN6thrust23THRUST_200600_302600_NS6detail15normal_iteratorINSC_10device_ptrIKfEEEESI_EEEEESK_NSA_INS5_IJNSE_INSF_IfEEEESM_EEEEEPS7_SP_SP_NSC_11hip_rocprim7__merge17predicate_wrapperIffNSC_7greaterIfEEEEEE10hipError_tPvRmT0_T1_T2_T3_T4_T5_mmT6_P12ihipStream_tbEUlT_E0_NS1_11comp_targetILNS1_3genE5ELNS1_11target_archE942ELNS1_3gpuE9ELNS1_3repE0EEENS1_30default_config_static_selectorELNS0_4arch9wavefront6targetE0EEEvS10_.num_agpr, 0
	.set _ZN7rocprim17ROCPRIM_400000_NS6detail17trampoline_kernelINS0_14default_configENS1_21merge_config_selectorINS0_5tupleIJffEEENS0_10empty_typeEEEZNS1_10merge_implIS3_NS0_12zip_iteratorINS5_IJN6thrust23THRUST_200600_302600_NS6detail15normal_iteratorINSC_10device_ptrIKfEEEESI_EEEEESK_NSA_INS5_IJNSE_INSF_IfEEEESM_EEEEEPS7_SP_SP_NSC_11hip_rocprim7__merge17predicate_wrapperIffNSC_7greaterIfEEEEEE10hipError_tPvRmT0_T1_T2_T3_T4_T5_mmT6_P12ihipStream_tbEUlT_E0_NS1_11comp_targetILNS1_3genE5ELNS1_11target_archE942ELNS1_3gpuE9ELNS1_3repE0EEENS1_30default_config_static_selectorELNS0_4arch9wavefront6targetE0EEEvS10_.numbered_sgpr, 0
	.set _ZN7rocprim17ROCPRIM_400000_NS6detail17trampoline_kernelINS0_14default_configENS1_21merge_config_selectorINS0_5tupleIJffEEENS0_10empty_typeEEEZNS1_10merge_implIS3_NS0_12zip_iteratorINS5_IJN6thrust23THRUST_200600_302600_NS6detail15normal_iteratorINSC_10device_ptrIKfEEEESI_EEEEESK_NSA_INS5_IJNSE_INSF_IfEEEESM_EEEEEPS7_SP_SP_NSC_11hip_rocprim7__merge17predicate_wrapperIffNSC_7greaterIfEEEEEE10hipError_tPvRmT0_T1_T2_T3_T4_T5_mmT6_P12ihipStream_tbEUlT_E0_NS1_11comp_targetILNS1_3genE5ELNS1_11target_archE942ELNS1_3gpuE9ELNS1_3repE0EEENS1_30default_config_static_selectorELNS0_4arch9wavefront6targetE0EEEvS10_.num_named_barrier, 0
	.set _ZN7rocprim17ROCPRIM_400000_NS6detail17trampoline_kernelINS0_14default_configENS1_21merge_config_selectorINS0_5tupleIJffEEENS0_10empty_typeEEEZNS1_10merge_implIS3_NS0_12zip_iteratorINS5_IJN6thrust23THRUST_200600_302600_NS6detail15normal_iteratorINSC_10device_ptrIKfEEEESI_EEEEESK_NSA_INS5_IJNSE_INSF_IfEEEESM_EEEEEPS7_SP_SP_NSC_11hip_rocprim7__merge17predicate_wrapperIffNSC_7greaterIfEEEEEE10hipError_tPvRmT0_T1_T2_T3_T4_T5_mmT6_P12ihipStream_tbEUlT_E0_NS1_11comp_targetILNS1_3genE5ELNS1_11target_archE942ELNS1_3gpuE9ELNS1_3repE0EEENS1_30default_config_static_selectorELNS0_4arch9wavefront6targetE0EEEvS10_.private_seg_size, 0
	.set _ZN7rocprim17ROCPRIM_400000_NS6detail17trampoline_kernelINS0_14default_configENS1_21merge_config_selectorINS0_5tupleIJffEEENS0_10empty_typeEEEZNS1_10merge_implIS3_NS0_12zip_iteratorINS5_IJN6thrust23THRUST_200600_302600_NS6detail15normal_iteratorINSC_10device_ptrIKfEEEESI_EEEEESK_NSA_INS5_IJNSE_INSF_IfEEEESM_EEEEEPS7_SP_SP_NSC_11hip_rocprim7__merge17predicate_wrapperIffNSC_7greaterIfEEEEEE10hipError_tPvRmT0_T1_T2_T3_T4_T5_mmT6_P12ihipStream_tbEUlT_E0_NS1_11comp_targetILNS1_3genE5ELNS1_11target_archE942ELNS1_3gpuE9ELNS1_3repE0EEENS1_30default_config_static_selectorELNS0_4arch9wavefront6targetE0EEEvS10_.uses_vcc, 0
	.set _ZN7rocprim17ROCPRIM_400000_NS6detail17trampoline_kernelINS0_14default_configENS1_21merge_config_selectorINS0_5tupleIJffEEENS0_10empty_typeEEEZNS1_10merge_implIS3_NS0_12zip_iteratorINS5_IJN6thrust23THRUST_200600_302600_NS6detail15normal_iteratorINSC_10device_ptrIKfEEEESI_EEEEESK_NSA_INS5_IJNSE_INSF_IfEEEESM_EEEEEPS7_SP_SP_NSC_11hip_rocprim7__merge17predicate_wrapperIffNSC_7greaterIfEEEEEE10hipError_tPvRmT0_T1_T2_T3_T4_T5_mmT6_P12ihipStream_tbEUlT_E0_NS1_11comp_targetILNS1_3genE5ELNS1_11target_archE942ELNS1_3gpuE9ELNS1_3repE0EEENS1_30default_config_static_selectorELNS0_4arch9wavefront6targetE0EEEvS10_.uses_flat_scratch, 0
	.set _ZN7rocprim17ROCPRIM_400000_NS6detail17trampoline_kernelINS0_14default_configENS1_21merge_config_selectorINS0_5tupleIJffEEENS0_10empty_typeEEEZNS1_10merge_implIS3_NS0_12zip_iteratorINS5_IJN6thrust23THRUST_200600_302600_NS6detail15normal_iteratorINSC_10device_ptrIKfEEEESI_EEEEESK_NSA_INS5_IJNSE_INSF_IfEEEESM_EEEEEPS7_SP_SP_NSC_11hip_rocprim7__merge17predicate_wrapperIffNSC_7greaterIfEEEEEE10hipError_tPvRmT0_T1_T2_T3_T4_T5_mmT6_P12ihipStream_tbEUlT_E0_NS1_11comp_targetILNS1_3genE5ELNS1_11target_archE942ELNS1_3gpuE9ELNS1_3repE0EEENS1_30default_config_static_selectorELNS0_4arch9wavefront6targetE0EEEvS10_.has_dyn_sized_stack, 0
	.set _ZN7rocprim17ROCPRIM_400000_NS6detail17trampoline_kernelINS0_14default_configENS1_21merge_config_selectorINS0_5tupleIJffEEENS0_10empty_typeEEEZNS1_10merge_implIS3_NS0_12zip_iteratorINS5_IJN6thrust23THRUST_200600_302600_NS6detail15normal_iteratorINSC_10device_ptrIKfEEEESI_EEEEESK_NSA_INS5_IJNSE_INSF_IfEEEESM_EEEEEPS7_SP_SP_NSC_11hip_rocprim7__merge17predicate_wrapperIffNSC_7greaterIfEEEEEE10hipError_tPvRmT0_T1_T2_T3_T4_T5_mmT6_P12ihipStream_tbEUlT_E0_NS1_11comp_targetILNS1_3genE5ELNS1_11target_archE942ELNS1_3gpuE9ELNS1_3repE0EEENS1_30default_config_static_selectorELNS0_4arch9wavefront6targetE0EEEvS10_.has_recursion, 0
	.set _ZN7rocprim17ROCPRIM_400000_NS6detail17trampoline_kernelINS0_14default_configENS1_21merge_config_selectorINS0_5tupleIJffEEENS0_10empty_typeEEEZNS1_10merge_implIS3_NS0_12zip_iteratorINS5_IJN6thrust23THRUST_200600_302600_NS6detail15normal_iteratorINSC_10device_ptrIKfEEEESI_EEEEESK_NSA_INS5_IJNSE_INSF_IfEEEESM_EEEEEPS7_SP_SP_NSC_11hip_rocprim7__merge17predicate_wrapperIffNSC_7greaterIfEEEEEE10hipError_tPvRmT0_T1_T2_T3_T4_T5_mmT6_P12ihipStream_tbEUlT_E0_NS1_11comp_targetILNS1_3genE5ELNS1_11target_archE942ELNS1_3gpuE9ELNS1_3repE0EEENS1_30default_config_static_selectorELNS0_4arch9wavefront6targetE0EEEvS10_.has_indirect_call, 0
	.section	.AMDGPU.csdata,"",@progbits
; Kernel info:
; codeLenInByte = 0
; TotalNumSgprs: 0
; NumVgprs: 0
; ScratchSize: 0
; MemoryBound: 0
; FloatMode: 240
; IeeeMode: 1
; LDSByteSize: 0 bytes/workgroup (compile time only)
; SGPRBlocks: 0
; VGPRBlocks: 0
; NumSGPRsForWavesPerEU: 1
; NumVGPRsForWavesPerEU: 1
; Occupancy: 16
; WaveLimiterHint : 0
; COMPUTE_PGM_RSRC2:SCRATCH_EN: 0
; COMPUTE_PGM_RSRC2:USER_SGPR: 6
; COMPUTE_PGM_RSRC2:TRAP_HANDLER: 0
; COMPUTE_PGM_RSRC2:TGID_X_EN: 1
; COMPUTE_PGM_RSRC2:TGID_Y_EN: 0
; COMPUTE_PGM_RSRC2:TGID_Z_EN: 0
; COMPUTE_PGM_RSRC2:TIDIG_COMP_CNT: 0
	.section	.text._ZN7rocprim17ROCPRIM_400000_NS6detail17trampoline_kernelINS0_14default_configENS1_21merge_config_selectorINS0_5tupleIJffEEENS0_10empty_typeEEEZNS1_10merge_implIS3_NS0_12zip_iteratorINS5_IJN6thrust23THRUST_200600_302600_NS6detail15normal_iteratorINSC_10device_ptrIKfEEEESI_EEEEESK_NSA_INS5_IJNSE_INSF_IfEEEESM_EEEEEPS7_SP_SP_NSC_11hip_rocprim7__merge17predicate_wrapperIffNSC_7greaterIfEEEEEE10hipError_tPvRmT0_T1_T2_T3_T4_T5_mmT6_P12ihipStream_tbEUlT_E0_NS1_11comp_targetILNS1_3genE4ELNS1_11target_archE910ELNS1_3gpuE8ELNS1_3repE0EEENS1_30default_config_static_selectorELNS0_4arch9wavefront6targetE0EEEvS10_,"axG",@progbits,_ZN7rocprim17ROCPRIM_400000_NS6detail17trampoline_kernelINS0_14default_configENS1_21merge_config_selectorINS0_5tupleIJffEEENS0_10empty_typeEEEZNS1_10merge_implIS3_NS0_12zip_iteratorINS5_IJN6thrust23THRUST_200600_302600_NS6detail15normal_iteratorINSC_10device_ptrIKfEEEESI_EEEEESK_NSA_INS5_IJNSE_INSF_IfEEEESM_EEEEEPS7_SP_SP_NSC_11hip_rocprim7__merge17predicate_wrapperIffNSC_7greaterIfEEEEEE10hipError_tPvRmT0_T1_T2_T3_T4_T5_mmT6_P12ihipStream_tbEUlT_E0_NS1_11comp_targetILNS1_3genE4ELNS1_11target_archE910ELNS1_3gpuE8ELNS1_3repE0EEENS1_30default_config_static_selectorELNS0_4arch9wavefront6targetE0EEEvS10_,comdat
	.protected	_ZN7rocprim17ROCPRIM_400000_NS6detail17trampoline_kernelINS0_14default_configENS1_21merge_config_selectorINS0_5tupleIJffEEENS0_10empty_typeEEEZNS1_10merge_implIS3_NS0_12zip_iteratorINS5_IJN6thrust23THRUST_200600_302600_NS6detail15normal_iteratorINSC_10device_ptrIKfEEEESI_EEEEESK_NSA_INS5_IJNSE_INSF_IfEEEESM_EEEEEPS7_SP_SP_NSC_11hip_rocprim7__merge17predicate_wrapperIffNSC_7greaterIfEEEEEE10hipError_tPvRmT0_T1_T2_T3_T4_T5_mmT6_P12ihipStream_tbEUlT_E0_NS1_11comp_targetILNS1_3genE4ELNS1_11target_archE910ELNS1_3gpuE8ELNS1_3repE0EEENS1_30default_config_static_selectorELNS0_4arch9wavefront6targetE0EEEvS10_ ; -- Begin function _ZN7rocprim17ROCPRIM_400000_NS6detail17trampoline_kernelINS0_14default_configENS1_21merge_config_selectorINS0_5tupleIJffEEENS0_10empty_typeEEEZNS1_10merge_implIS3_NS0_12zip_iteratorINS5_IJN6thrust23THRUST_200600_302600_NS6detail15normal_iteratorINSC_10device_ptrIKfEEEESI_EEEEESK_NSA_INS5_IJNSE_INSF_IfEEEESM_EEEEEPS7_SP_SP_NSC_11hip_rocprim7__merge17predicate_wrapperIffNSC_7greaterIfEEEEEE10hipError_tPvRmT0_T1_T2_T3_T4_T5_mmT6_P12ihipStream_tbEUlT_E0_NS1_11comp_targetILNS1_3genE4ELNS1_11target_archE910ELNS1_3gpuE8ELNS1_3repE0EEENS1_30default_config_static_selectorELNS0_4arch9wavefront6targetE0EEEvS10_
	.globl	_ZN7rocprim17ROCPRIM_400000_NS6detail17trampoline_kernelINS0_14default_configENS1_21merge_config_selectorINS0_5tupleIJffEEENS0_10empty_typeEEEZNS1_10merge_implIS3_NS0_12zip_iteratorINS5_IJN6thrust23THRUST_200600_302600_NS6detail15normal_iteratorINSC_10device_ptrIKfEEEESI_EEEEESK_NSA_INS5_IJNSE_INSF_IfEEEESM_EEEEEPS7_SP_SP_NSC_11hip_rocprim7__merge17predicate_wrapperIffNSC_7greaterIfEEEEEE10hipError_tPvRmT0_T1_T2_T3_T4_T5_mmT6_P12ihipStream_tbEUlT_E0_NS1_11comp_targetILNS1_3genE4ELNS1_11target_archE910ELNS1_3gpuE8ELNS1_3repE0EEENS1_30default_config_static_selectorELNS0_4arch9wavefront6targetE0EEEvS10_
	.p2align	8
	.type	_ZN7rocprim17ROCPRIM_400000_NS6detail17trampoline_kernelINS0_14default_configENS1_21merge_config_selectorINS0_5tupleIJffEEENS0_10empty_typeEEEZNS1_10merge_implIS3_NS0_12zip_iteratorINS5_IJN6thrust23THRUST_200600_302600_NS6detail15normal_iteratorINSC_10device_ptrIKfEEEESI_EEEEESK_NSA_INS5_IJNSE_INSF_IfEEEESM_EEEEEPS7_SP_SP_NSC_11hip_rocprim7__merge17predicate_wrapperIffNSC_7greaterIfEEEEEE10hipError_tPvRmT0_T1_T2_T3_T4_T5_mmT6_P12ihipStream_tbEUlT_E0_NS1_11comp_targetILNS1_3genE4ELNS1_11target_archE910ELNS1_3gpuE8ELNS1_3repE0EEENS1_30default_config_static_selectorELNS0_4arch9wavefront6targetE0EEEvS10_,@function
_ZN7rocprim17ROCPRIM_400000_NS6detail17trampoline_kernelINS0_14default_configENS1_21merge_config_selectorINS0_5tupleIJffEEENS0_10empty_typeEEEZNS1_10merge_implIS3_NS0_12zip_iteratorINS5_IJN6thrust23THRUST_200600_302600_NS6detail15normal_iteratorINSC_10device_ptrIKfEEEESI_EEEEESK_NSA_INS5_IJNSE_INSF_IfEEEESM_EEEEEPS7_SP_SP_NSC_11hip_rocprim7__merge17predicate_wrapperIffNSC_7greaterIfEEEEEE10hipError_tPvRmT0_T1_T2_T3_T4_T5_mmT6_P12ihipStream_tbEUlT_E0_NS1_11comp_targetILNS1_3genE4ELNS1_11target_archE910ELNS1_3gpuE8ELNS1_3repE0EEENS1_30default_config_static_selectorELNS0_4arch9wavefront6targetE0EEEvS10_: ; @_ZN7rocprim17ROCPRIM_400000_NS6detail17trampoline_kernelINS0_14default_configENS1_21merge_config_selectorINS0_5tupleIJffEEENS0_10empty_typeEEEZNS1_10merge_implIS3_NS0_12zip_iteratorINS5_IJN6thrust23THRUST_200600_302600_NS6detail15normal_iteratorINSC_10device_ptrIKfEEEESI_EEEEESK_NSA_INS5_IJNSE_INSF_IfEEEESM_EEEEEPS7_SP_SP_NSC_11hip_rocprim7__merge17predicate_wrapperIffNSC_7greaterIfEEEEEE10hipError_tPvRmT0_T1_T2_T3_T4_T5_mmT6_P12ihipStream_tbEUlT_E0_NS1_11comp_targetILNS1_3genE4ELNS1_11target_archE910ELNS1_3gpuE8ELNS1_3repE0EEENS1_30default_config_static_selectorELNS0_4arch9wavefront6targetE0EEEvS10_
; %bb.0:
	.section	.rodata,"a",@progbits
	.p2align	6, 0x0
	.amdhsa_kernel _ZN7rocprim17ROCPRIM_400000_NS6detail17trampoline_kernelINS0_14default_configENS1_21merge_config_selectorINS0_5tupleIJffEEENS0_10empty_typeEEEZNS1_10merge_implIS3_NS0_12zip_iteratorINS5_IJN6thrust23THRUST_200600_302600_NS6detail15normal_iteratorINSC_10device_ptrIKfEEEESI_EEEEESK_NSA_INS5_IJNSE_INSF_IfEEEESM_EEEEEPS7_SP_SP_NSC_11hip_rocprim7__merge17predicate_wrapperIffNSC_7greaterIfEEEEEE10hipError_tPvRmT0_T1_T2_T3_T4_T5_mmT6_P12ihipStream_tbEUlT_E0_NS1_11comp_targetILNS1_3genE4ELNS1_11target_archE910ELNS1_3gpuE8ELNS1_3repE0EEENS1_30default_config_static_selectorELNS0_4arch9wavefront6targetE0EEEvS10_
		.amdhsa_group_segment_fixed_size 0
		.amdhsa_private_segment_fixed_size 0
		.amdhsa_kernarg_size 112
		.amdhsa_user_sgpr_count 6
		.amdhsa_user_sgpr_private_segment_buffer 1
		.amdhsa_user_sgpr_dispatch_ptr 0
		.amdhsa_user_sgpr_queue_ptr 0
		.amdhsa_user_sgpr_kernarg_segment_ptr 1
		.amdhsa_user_sgpr_dispatch_id 0
		.amdhsa_user_sgpr_flat_scratch_init 0
		.amdhsa_user_sgpr_private_segment_size 0
		.amdhsa_wavefront_size32 1
		.amdhsa_uses_dynamic_stack 0
		.amdhsa_system_sgpr_private_segment_wavefront_offset 0
		.amdhsa_system_sgpr_workgroup_id_x 1
		.amdhsa_system_sgpr_workgroup_id_y 0
		.amdhsa_system_sgpr_workgroup_id_z 0
		.amdhsa_system_sgpr_workgroup_info 0
		.amdhsa_system_vgpr_workitem_id 0
		.amdhsa_next_free_vgpr 1
		.amdhsa_next_free_sgpr 1
		.amdhsa_reserve_vcc 0
		.amdhsa_reserve_flat_scratch 0
		.amdhsa_float_round_mode_32 0
		.amdhsa_float_round_mode_16_64 0
		.amdhsa_float_denorm_mode_32 3
		.amdhsa_float_denorm_mode_16_64 3
		.amdhsa_dx10_clamp 1
		.amdhsa_ieee_mode 1
		.amdhsa_fp16_overflow 0
		.amdhsa_workgroup_processor_mode 1
		.amdhsa_memory_ordered 1
		.amdhsa_forward_progress 1
		.amdhsa_shared_vgpr_count 0
		.amdhsa_exception_fp_ieee_invalid_op 0
		.amdhsa_exception_fp_denorm_src 0
		.amdhsa_exception_fp_ieee_div_zero 0
		.amdhsa_exception_fp_ieee_overflow 0
		.amdhsa_exception_fp_ieee_underflow 0
		.amdhsa_exception_fp_ieee_inexact 0
		.amdhsa_exception_int_div_zero 0
	.end_amdhsa_kernel
	.section	.text._ZN7rocprim17ROCPRIM_400000_NS6detail17trampoline_kernelINS0_14default_configENS1_21merge_config_selectorINS0_5tupleIJffEEENS0_10empty_typeEEEZNS1_10merge_implIS3_NS0_12zip_iteratorINS5_IJN6thrust23THRUST_200600_302600_NS6detail15normal_iteratorINSC_10device_ptrIKfEEEESI_EEEEESK_NSA_INS5_IJNSE_INSF_IfEEEESM_EEEEEPS7_SP_SP_NSC_11hip_rocprim7__merge17predicate_wrapperIffNSC_7greaterIfEEEEEE10hipError_tPvRmT0_T1_T2_T3_T4_T5_mmT6_P12ihipStream_tbEUlT_E0_NS1_11comp_targetILNS1_3genE4ELNS1_11target_archE910ELNS1_3gpuE8ELNS1_3repE0EEENS1_30default_config_static_selectorELNS0_4arch9wavefront6targetE0EEEvS10_,"axG",@progbits,_ZN7rocprim17ROCPRIM_400000_NS6detail17trampoline_kernelINS0_14default_configENS1_21merge_config_selectorINS0_5tupleIJffEEENS0_10empty_typeEEEZNS1_10merge_implIS3_NS0_12zip_iteratorINS5_IJN6thrust23THRUST_200600_302600_NS6detail15normal_iteratorINSC_10device_ptrIKfEEEESI_EEEEESK_NSA_INS5_IJNSE_INSF_IfEEEESM_EEEEEPS7_SP_SP_NSC_11hip_rocprim7__merge17predicate_wrapperIffNSC_7greaterIfEEEEEE10hipError_tPvRmT0_T1_T2_T3_T4_T5_mmT6_P12ihipStream_tbEUlT_E0_NS1_11comp_targetILNS1_3genE4ELNS1_11target_archE910ELNS1_3gpuE8ELNS1_3repE0EEENS1_30default_config_static_selectorELNS0_4arch9wavefront6targetE0EEEvS10_,comdat
.Lfunc_end346:
	.size	_ZN7rocprim17ROCPRIM_400000_NS6detail17trampoline_kernelINS0_14default_configENS1_21merge_config_selectorINS0_5tupleIJffEEENS0_10empty_typeEEEZNS1_10merge_implIS3_NS0_12zip_iteratorINS5_IJN6thrust23THRUST_200600_302600_NS6detail15normal_iteratorINSC_10device_ptrIKfEEEESI_EEEEESK_NSA_INS5_IJNSE_INSF_IfEEEESM_EEEEEPS7_SP_SP_NSC_11hip_rocprim7__merge17predicate_wrapperIffNSC_7greaterIfEEEEEE10hipError_tPvRmT0_T1_T2_T3_T4_T5_mmT6_P12ihipStream_tbEUlT_E0_NS1_11comp_targetILNS1_3genE4ELNS1_11target_archE910ELNS1_3gpuE8ELNS1_3repE0EEENS1_30default_config_static_selectorELNS0_4arch9wavefront6targetE0EEEvS10_, .Lfunc_end346-_ZN7rocprim17ROCPRIM_400000_NS6detail17trampoline_kernelINS0_14default_configENS1_21merge_config_selectorINS0_5tupleIJffEEENS0_10empty_typeEEEZNS1_10merge_implIS3_NS0_12zip_iteratorINS5_IJN6thrust23THRUST_200600_302600_NS6detail15normal_iteratorINSC_10device_ptrIKfEEEESI_EEEEESK_NSA_INS5_IJNSE_INSF_IfEEEESM_EEEEEPS7_SP_SP_NSC_11hip_rocprim7__merge17predicate_wrapperIffNSC_7greaterIfEEEEEE10hipError_tPvRmT0_T1_T2_T3_T4_T5_mmT6_P12ihipStream_tbEUlT_E0_NS1_11comp_targetILNS1_3genE4ELNS1_11target_archE910ELNS1_3gpuE8ELNS1_3repE0EEENS1_30default_config_static_selectorELNS0_4arch9wavefront6targetE0EEEvS10_
                                        ; -- End function
	.set _ZN7rocprim17ROCPRIM_400000_NS6detail17trampoline_kernelINS0_14default_configENS1_21merge_config_selectorINS0_5tupleIJffEEENS0_10empty_typeEEEZNS1_10merge_implIS3_NS0_12zip_iteratorINS5_IJN6thrust23THRUST_200600_302600_NS6detail15normal_iteratorINSC_10device_ptrIKfEEEESI_EEEEESK_NSA_INS5_IJNSE_INSF_IfEEEESM_EEEEEPS7_SP_SP_NSC_11hip_rocprim7__merge17predicate_wrapperIffNSC_7greaterIfEEEEEE10hipError_tPvRmT0_T1_T2_T3_T4_T5_mmT6_P12ihipStream_tbEUlT_E0_NS1_11comp_targetILNS1_3genE4ELNS1_11target_archE910ELNS1_3gpuE8ELNS1_3repE0EEENS1_30default_config_static_selectorELNS0_4arch9wavefront6targetE0EEEvS10_.num_vgpr, 0
	.set _ZN7rocprim17ROCPRIM_400000_NS6detail17trampoline_kernelINS0_14default_configENS1_21merge_config_selectorINS0_5tupleIJffEEENS0_10empty_typeEEEZNS1_10merge_implIS3_NS0_12zip_iteratorINS5_IJN6thrust23THRUST_200600_302600_NS6detail15normal_iteratorINSC_10device_ptrIKfEEEESI_EEEEESK_NSA_INS5_IJNSE_INSF_IfEEEESM_EEEEEPS7_SP_SP_NSC_11hip_rocprim7__merge17predicate_wrapperIffNSC_7greaterIfEEEEEE10hipError_tPvRmT0_T1_T2_T3_T4_T5_mmT6_P12ihipStream_tbEUlT_E0_NS1_11comp_targetILNS1_3genE4ELNS1_11target_archE910ELNS1_3gpuE8ELNS1_3repE0EEENS1_30default_config_static_selectorELNS0_4arch9wavefront6targetE0EEEvS10_.num_agpr, 0
	.set _ZN7rocprim17ROCPRIM_400000_NS6detail17trampoline_kernelINS0_14default_configENS1_21merge_config_selectorINS0_5tupleIJffEEENS0_10empty_typeEEEZNS1_10merge_implIS3_NS0_12zip_iteratorINS5_IJN6thrust23THRUST_200600_302600_NS6detail15normal_iteratorINSC_10device_ptrIKfEEEESI_EEEEESK_NSA_INS5_IJNSE_INSF_IfEEEESM_EEEEEPS7_SP_SP_NSC_11hip_rocprim7__merge17predicate_wrapperIffNSC_7greaterIfEEEEEE10hipError_tPvRmT0_T1_T2_T3_T4_T5_mmT6_P12ihipStream_tbEUlT_E0_NS1_11comp_targetILNS1_3genE4ELNS1_11target_archE910ELNS1_3gpuE8ELNS1_3repE0EEENS1_30default_config_static_selectorELNS0_4arch9wavefront6targetE0EEEvS10_.numbered_sgpr, 0
	.set _ZN7rocprim17ROCPRIM_400000_NS6detail17trampoline_kernelINS0_14default_configENS1_21merge_config_selectorINS0_5tupleIJffEEENS0_10empty_typeEEEZNS1_10merge_implIS3_NS0_12zip_iteratorINS5_IJN6thrust23THRUST_200600_302600_NS6detail15normal_iteratorINSC_10device_ptrIKfEEEESI_EEEEESK_NSA_INS5_IJNSE_INSF_IfEEEESM_EEEEEPS7_SP_SP_NSC_11hip_rocprim7__merge17predicate_wrapperIffNSC_7greaterIfEEEEEE10hipError_tPvRmT0_T1_T2_T3_T4_T5_mmT6_P12ihipStream_tbEUlT_E0_NS1_11comp_targetILNS1_3genE4ELNS1_11target_archE910ELNS1_3gpuE8ELNS1_3repE0EEENS1_30default_config_static_selectorELNS0_4arch9wavefront6targetE0EEEvS10_.num_named_barrier, 0
	.set _ZN7rocprim17ROCPRIM_400000_NS6detail17trampoline_kernelINS0_14default_configENS1_21merge_config_selectorINS0_5tupleIJffEEENS0_10empty_typeEEEZNS1_10merge_implIS3_NS0_12zip_iteratorINS5_IJN6thrust23THRUST_200600_302600_NS6detail15normal_iteratorINSC_10device_ptrIKfEEEESI_EEEEESK_NSA_INS5_IJNSE_INSF_IfEEEESM_EEEEEPS7_SP_SP_NSC_11hip_rocprim7__merge17predicate_wrapperIffNSC_7greaterIfEEEEEE10hipError_tPvRmT0_T1_T2_T3_T4_T5_mmT6_P12ihipStream_tbEUlT_E0_NS1_11comp_targetILNS1_3genE4ELNS1_11target_archE910ELNS1_3gpuE8ELNS1_3repE0EEENS1_30default_config_static_selectorELNS0_4arch9wavefront6targetE0EEEvS10_.private_seg_size, 0
	.set _ZN7rocprim17ROCPRIM_400000_NS6detail17trampoline_kernelINS0_14default_configENS1_21merge_config_selectorINS0_5tupleIJffEEENS0_10empty_typeEEEZNS1_10merge_implIS3_NS0_12zip_iteratorINS5_IJN6thrust23THRUST_200600_302600_NS6detail15normal_iteratorINSC_10device_ptrIKfEEEESI_EEEEESK_NSA_INS5_IJNSE_INSF_IfEEEESM_EEEEEPS7_SP_SP_NSC_11hip_rocprim7__merge17predicate_wrapperIffNSC_7greaterIfEEEEEE10hipError_tPvRmT0_T1_T2_T3_T4_T5_mmT6_P12ihipStream_tbEUlT_E0_NS1_11comp_targetILNS1_3genE4ELNS1_11target_archE910ELNS1_3gpuE8ELNS1_3repE0EEENS1_30default_config_static_selectorELNS0_4arch9wavefront6targetE0EEEvS10_.uses_vcc, 0
	.set _ZN7rocprim17ROCPRIM_400000_NS6detail17trampoline_kernelINS0_14default_configENS1_21merge_config_selectorINS0_5tupleIJffEEENS0_10empty_typeEEEZNS1_10merge_implIS3_NS0_12zip_iteratorINS5_IJN6thrust23THRUST_200600_302600_NS6detail15normal_iteratorINSC_10device_ptrIKfEEEESI_EEEEESK_NSA_INS5_IJNSE_INSF_IfEEEESM_EEEEEPS7_SP_SP_NSC_11hip_rocprim7__merge17predicate_wrapperIffNSC_7greaterIfEEEEEE10hipError_tPvRmT0_T1_T2_T3_T4_T5_mmT6_P12ihipStream_tbEUlT_E0_NS1_11comp_targetILNS1_3genE4ELNS1_11target_archE910ELNS1_3gpuE8ELNS1_3repE0EEENS1_30default_config_static_selectorELNS0_4arch9wavefront6targetE0EEEvS10_.uses_flat_scratch, 0
	.set _ZN7rocprim17ROCPRIM_400000_NS6detail17trampoline_kernelINS0_14default_configENS1_21merge_config_selectorINS0_5tupleIJffEEENS0_10empty_typeEEEZNS1_10merge_implIS3_NS0_12zip_iteratorINS5_IJN6thrust23THRUST_200600_302600_NS6detail15normal_iteratorINSC_10device_ptrIKfEEEESI_EEEEESK_NSA_INS5_IJNSE_INSF_IfEEEESM_EEEEEPS7_SP_SP_NSC_11hip_rocprim7__merge17predicate_wrapperIffNSC_7greaterIfEEEEEE10hipError_tPvRmT0_T1_T2_T3_T4_T5_mmT6_P12ihipStream_tbEUlT_E0_NS1_11comp_targetILNS1_3genE4ELNS1_11target_archE910ELNS1_3gpuE8ELNS1_3repE0EEENS1_30default_config_static_selectorELNS0_4arch9wavefront6targetE0EEEvS10_.has_dyn_sized_stack, 0
	.set _ZN7rocprim17ROCPRIM_400000_NS6detail17trampoline_kernelINS0_14default_configENS1_21merge_config_selectorINS0_5tupleIJffEEENS0_10empty_typeEEEZNS1_10merge_implIS3_NS0_12zip_iteratorINS5_IJN6thrust23THRUST_200600_302600_NS6detail15normal_iteratorINSC_10device_ptrIKfEEEESI_EEEEESK_NSA_INS5_IJNSE_INSF_IfEEEESM_EEEEEPS7_SP_SP_NSC_11hip_rocprim7__merge17predicate_wrapperIffNSC_7greaterIfEEEEEE10hipError_tPvRmT0_T1_T2_T3_T4_T5_mmT6_P12ihipStream_tbEUlT_E0_NS1_11comp_targetILNS1_3genE4ELNS1_11target_archE910ELNS1_3gpuE8ELNS1_3repE0EEENS1_30default_config_static_selectorELNS0_4arch9wavefront6targetE0EEEvS10_.has_recursion, 0
	.set _ZN7rocprim17ROCPRIM_400000_NS6detail17trampoline_kernelINS0_14default_configENS1_21merge_config_selectorINS0_5tupleIJffEEENS0_10empty_typeEEEZNS1_10merge_implIS3_NS0_12zip_iteratorINS5_IJN6thrust23THRUST_200600_302600_NS6detail15normal_iteratorINSC_10device_ptrIKfEEEESI_EEEEESK_NSA_INS5_IJNSE_INSF_IfEEEESM_EEEEEPS7_SP_SP_NSC_11hip_rocprim7__merge17predicate_wrapperIffNSC_7greaterIfEEEEEE10hipError_tPvRmT0_T1_T2_T3_T4_T5_mmT6_P12ihipStream_tbEUlT_E0_NS1_11comp_targetILNS1_3genE4ELNS1_11target_archE910ELNS1_3gpuE8ELNS1_3repE0EEENS1_30default_config_static_selectorELNS0_4arch9wavefront6targetE0EEEvS10_.has_indirect_call, 0
	.section	.AMDGPU.csdata,"",@progbits
; Kernel info:
; codeLenInByte = 0
; TotalNumSgprs: 0
; NumVgprs: 0
; ScratchSize: 0
; MemoryBound: 0
; FloatMode: 240
; IeeeMode: 1
; LDSByteSize: 0 bytes/workgroup (compile time only)
; SGPRBlocks: 0
; VGPRBlocks: 0
; NumSGPRsForWavesPerEU: 1
; NumVGPRsForWavesPerEU: 1
; Occupancy: 16
; WaveLimiterHint : 0
; COMPUTE_PGM_RSRC2:SCRATCH_EN: 0
; COMPUTE_PGM_RSRC2:USER_SGPR: 6
; COMPUTE_PGM_RSRC2:TRAP_HANDLER: 0
; COMPUTE_PGM_RSRC2:TGID_X_EN: 1
; COMPUTE_PGM_RSRC2:TGID_Y_EN: 0
; COMPUTE_PGM_RSRC2:TGID_Z_EN: 0
; COMPUTE_PGM_RSRC2:TIDIG_COMP_CNT: 0
	.section	.text._ZN7rocprim17ROCPRIM_400000_NS6detail17trampoline_kernelINS0_14default_configENS1_21merge_config_selectorINS0_5tupleIJffEEENS0_10empty_typeEEEZNS1_10merge_implIS3_NS0_12zip_iteratorINS5_IJN6thrust23THRUST_200600_302600_NS6detail15normal_iteratorINSC_10device_ptrIKfEEEESI_EEEEESK_NSA_INS5_IJNSE_INSF_IfEEEESM_EEEEEPS7_SP_SP_NSC_11hip_rocprim7__merge17predicate_wrapperIffNSC_7greaterIfEEEEEE10hipError_tPvRmT0_T1_T2_T3_T4_T5_mmT6_P12ihipStream_tbEUlT_E0_NS1_11comp_targetILNS1_3genE3ELNS1_11target_archE908ELNS1_3gpuE7ELNS1_3repE0EEENS1_30default_config_static_selectorELNS0_4arch9wavefront6targetE0EEEvS10_,"axG",@progbits,_ZN7rocprim17ROCPRIM_400000_NS6detail17trampoline_kernelINS0_14default_configENS1_21merge_config_selectorINS0_5tupleIJffEEENS0_10empty_typeEEEZNS1_10merge_implIS3_NS0_12zip_iteratorINS5_IJN6thrust23THRUST_200600_302600_NS6detail15normal_iteratorINSC_10device_ptrIKfEEEESI_EEEEESK_NSA_INS5_IJNSE_INSF_IfEEEESM_EEEEEPS7_SP_SP_NSC_11hip_rocprim7__merge17predicate_wrapperIffNSC_7greaterIfEEEEEE10hipError_tPvRmT0_T1_T2_T3_T4_T5_mmT6_P12ihipStream_tbEUlT_E0_NS1_11comp_targetILNS1_3genE3ELNS1_11target_archE908ELNS1_3gpuE7ELNS1_3repE0EEENS1_30default_config_static_selectorELNS0_4arch9wavefront6targetE0EEEvS10_,comdat
	.protected	_ZN7rocprim17ROCPRIM_400000_NS6detail17trampoline_kernelINS0_14default_configENS1_21merge_config_selectorINS0_5tupleIJffEEENS0_10empty_typeEEEZNS1_10merge_implIS3_NS0_12zip_iteratorINS5_IJN6thrust23THRUST_200600_302600_NS6detail15normal_iteratorINSC_10device_ptrIKfEEEESI_EEEEESK_NSA_INS5_IJNSE_INSF_IfEEEESM_EEEEEPS7_SP_SP_NSC_11hip_rocprim7__merge17predicate_wrapperIffNSC_7greaterIfEEEEEE10hipError_tPvRmT0_T1_T2_T3_T4_T5_mmT6_P12ihipStream_tbEUlT_E0_NS1_11comp_targetILNS1_3genE3ELNS1_11target_archE908ELNS1_3gpuE7ELNS1_3repE0EEENS1_30default_config_static_selectorELNS0_4arch9wavefront6targetE0EEEvS10_ ; -- Begin function _ZN7rocprim17ROCPRIM_400000_NS6detail17trampoline_kernelINS0_14default_configENS1_21merge_config_selectorINS0_5tupleIJffEEENS0_10empty_typeEEEZNS1_10merge_implIS3_NS0_12zip_iteratorINS5_IJN6thrust23THRUST_200600_302600_NS6detail15normal_iteratorINSC_10device_ptrIKfEEEESI_EEEEESK_NSA_INS5_IJNSE_INSF_IfEEEESM_EEEEEPS7_SP_SP_NSC_11hip_rocprim7__merge17predicate_wrapperIffNSC_7greaterIfEEEEEE10hipError_tPvRmT0_T1_T2_T3_T4_T5_mmT6_P12ihipStream_tbEUlT_E0_NS1_11comp_targetILNS1_3genE3ELNS1_11target_archE908ELNS1_3gpuE7ELNS1_3repE0EEENS1_30default_config_static_selectorELNS0_4arch9wavefront6targetE0EEEvS10_
	.globl	_ZN7rocprim17ROCPRIM_400000_NS6detail17trampoline_kernelINS0_14default_configENS1_21merge_config_selectorINS0_5tupleIJffEEENS0_10empty_typeEEEZNS1_10merge_implIS3_NS0_12zip_iteratorINS5_IJN6thrust23THRUST_200600_302600_NS6detail15normal_iteratorINSC_10device_ptrIKfEEEESI_EEEEESK_NSA_INS5_IJNSE_INSF_IfEEEESM_EEEEEPS7_SP_SP_NSC_11hip_rocprim7__merge17predicate_wrapperIffNSC_7greaterIfEEEEEE10hipError_tPvRmT0_T1_T2_T3_T4_T5_mmT6_P12ihipStream_tbEUlT_E0_NS1_11comp_targetILNS1_3genE3ELNS1_11target_archE908ELNS1_3gpuE7ELNS1_3repE0EEENS1_30default_config_static_selectorELNS0_4arch9wavefront6targetE0EEEvS10_
	.p2align	8
	.type	_ZN7rocprim17ROCPRIM_400000_NS6detail17trampoline_kernelINS0_14default_configENS1_21merge_config_selectorINS0_5tupleIJffEEENS0_10empty_typeEEEZNS1_10merge_implIS3_NS0_12zip_iteratorINS5_IJN6thrust23THRUST_200600_302600_NS6detail15normal_iteratorINSC_10device_ptrIKfEEEESI_EEEEESK_NSA_INS5_IJNSE_INSF_IfEEEESM_EEEEEPS7_SP_SP_NSC_11hip_rocprim7__merge17predicate_wrapperIffNSC_7greaterIfEEEEEE10hipError_tPvRmT0_T1_T2_T3_T4_T5_mmT6_P12ihipStream_tbEUlT_E0_NS1_11comp_targetILNS1_3genE3ELNS1_11target_archE908ELNS1_3gpuE7ELNS1_3repE0EEENS1_30default_config_static_selectorELNS0_4arch9wavefront6targetE0EEEvS10_,@function
_ZN7rocprim17ROCPRIM_400000_NS6detail17trampoline_kernelINS0_14default_configENS1_21merge_config_selectorINS0_5tupleIJffEEENS0_10empty_typeEEEZNS1_10merge_implIS3_NS0_12zip_iteratorINS5_IJN6thrust23THRUST_200600_302600_NS6detail15normal_iteratorINSC_10device_ptrIKfEEEESI_EEEEESK_NSA_INS5_IJNSE_INSF_IfEEEESM_EEEEEPS7_SP_SP_NSC_11hip_rocprim7__merge17predicate_wrapperIffNSC_7greaterIfEEEEEE10hipError_tPvRmT0_T1_T2_T3_T4_T5_mmT6_P12ihipStream_tbEUlT_E0_NS1_11comp_targetILNS1_3genE3ELNS1_11target_archE908ELNS1_3gpuE7ELNS1_3repE0EEENS1_30default_config_static_selectorELNS0_4arch9wavefront6targetE0EEEvS10_: ; @_ZN7rocprim17ROCPRIM_400000_NS6detail17trampoline_kernelINS0_14default_configENS1_21merge_config_selectorINS0_5tupleIJffEEENS0_10empty_typeEEEZNS1_10merge_implIS3_NS0_12zip_iteratorINS5_IJN6thrust23THRUST_200600_302600_NS6detail15normal_iteratorINSC_10device_ptrIKfEEEESI_EEEEESK_NSA_INS5_IJNSE_INSF_IfEEEESM_EEEEEPS7_SP_SP_NSC_11hip_rocprim7__merge17predicate_wrapperIffNSC_7greaterIfEEEEEE10hipError_tPvRmT0_T1_T2_T3_T4_T5_mmT6_P12ihipStream_tbEUlT_E0_NS1_11comp_targetILNS1_3genE3ELNS1_11target_archE908ELNS1_3gpuE7ELNS1_3repE0EEENS1_30default_config_static_selectorELNS0_4arch9wavefront6targetE0EEEvS10_
; %bb.0:
	.section	.rodata,"a",@progbits
	.p2align	6, 0x0
	.amdhsa_kernel _ZN7rocprim17ROCPRIM_400000_NS6detail17trampoline_kernelINS0_14default_configENS1_21merge_config_selectorINS0_5tupleIJffEEENS0_10empty_typeEEEZNS1_10merge_implIS3_NS0_12zip_iteratorINS5_IJN6thrust23THRUST_200600_302600_NS6detail15normal_iteratorINSC_10device_ptrIKfEEEESI_EEEEESK_NSA_INS5_IJNSE_INSF_IfEEEESM_EEEEEPS7_SP_SP_NSC_11hip_rocprim7__merge17predicate_wrapperIffNSC_7greaterIfEEEEEE10hipError_tPvRmT0_T1_T2_T3_T4_T5_mmT6_P12ihipStream_tbEUlT_E0_NS1_11comp_targetILNS1_3genE3ELNS1_11target_archE908ELNS1_3gpuE7ELNS1_3repE0EEENS1_30default_config_static_selectorELNS0_4arch9wavefront6targetE0EEEvS10_
		.amdhsa_group_segment_fixed_size 0
		.amdhsa_private_segment_fixed_size 0
		.amdhsa_kernarg_size 112
		.amdhsa_user_sgpr_count 6
		.amdhsa_user_sgpr_private_segment_buffer 1
		.amdhsa_user_sgpr_dispatch_ptr 0
		.amdhsa_user_sgpr_queue_ptr 0
		.amdhsa_user_sgpr_kernarg_segment_ptr 1
		.amdhsa_user_sgpr_dispatch_id 0
		.amdhsa_user_sgpr_flat_scratch_init 0
		.amdhsa_user_sgpr_private_segment_size 0
		.amdhsa_wavefront_size32 1
		.amdhsa_uses_dynamic_stack 0
		.amdhsa_system_sgpr_private_segment_wavefront_offset 0
		.amdhsa_system_sgpr_workgroup_id_x 1
		.amdhsa_system_sgpr_workgroup_id_y 0
		.amdhsa_system_sgpr_workgroup_id_z 0
		.amdhsa_system_sgpr_workgroup_info 0
		.amdhsa_system_vgpr_workitem_id 0
		.amdhsa_next_free_vgpr 1
		.amdhsa_next_free_sgpr 1
		.amdhsa_reserve_vcc 0
		.amdhsa_reserve_flat_scratch 0
		.amdhsa_float_round_mode_32 0
		.amdhsa_float_round_mode_16_64 0
		.amdhsa_float_denorm_mode_32 3
		.amdhsa_float_denorm_mode_16_64 3
		.amdhsa_dx10_clamp 1
		.amdhsa_ieee_mode 1
		.amdhsa_fp16_overflow 0
		.amdhsa_workgroup_processor_mode 1
		.amdhsa_memory_ordered 1
		.amdhsa_forward_progress 1
		.amdhsa_shared_vgpr_count 0
		.amdhsa_exception_fp_ieee_invalid_op 0
		.amdhsa_exception_fp_denorm_src 0
		.amdhsa_exception_fp_ieee_div_zero 0
		.amdhsa_exception_fp_ieee_overflow 0
		.amdhsa_exception_fp_ieee_underflow 0
		.amdhsa_exception_fp_ieee_inexact 0
		.amdhsa_exception_int_div_zero 0
	.end_amdhsa_kernel
	.section	.text._ZN7rocprim17ROCPRIM_400000_NS6detail17trampoline_kernelINS0_14default_configENS1_21merge_config_selectorINS0_5tupleIJffEEENS0_10empty_typeEEEZNS1_10merge_implIS3_NS0_12zip_iteratorINS5_IJN6thrust23THRUST_200600_302600_NS6detail15normal_iteratorINSC_10device_ptrIKfEEEESI_EEEEESK_NSA_INS5_IJNSE_INSF_IfEEEESM_EEEEEPS7_SP_SP_NSC_11hip_rocprim7__merge17predicate_wrapperIffNSC_7greaterIfEEEEEE10hipError_tPvRmT0_T1_T2_T3_T4_T5_mmT6_P12ihipStream_tbEUlT_E0_NS1_11comp_targetILNS1_3genE3ELNS1_11target_archE908ELNS1_3gpuE7ELNS1_3repE0EEENS1_30default_config_static_selectorELNS0_4arch9wavefront6targetE0EEEvS10_,"axG",@progbits,_ZN7rocprim17ROCPRIM_400000_NS6detail17trampoline_kernelINS0_14default_configENS1_21merge_config_selectorINS0_5tupleIJffEEENS0_10empty_typeEEEZNS1_10merge_implIS3_NS0_12zip_iteratorINS5_IJN6thrust23THRUST_200600_302600_NS6detail15normal_iteratorINSC_10device_ptrIKfEEEESI_EEEEESK_NSA_INS5_IJNSE_INSF_IfEEEESM_EEEEEPS7_SP_SP_NSC_11hip_rocprim7__merge17predicate_wrapperIffNSC_7greaterIfEEEEEE10hipError_tPvRmT0_T1_T2_T3_T4_T5_mmT6_P12ihipStream_tbEUlT_E0_NS1_11comp_targetILNS1_3genE3ELNS1_11target_archE908ELNS1_3gpuE7ELNS1_3repE0EEENS1_30default_config_static_selectorELNS0_4arch9wavefront6targetE0EEEvS10_,comdat
.Lfunc_end347:
	.size	_ZN7rocprim17ROCPRIM_400000_NS6detail17trampoline_kernelINS0_14default_configENS1_21merge_config_selectorINS0_5tupleIJffEEENS0_10empty_typeEEEZNS1_10merge_implIS3_NS0_12zip_iteratorINS5_IJN6thrust23THRUST_200600_302600_NS6detail15normal_iteratorINSC_10device_ptrIKfEEEESI_EEEEESK_NSA_INS5_IJNSE_INSF_IfEEEESM_EEEEEPS7_SP_SP_NSC_11hip_rocprim7__merge17predicate_wrapperIffNSC_7greaterIfEEEEEE10hipError_tPvRmT0_T1_T2_T3_T4_T5_mmT6_P12ihipStream_tbEUlT_E0_NS1_11comp_targetILNS1_3genE3ELNS1_11target_archE908ELNS1_3gpuE7ELNS1_3repE0EEENS1_30default_config_static_selectorELNS0_4arch9wavefront6targetE0EEEvS10_, .Lfunc_end347-_ZN7rocprim17ROCPRIM_400000_NS6detail17trampoline_kernelINS0_14default_configENS1_21merge_config_selectorINS0_5tupleIJffEEENS0_10empty_typeEEEZNS1_10merge_implIS3_NS0_12zip_iteratorINS5_IJN6thrust23THRUST_200600_302600_NS6detail15normal_iteratorINSC_10device_ptrIKfEEEESI_EEEEESK_NSA_INS5_IJNSE_INSF_IfEEEESM_EEEEEPS7_SP_SP_NSC_11hip_rocprim7__merge17predicate_wrapperIffNSC_7greaterIfEEEEEE10hipError_tPvRmT0_T1_T2_T3_T4_T5_mmT6_P12ihipStream_tbEUlT_E0_NS1_11comp_targetILNS1_3genE3ELNS1_11target_archE908ELNS1_3gpuE7ELNS1_3repE0EEENS1_30default_config_static_selectorELNS0_4arch9wavefront6targetE0EEEvS10_
                                        ; -- End function
	.set _ZN7rocprim17ROCPRIM_400000_NS6detail17trampoline_kernelINS0_14default_configENS1_21merge_config_selectorINS0_5tupleIJffEEENS0_10empty_typeEEEZNS1_10merge_implIS3_NS0_12zip_iteratorINS5_IJN6thrust23THRUST_200600_302600_NS6detail15normal_iteratorINSC_10device_ptrIKfEEEESI_EEEEESK_NSA_INS5_IJNSE_INSF_IfEEEESM_EEEEEPS7_SP_SP_NSC_11hip_rocprim7__merge17predicate_wrapperIffNSC_7greaterIfEEEEEE10hipError_tPvRmT0_T1_T2_T3_T4_T5_mmT6_P12ihipStream_tbEUlT_E0_NS1_11comp_targetILNS1_3genE3ELNS1_11target_archE908ELNS1_3gpuE7ELNS1_3repE0EEENS1_30default_config_static_selectorELNS0_4arch9wavefront6targetE0EEEvS10_.num_vgpr, 0
	.set _ZN7rocprim17ROCPRIM_400000_NS6detail17trampoline_kernelINS0_14default_configENS1_21merge_config_selectorINS0_5tupleIJffEEENS0_10empty_typeEEEZNS1_10merge_implIS3_NS0_12zip_iteratorINS5_IJN6thrust23THRUST_200600_302600_NS6detail15normal_iteratorINSC_10device_ptrIKfEEEESI_EEEEESK_NSA_INS5_IJNSE_INSF_IfEEEESM_EEEEEPS7_SP_SP_NSC_11hip_rocprim7__merge17predicate_wrapperIffNSC_7greaterIfEEEEEE10hipError_tPvRmT0_T1_T2_T3_T4_T5_mmT6_P12ihipStream_tbEUlT_E0_NS1_11comp_targetILNS1_3genE3ELNS1_11target_archE908ELNS1_3gpuE7ELNS1_3repE0EEENS1_30default_config_static_selectorELNS0_4arch9wavefront6targetE0EEEvS10_.num_agpr, 0
	.set _ZN7rocprim17ROCPRIM_400000_NS6detail17trampoline_kernelINS0_14default_configENS1_21merge_config_selectorINS0_5tupleIJffEEENS0_10empty_typeEEEZNS1_10merge_implIS3_NS0_12zip_iteratorINS5_IJN6thrust23THRUST_200600_302600_NS6detail15normal_iteratorINSC_10device_ptrIKfEEEESI_EEEEESK_NSA_INS5_IJNSE_INSF_IfEEEESM_EEEEEPS7_SP_SP_NSC_11hip_rocprim7__merge17predicate_wrapperIffNSC_7greaterIfEEEEEE10hipError_tPvRmT0_T1_T2_T3_T4_T5_mmT6_P12ihipStream_tbEUlT_E0_NS1_11comp_targetILNS1_3genE3ELNS1_11target_archE908ELNS1_3gpuE7ELNS1_3repE0EEENS1_30default_config_static_selectorELNS0_4arch9wavefront6targetE0EEEvS10_.numbered_sgpr, 0
	.set _ZN7rocprim17ROCPRIM_400000_NS6detail17trampoline_kernelINS0_14default_configENS1_21merge_config_selectorINS0_5tupleIJffEEENS0_10empty_typeEEEZNS1_10merge_implIS3_NS0_12zip_iteratorINS5_IJN6thrust23THRUST_200600_302600_NS6detail15normal_iteratorINSC_10device_ptrIKfEEEESI_EEEEESK_NSA_INS5_IJNSE_INSF_IfEEEESM_EEEEEPS7_SP_SP_NSC_11hip_rocprim7__merge17predicate_wrapperIffNSC_7greaterIfEEEEEE10hipError_tPvRmT0_T1_T2_T3_T4_T5_mmT6_P12ihipStream_tbEUlT_E0_NS1_11comp_targetILNS1_3genE3ELNS1_11target_archE908ELNS1_3gpuE7ELNS1_3repE0EEENS1_30default_config_static_selectorELNS0_4arch9wavefront6targetE0EEEvS10_.num_named_barrier, 0
	.set _ZN7rocprim17ROCPRIM_400000_NS6detail17trampoline_kernelINS0_14default_configENS1_21merge_config_selectorINS0_5tupleIJffEEENS0_10empty_typeEEEZNS1_10merge_implIS3_NS0_12zip_iteratorINS5_IJN6thrust23THRUST_200600_302600_NS6detail15normal_iteratorINSC_10device_ptrIKfEEEESI_EEEEESK_NSA_INS5_IJNSE_INSF_IfEEEESM_EEEEEPS7_SP_SP_NSC_11hip_rocprim7__merge17predicate_wrapperIffNSC_7greaterIfEEEEEE10hipError_tPvRmT0_T1_T2_T3_T4_T5_mmT6_P12ihipStream_tbEUlT_E0_NS1_11comp_targetILNS1_3genE3ELNS1_11target_archE908ELNS1_3gpuE7ELNS1_3repE0EEENS1_30default_config_static_selectorELNS0_4arch9wavefront6targetE0EEEvS10_.private_seg_size, 0
	.set _ZN7rocprim17ROCPRIM_400000_NS6detail17trampoline_kernelINS0_14default_configENS1_21merge_config_selectorINS0_5tupleIJffEEENS0_10empty_typeEEEZNS1_10merge_implIS3_NS0_12zip_iteratorINS5_IJN6thrust23THRUST_200600_302600_NS6detail15normal_iteratorINSC_10device_ptrIKfEEEESI_EEEEESK_NSA_INS5_IJNSE_INSF_IfEEEESM_EEEEEPS7_SP_SP_NSC_11hip_rocprim7__merge17predicate_wrapperIffNSC_7greaterIfEEEEEE10hipError_tPvRmT0_T1_T2_T3_T4_T5_mmT6_P12ihipStream_tbEUlT_E0_NS1_11comp_targetILNS1_3genE3ELNS1_11target_archE908ELNS1_3gpuE7ELNS1_3repE0EEENS1_30default_config_static_selectorELNS0_4arch9wavefront6targetE0EEEvS10_.uses_vcc, 0
	.set _ZN7rocprim17ROCPRIM_400000_NS6detail17trampoline_kernelINS0_14default_configENS1_21merge_config_selectorINS0_5tupleIJffEEENS0_10empty_typeEEEZNS1_10merge_implIS3_NS0_12zip_iteratorINS5_IJN6thrust23THRUST_200600_302600_NS6detail15normal_iteratorINSC_10device_ptrIKfEEEESI_EEEEESK_NSA_INS5_IJNSE_INSF_IfEEEESM_EEEEEPS7_SP_SP_NSC_11hip_rocprim7__merge17predicate_wrapperIffNSC_7greaterIfEEEEEE10hipError_tPvRmT0_T1_T2_T3_T4_T5_mmT6_P12ihipStream_tbEUlT_E0_NS1_11comp_targetILNS1_3genE3ELNS1_11target_archE908ELNS1_3gpuE7ELNS1_3repE0EEENS1_30default_config_static_selectorELNS0_4arch9wavefront6targetE0EEEvS10_.uses_flat_scratch, 0
	.set _ZN7rocprim17ROCPRIM_400000_NS6detail17trampoline_kernelINS0_14default_configENS1_21merge_config_selectorINS0_5tupleIJffEEENS0_10empty_typeEEEZNS1_10merge_implIS3_NS0_12zip_iteratorINS5_IJN6thrust23THRUST_200600_302600_NS6detail15normal_iteratorINSC_10device_ptrIKfEEEESI_EEEEESK_NSA_INS5_IJNSE_INSF_IfEEEESM_EEEEEPS7_SP_SP_NSC_11hip_rocprim7__merge17predicate_wrapperIffNSC_7greaterIfEEEEEE10hipError_tPvRmT0_T1_T2_T3_T4_T5_mmT6_P12ihipStream_tbEUlT_E0_NS1_11comp_targetILNS1_3genE3ELNS1_11target_archE908ELNS1_3gpuE7ELNS1_3repE0EEENS1_30default_config_static_selectorELNS0_4arch9wavefront6targetE0EEEvS10_.has_dyn_sized_stack, 0
	.set _ZN7rocprim17ROCPRIM_400000_NS6detail17trampoline_kernelINS0_14default_configENS1_21merge_config_selectorINS0_5tupleIJffEEENS0_10empty_typeEEEZNS1_10merge_implIS3_NS0_12zip_iteratorINS5_IJN6thrust23THRUST_200600_302600_NS6detail15normal_iteratorINSC_10device_ptrIKfEEEESI_EEEEESK_NSA_INS5_IJNSE_INSF_IfEEEESM_EEEEEPS7_SP_SP_NSC_11hip_rocprim7__merge17predicate_wrapperIffNSC_7greaterIfEEEEEE10hipError_tPvRmT0_T1_T2_T3_T4_T5_mmT6_P12ihipStream_tbEUlT_E0_NS1_11comp_targetILNS1_3genE3ELNS1_11target_archE908ELNS1_3gpuE7ELNS1_3repE0EEENS1_30default_config_static_selectorELNS0_4arch9wavefront6targetE0EEEvS10_.has_recursion, 0
	.set _ZN7rocprim17ROCPRIM_400000_NS6detail17trampoline_kernelINS0_14default_configENS1_21merge_config_selectorINS0_5tupleIJffEEENS0_10empty_typeEEEZNS1_10merge_implIS3_NS0_12zip_iteratorINS5_IJN6thrust23THRUST_200600_302600_NS6detail15normal_iteratorINSC_10device_ptrIKfEEEESI_EEEEESK_NSA_INS5_IJNSE_INSF_IfEEEESM_EEEEEPS7_SP_SP_NSC_11hip_rocprim7__merge17predicate_wrapperIffNSC_7greaterIfEEEEEE10hipError_tPvRmT0_T1_T2_T3_T4_T5_mmT6_P12ihipStream_tbEUlT_E0_NS1_11comp_targetILNS1_3genE3ELNS1_11target_archE908ELNS1_3gpuE7ELNS1_3repE0EEENS1_30default_config_static_selectorELNS0_4arch9wavefront6targetE0EEEvS10_.has_indirect_call, 0
	.section	.AMDGPU.csdata,"",@progbits
; Kernel info:
; codeLenInByte = 0
; TotalNumSgprs: 0
; NumVgprs: 0
; ScratchSize: 0
; MemoryBound: 0
; FloatMode: 240
; IeeeMode: 1
; LDSByteSize: 0 bytes/workgroup (compile time only)
; SGPRBlocks: 0
; VGPRBlocks: 0
; NumSGPRsForWavesPerEU: 1
; NumVGPRsForWavesPerEU: 1
; Occupancy: 16
; WaveLimiterHint : 0
; COMPUTE_PGM_RSRC2:SCRATCH_EN: 0
; COMPUTE_PGM_RSRC2:USER_SGPR: 6
; COMPUTE_PGM_RSRC2:TRAP_HANDLER: 0
; COMPUTE_PGM_RSRC2:TGID_X_EN: 1
; COMPUTE_PGM_RSRC2:TGID_Y_EN: 0
; COMPUTE_PGM_RSRC2:TGID_Z_EN: 0
; COMPUTE_PGM_RSRC2:TIDIG_COMP_CNT: 0
	.section	.text._ZN7rocprim17ROCPRIM_400000_NS6detail17trampoline_kernelINS0_14default_configENS1_21merge_config_selectorINS0_5tupleIJffEEENS0_10empty_typeEEEZNS1_10merge_implIS3_NS0_12zip_iteratorINS5_IJN6thrust23THRUST_200600_302600_NS6detail15normal_iteratorINSC_10device_ptrIKfEEEESI_EEEEESK_NSA_INS5_IJNSE_INSF_IfEEEESM_EEEEEPS7_SP_SP_NSC_11hip_rocprim7__merge17predicate_wrapperIffNSC_7greaterIfEEEEEE10hipError_tPvRmT0_T1_T2_T3_T4_T5_mmT6_P12ihipStream_tbEUlT_E0_NS1_11comp_targetILNS1_3genE2ELNS1_11target_archE906ELNS1_3gpuE6ELNS1_3repE0EEENS1_30default_config_static_selectorELNS0_4arch9wavefront6targetE0EEEvS10_,"axG",@progbits,_ZN7rocprim17ROCPRIM_400000_NS6detail17trampoline_kernelINS0_14default_configENS1_21merge_config_selectorINS0_5tupleIJffEEENS0_10empty_typeEEEZNS1_10merge_implIS3_NS0_12zip_iteratorINS5_IJN6thrust23THRUST_200600_302600_NS6detail15normal_iteratorINSC_10device_ptrIKfEEEESI_EEEEESK_NSA_INS5_IJNSE_INSF_IfEEEESM_EEEEEPS7_SP_SP_NSC_11hip_rocprim7__merge17predicate_wrapperIffNSC_7greaterIfEEEEEE10hipError_tPvRmT0_T1_T2_T3_T4_T5_mmT6_P12ihipStream_tbEUlT_E0_NS1_11comp_targetILNS1_3genE2ELNS1_11target_archE906ELNS1_3gpuE6ELNS1_3repE0EEENS1_30default_config_static_selectorELNS0_4arch9wavefront6targetE0EEEvS10_,comdat
	.protected	_ZN7rocprim17ROCPRIM_400000_NS6detail17trampoline_kernelINS0_14default_configENS1_21merge_config_selectorINS0_5tupleIJffEEENS0_10empty_typeEEEZNS1_10merge_implIS3_NS0_12zip_iteratorINS5_IJN6thrust23THRUST_200600_302600_NS6detail15normal_iteratorINSC_10device_ptrIKfEEEESI_EEEEESK_NSA_INS5_IJNSE_INSF_IfEEEESM_EEEEEPS7_SP_SP_NSC_11hip_rocprim7__merge17predicate_wrapperIffNSC_7greaterIfEEEEEE10hipError_tPvRmT0_T1_T2_T3_T4_T5_mmT6_P12ihipStream_tbEUlT_E0_NS1_11comp_targetILNS1_3genE2ELNS1_11target_archE906ELNS1_3gpuE6ELNS1_3repE0EEENS1_30default_config_static_selectorELNS0_4arch9wavefront6targetE0EEEvS10_ ; -- Begin function _ZN7rocprim17ROCPRIM_400000_NS6detail17trampoline_kernelINS0_14default_configENS1_21merge_config_selectorINS0_5tupleIJffEEENS0_10empty_typeEEEZNS1_10merge_implIS3_NS0_12zip_iteratorINS5_IJN6thrust23THRUST_200600_302600_NS6detail15normal_iteratorINSC_10device_ptrIKfEEEESI_EEEEESK_NSA_INS5_IJNSE_INSF_IfEEEESM_EEEEEPS7_SP_SP_NSC_11hip_rocprim7__merge17predicate_wrapperIffNSC_7greaterIfEEEEEE10hipError_tPvRmT0_T1_T2_T3_T4_T5_mmT6_P12ihipStream_tbEUlT_E0_NS1_11comp_targetILNS1_3genE2ELNS1_11target_archE906ELNS1_3gpuE6ELNS1_3repE0EEENS1_30default_config_static_selectorELNS0_4arch9wavefront6targetE0EEEvS10_
	.globl	_ZN7rocprim17ROCPRIM_400000_NS6detail17trampoline_kernelINS0_14default_configENS1_21merge_config_selectorINS0_5tupleIJffEEENS0_10empty_typeEEEZNS1_10merge_implIS3_NS0_12zip_iteratorINS5_IJN6thrust23THRUST_200600_302600_NS6detail15normal_iteratorINSC_10device_ptrIKfEEEESI_EEEEESK_NSA_INS5_IJNSE_INSF_IfEEEESM_EEEEEPS7_SP_SP_NSC_11hip_rocprim7__merge17predicate_wrapperIffNSC_7greaterIfEEEEEE10hipError_tPvRmT0_T1_T2_T3_T4_T5_mmT6_P12ihipStream_tbEUlT_E0_NS1_11comp_targetILNS1_3genE2ELNS1_11target_archE906ELNS1_3gpuE6ELNS1_3repE0EEENS1_30default_config_static_selectorELNS0_4arch9wavefront6targetE0EEEvS10_
	.p2align	8
	.type	_ZN7rocprim17ROCPRIM_400000_NS6detail17trampoline_kernelINS0_14default_configENS1_21merge_config_selectorINS0_5tupleIJffEEENS0_10empty_typeEEEZNS1_10merge_implIS3_NS0_12zip_iteratorINS5_IJN6thrust23THRUST_200600_302600_NS6detail15normal_iteratorINSC_10device_ptrIKfEEEESI_EEEEESK_NSA_INS5_IJNSE_INSF_IfEEEESM_EEEEEPS7_SP_SP_NSC_11hip_rocprim7__merge17predicate_wrapperIffNSC_7greaterIfEEEEEE10hipError_tPvRmT0_T1_T2_T3_T4_T5_mmT6_P12ihipStream_tbEUlT_E0_NS1_11comp_targetILNS1_3genE2ELNS1_11target_archE906ELNS1_3gpuE6ELNS1_3repE0EEENS1_30default_config_static_selectorELNS0_4arch9wavefront6targetE0EEEvS10_,@function
_ZN7rocprim17ROCPRIM_400000_NS6detail17trampoline_kernelINS0_14default_configENS1_21merge_config_selectorINS0_5tupleIJffEEENS0_10empty_typeEEEZNS1_10merge_implIS3_NS0_12zip_iteratorINS5_IJN6thrust23THRUST_200600_302600_NS6detail15normal_iteratorINSC_10device_ptrIKfEEEESI_EEEEESK_NSA_INS5_IJNSE_INSF_IfEEEESM_EEEEEPS7_SP_SP_NSC_11hip_rocprim7__merge17predicate_wrapperIffNSC_7greaterIfEEEEEE10hipError_tPvRmT0_T1_T2_T3_T4_T5_mmT6_P12ihipStream_tbEUlT_E0_NS1_11comp_targetILNS1_3genE2ELNS1_11target_archE906ELNS1_3gpuE6ELNS1_3repE0EEENS1_30default_config_static_selectorELNS0_4arch9wavefront6targetE0EEEvS10_: ; @_ZN7rocprim17ROCPRIM_400000_NS6detail17trampoline_kernelINS0_14default_configENS1_21merge_config_selectorINS0_5tupleIJffEEENS0_10empty_typeEEEZNS1_10merge_implIS3_NS0_12zip_iteratorINS5_IJN6thrust23THRUST_200600_302600_NS6detail15normal_iteratorINSC_10device_ptrIKfEEEESI_EEEEESK_NSA_INS5_IJNSE_INSF_IfEEEESM_EEEEEPS7_SP_SP_NSC_11hip_rocprim7__merge17predicate_wrapperIffNSC_7greaterIfEEEEEE10hipError_tPvRmT0_T1_T2_T3_T4_T5_mmT6_P12ihipStream_tbEUlT_E0_NS1_11comp_targetILNS1_3genE2ELNS1_11target_archE906ELNS1_3gpuE6ELNS1_3repE0EEENS1_30default_config_static_selectorELNS0_4arch9wavefront6targetE0EEEvS10_
; %bb.0:
	.section	.rodata,"a",@progbits
	.p2align	6, 0x0
	.amdhsa_kernel _ZN7rocprim17ROCPRIM_400000_NS6detail17trampoline_kernelINS0_14default_configENS1_21merge_config_selectorINS0_5tupleIJffEEENS0_10empty_typeEEEZNS1_10merge_implIS3_NS0_12zip_iteratorINS5_IJN6thrust23THRUST_200600_302600_NS6detail15normal_iteratorINSC_10device_ptrIKfEEEESI_EEEEESK_NSA_INS5_IJNSE_INSF_IfEEEESM_EEEEEPS7_SP_SP_NSC_11hip_rocprim7__merge17predicate_wrapperIffNSC_7greaterIfEEEEEE10hipError_tPvRmT0_T1_T2_T3_T4_T5_mmT6_P12ihipStream_tbEUlT_E0_NS1_11comp_targetILNS1_3genE2ELNS1_11target_archE906ELNS1_3gpuE6ELNS1_3repE0EEENS1_30default_config_static_selectorELNS0_4arch9wavefront6targetE0EEEvS10_
		.amdhsa_group_segment_fixed_size 0
		.amdhsa_private_segment_fixed_size 0
		.amdhsa_kernarg_size 112
		.amdhsa_user_sgpr_count 6
		.amdhsa_user_sgpr_private_segment_buffer 1
		.amdhsa_user_sgpr_dispatch_ptr 0
		.amdhsa_user_sgpr_queue_ptr 0
		.amdhsa_user_sgpr_kernarg_segment_ptr 1
		.amdhsa_user_sgpr_dispatch_id 0
		.amdhsa_user_sgpr_flat_scratch_init 0
		.amdhsa_user_sgpr_private_segment_size 0
		.amdhsa_wavefront_size32 1
		.amdhsa_uses_dynamic_stack 0
		.amdhsa_system_sgpr_private_segment_wavefront_offset 0
		.amdhsa_system_sgpr_workgroup_id_x 1
		.amdhsa_system_sgpr_workgroup_id_y 0
		.amdhsa_system_sgpr_workgroup_id_z 0
		.amdhsa_system_sgpr_workgroup_info 0
		.amdhsa_system_vgpr_workitem_id 0
		.amdhsa_next_free_vgpr 1
		.amdhsa_next_free_sgpr 1
		.amdhsa_reserve_vcc 0
		.amdhsa_reserve_flat_scratch 0
		.amdhsa_float_round_mode_32 0
		.amdhsa_float_round_mode_16_64 0
		.amdhsa_float_denorm_mode_32 3
		.amdhsa_float_denorm_mode_16_64 3
		.amdhsa_dx10_clamp 1
		.amdhsa_ieee_mode 1
		.amdhsa_fp16_overflow 0
		.amdhsa_workgroup_processor_mode 1
		.amdhsa_memory_ordered 1
		.amdhsa_forward_progress 1
		.amdhsa_shared_vgpr_count 0
		.amdhsa_exception_fp_ieee_invalid_op 0
		.amdhsa_exception_fp_denorm_src 0
		.amdhsa_exception_fp_ieee_div_zero 0
		.amdhsa_exception_fp_ieee_overflow 0
		.amdhsa_exception_fp_ieee_underflow 0
		.amdhsa_exception_fp_ieee_inexact 0
		.amdhsa_exception_int_div_zero 0
	.end_amdhsa_kernel
	.section	.text._ZN7rocprim17ROCPRIM_400000_NS6detail17trampoline_kernelINS0_14default_configENS1_21merge_config_selectorINS0_5tupleIJffEEENS0_10empty_typeEEEZNS1_10merge_implIS3_NS0_12zip_iteratorINS5_IJN6thrust23THRUST_200600_302600_NS6detail15normal_iteratorINSC_10device_ptrIKfEEEESI_EEEEESK_NSA_INS5_IJNSE_INSF_IfEEEESM_EEEEEPS7_SP_SP_NSC_11hip_rocprim7__merge17predicate_wrapperIffNSC_7greaterIfEEEEEE10hipError_tPvRmT0_T1_T2_T3_T4_T5_mmT6_P12ihipStream_tbEUlT_E0_NS1_11comp_targetILNS1_3genE2ELNS1_11target_archE906ELNS1_3gpuE6ELNS1_3repE0EEENS1_30default_config_static_selectorELNS0_4arch9wavefront6targetE0EEEvS10_,"axG",@progbits,_ZN7rocprim17ROCPRIM_400000_NS6detail17trampoline_kernelINS0_14default_configENS1_21merge_config_selectorINS0_5tupleIJffEEENS0_10empty_typeEEEZNS1_10merge_implIS3_NS0_12zip_iteratorINS5_IJN6thrust23THRUST_200600_302600_NS6detail15normal_iteratorINSC_10device_ptrIKfEEEESI_EEEEESK_NSA_INS5_IJNSE_INSF_IfEEEESM_EEEEEPS7_SP_SP_NSC_11hip_rocprim7__merge17predicate_wrapperIffNSC_7greaterIfEEEEEE10hipError_tPvRmT0_T1_T2_T3_T4_T5_mmT6_P12ihipStream_tbEUlT_E0_NS1_11comp_targetILNS1_3genE2ELNS1_11target_archE906ELNS1_3gpuE6ELNS1_3repE0EEENS1_30default_config_static_selectorELNS0_4arch9wavefront6targetE0EEEvS10_,comdat
.Lfunc_end348:
	.size	_ZN7rocprim17ROCPRIM_400000_NS6detail17trampoline_kernelINS0_14default_configENS1_21merge_config_selectorINS0_5tupleIJffEEENS0_10empty_typeEEEZNS1_10merge_implIS3_NS0_12zip_iteratorINS5_IJN6thrust23THRUST_200600_302600_NS6detail15normal_iteratorINSC_10device_ptrIKfEEEESI_EEEEESK_NSA_INS5_IJNSE_INSF_IfEEEESM_EEEEEPS7_SP_SP_NSC_11hip_rocprim7__merge17predicate_wrapperIffNSC_7greaterIfEEEEEE10hipError_tPvRmT0_T1_T2_T3_T4_T5_mmT6_P12ihipStream_tbEUlT_E0_NS1_11comp_targetILNS1_3genE2ELNS1_11target_archE906ELNS1_3gpuE6ELNS1_3repE0EEENS1_30default_config_static_selectorELNS0_4arch9wavefront6targetE0EEEvS10_, .Lfunc_end348-_ZN7rocprim17ROCPRIM_400000_NS6detail17trampoline_kernelINS0_14default_configENS1_21merge_config_selectorINS0_5tupleIJffEEENS0_10empty_typeEEEZNS1_10merge_implIS3_NS0_12zip_iteratorINS5_IJN6thrust23THRUST_200600_302600_NS6detail15normal_iteratorINSC_10device_ptrIKfEEEESI_EEEEESK_NSA_INS5_IJNSE_INSF_IfEEEESM_EEEEEPS7_SP_SP_NSC_11hip_rocprim7__merge17predicate_wrapperIffNSC_7greaterIfEEEEEE10hipError_tPvRmT0_T1_T2_T3_T4_T5_mmT6_P12ihipStream_tbEUlT_E0_NS1_11comp_targetILNS1_3genE2ELNS1_11target_archE906ELNS1_3gpuE6ELNS1_3repE0EEENS1_30default_config_static_selectorELNS0_4arch9wavefront6targetE0EEEvS10_
                                        ; -- End function
	.set _ZN7rocprim17ROCPRIM_400000_NS6detail17trampoline_kernelINS0_14default_configENS1_21merge_config_selectorINS0_5tupleIJffEEENS0_10empty_typeEEEZNS1_10merge_implIS3_NS0_12zip_iteratorINS5_IJN6thrust23THRUST_200600_302600_NS6detail15normal_iteratorINSC_10device_ptrIKfEEEESI_EEEEESK_NSA_INS5_IJNSE_INSF_IfEEEESM_EEEEEPS7_SP_SP_NSC_11hip_rocprim7__merge17predicate_wrapperIffNSC_7greaterIfEEEEEE10hipError_tPvRmT0_T1_T2_T3_T4_T5_mmT6_P12ihipStream_tbEUlT_E0_NS1_11comp_targetILNS1_3genE2ELNS1_11target_archE906ELNS1_3gpuE6ELNS1_3repE0EEENS1_30default_config_static_selectorELNS0_4arch9wavefront6targetE0EEEvS10_.num_vgpr, 0
	.set _ZN7rocprim17ROCPRIM_400000_NS6detail17trampoline_kernelINS0_14default_configENS1_21merge_config_selectorINS0_5tupleIJffEEENS0_10empty_typeEEEZNS1_10merge_implIS3_NS0_12zip_iteratorINS5_IJN6thrust23THRUST_200600_302600_NS6detail15normal_iteratorINSC_10device_ptrIKfEEEESI_EEEEESK_NSA_INS5_IJNSE_INSF_IfEEEESM_EEEEEPS7_SP_SP_NSC_11hip_rocprim7__merge17predicate_wrapperIffNSC_7greaterIfEEEEEE10hipError_tPvRmT0_T1_T2_T3_T4_T5_mmT6_P12ihipStream_tbEUlT_E0_NS1_11comp_targetILNS1_3genE2ELNS1_11target_archE906ELNS1_3gpuE6ELNS1_3repE0EEENS1_30default_config_static_selectorELNS0_4arch9wavefront6targetE0EEEvS10_.num_agpr, 0
	.set _ZN7rocprim17ROCPRIM_400000_NS6detail17trampoline_kernelINS0_14default_configENS1_21merge_config_selectorINS0_5tupleIJffEEENS0_10empty_typeEEEZNS1_10merge_implIS3_NS0_12zip_iteratorINS5_IJN6thrust23THRUST_200600_302600_NS6detail15normal_iteratorINSC_10device_ptrIKfEEEESI_EEEEESK_NSA_INS5_IJNSE_INSF_IfEEEESM_EEEEEPS7_SP_SP_NSC_11hip_rocprim7__merge17predicate_wrapperIffNSC_7greaterIfEEEEEE10hipError_tPvRmT0_T1_T2_T3_T4_T5_mmT6_P12ihipStream_tbEUlT_E0_NS1_11comp_targetILNS1_3genE2ELNS1_11target_archE906ELNS1_3gpuE6ELNS1_3repE0EEENS1_30default_config_static_selectorELNS0_4arch9wavefront6targetE0EEEvS10_.numbered_sgpr, 0
	.set _ZN7rocprim17ROCPRIM_400000_NS6detail17trampoline_kernelINS0_14default_configENS1_21merge_config_selectorINS0_5tupleIJffEEENS0_10empty_typeEEEZNS1_10merge_implIS3_NS0_12zip_iteratorINS5_IJN6thrust23THRUST_200600_302600_NS6detail15normal_iteratorINSC_10device_ptrIKfEEEESI_EEEEESK_NSA_INS5_IJNSE_INSF_IfEEEESM_EEEEEPS7_SP_SP_NSC_11hip_rocprim7__merge17predicate_wrapperIffNSC_7greaterIfEEEEEE10hipError_tPvRmT0_T1_T2_T3_T4_T5_mmT6_P12ihipStream_tbEUlT_E0_NS1_11comp_targetILNS1_3genE2ELNS1_11target_archE906ELNS1_3gpuE6ELNS1_3repE0EEENS1_30default_config_static_selectorELNS0_4arch9wavefront6targetE0EEEvS10_.num_named_barrier, 0
	.set _ZN7rocprim17ROCPRIM_400000_NS6detail17trampoline_kernelINS0_14default_configENS1_21merge_config_selectorINS0_5tupleIJffEEENS0_10empty_typeEEEZNS1_10merge_implIS3_NS0_12zip_iteratorINS5_IJN6thrust23THRUST_200600_302600_NS6detail15normal_iteratorINSC_10device_ptrIKfEEEESI_EEEEESK_NSA_INS5_IJNSE_INSF_IfEEEESM_EEEEEPS7_SP_SP_NSC_11hip_rocprim7__merge17predicate_wrapperIffNSC_7greaterIfEEEEEE10hipError_tPvRmT0_T1_T2_T3_T4_T5_mmT6_P12ihipStream_tbEUlT_E0_NS1_11comp_targetILNS1_3genE2ELNS1_11target_archE906ELNS1_3gpuE6ELNS1_3repE0EEENS1_30default_config_static_selectorELNS0_4arch9wavefront6targetE0EEEvS10_.private_seg_size, 0
	.set _ZN7rocprim17ROCPRIM_400000_NS6detail17trampoline_kernelINS0_14default_configENS1_21merge_config_selectorINS0_5tupleIJffEEENS0_10empty_typeEEEZNS1_10merge_implIS3_NS0_12zip_iteratorINS5_IJN6thrust23THRUST_200600_302600_NS6detail15normal_iteratorINSC_10device_ptrIKfEEEESI_EEEEESK_NSA_INS5_IJNSE_INSF_IfEEEESM_EEEEEPS7_SP_SP_NSC_11hip_rocprim7__merge17predicate_wrapperIffNSC_7greaterIfEEEEEE10hipError_tPvRmT0_T1_T2_T3_T4_T5_mmT6_P12ihipStream_tbEUlT_E0_NS1_11comp_targetILNS1_3genE2ELNS1_11target_archE906ELNS1_3gpuE6ELNS1_3repE0EEENS1_30default_config_static_selectorELNS0_4arch9wavefront6targetE0EEEvS10_.uses_vcc, 0
	.set _ZN7rocprim17ROCPRIM_400000_NS6detail17trampoline_kernelINS0_14default_configENS1_21merge_config_selectorINS0_5tupleIJffEEENS0_10empty_typeEEEZNS1_10merge_implIS3_NS0_12zip_iteratorINS5_IJN6thrust23THRUST_200600_302600_NS6detail15normal_iteratorINSC_10device_ptrIKfEEEESI_EEEEESK_NSA_INS5_IJNSE_INSF_IfEEEESM_EEEEEPS7_SP_SP_NSC_11hip_rocprim7__merge17predicate_wrapperIffNSC_7greaterIfEEEEEE10hipError_tPvRmT0_T1_T2_T3_T4_T5_mmT6_P12ihipStream_tbEUlT_E0_NS1_11comp_targetILNS1_3genE2ELNS1_11target_archE906ELNS1_3gpuE6ELNS1_3repE0EEENS1_30default_config_static_selectorELNS0_4arch9wavefront6targetE0EEEvS10_.uses_flat_scratch, 0
	.set _ZN7rocprim17ROCPRIM_400000_NS6detail17trampoline_kernelINS0_14default_configENS1_21merge_config_selectorINS0_5tupleIJffEEENS0_10empty_typeEEEZNS1_10merge_implIS3_NS0_12zip_iteratorINS5_IJN6thrust23THRUST_200600_302600_NS6detail15normal_iteratorINSC_10device_ptrIKfEEEESI_EEEEESK_NSA_INS5_IJNSE_INSF_IfEEEESM_EEEEEPS7_SP_SP_NSC_11hip_rocprim7__merge17predicate_wrapperIffNSC_7greaterIfEEEEEE10hipError_tPvRmT0_T1_T2_T3_T4_T5_mmT6_P12ihipStream_tbEUlT_E0_NS1_11comp_targetILNS1_3genE2ELNS1_11target_archE906ELNS1_3gpuE6ELNS1_3repE0EEENS1_30default_config_static_selectorELNS0_4arch9wavefront6targetE0EEEvS10_.has_dyn_sized_stack, 0
	.set _ZN7rocprim17ROCPRIM_400000_NS6detail17trampoline_kernelINS0_14default_configENS1_21merge_config_selectorINS0_5tupleIJffEEENS0_10empty_typeEEEZNS1_10merge_implIS3_NS0_12zip_iteratorINS5_IJN6thrust23THRUST_200600_302600_NS6detail15normal_iteratorINSC_10device_ptrIKfEEEESI_EEEEESK_NSA_INS5_IJNSE_INSF_IfEEEESM_EEEEEPS7_SP_SP_NSC_11hip_rocprim7__merge17predicate_wrapperIffNSC_7greaterIfEEEEEE10hipError_tPvRmT0_T1_T2_T3_T4_T5_mmT6_P12ihipStream_tbEUlT_E0_NS1_11comp_targetILNS1_3genE2ELNS1_11target_archE906ELNS1_3gpuE6ELNS1_3repE0EEENS1_30default_config_static_selectorELNS0_4arch9wavefront6targetE0EEEvS10_.has_recursion, 0
	.set _ZN7rocprim17ROCPRIM_400000_NS6detail17trampoline_kernelINS0_14default_configENS1_21merge_config_selectorINS0_5tupleIJffEEENS0_10empty_typeEEEZNS1_10merge_implIS3_NS0_12zip_iteratorINS5_IJN6thrust23THRUST_200600_302600_NS6detail15normal_iteratorINSC_10device_ptrIKfEEEESI_EEEEESK_NSA_INS5_IJNSE_INSF_IfEEEESM_EEEEEPS7_SP_SP_NSC_11hip_rocprim7__merge17predicate_wrapperIffNSC_7greaterIfEEEEEE10hipError_tPvRmT0_T1_T2_T3_T4_T5_mmT6_P12ihipStream_tbEUlT_E0_NS1_11comp_targetILNS1_3genE2ELNS1_11target_archE906ELNS1_3gpuE6ELNS1_3repE0EEENS1_30default_config_static_selectorELNS0_4arch9wavefront6targetE0EEEvS10_.has_indirect_call, 0
	.section	.AMDGPU.csdata,"",@progbits
; Kernel info:
; codeLenInByte = 0
; TotalNumSgprs: 0
; NumVgprs: 0
; ScratchSize: 0
; MemoryBound: 0
; FloatMode: 240
; IeeeMode: 1
; LDSByteSize: 0 bytes/workgroup (compile time only)
; SGPRBlocks: 0
; VGPRBlocks: 0
; NumSGPRsForWavesPerEU: 1
; NumVGPRsForWavesPerEU: 1
; Occupancy: 16
; WaveLimiterHint : 0
; COMPUTE_PGM_RSRC2:SCRATCH_EN: 0
; COMPUTE_PGM_RSRC2:USER_SGPR: 6
; COMPUTE_PGM_RSRC2:TRAP_HANDLER: 0
; COMPUTE_PGM_RSRC2:TGID_X_EN: 1
; COMPUTE_PGM_RSRC2:TGID_Y_EN: 0
; COMPUTE_PGM_RSRC2:TGID_Z_EN: 0
; COMPUTE_PGM_RSRC2:TIDIG_COMP_CNT: 0
	.section	.text._ZN7rocprim17ROCPRIM_400000_NS6detail17trampoline_kernelINS0_14default_configENS1_21merge_config_selectorINS0_5tupleIJffEEENS0_10empty_typeEEEZNS1_10merge_implIS3_NS0_12zip_iteratorINS5_IJN6thrust23THRUST_200600_302600_NS6detail15normal_iteratorINSC_10device_ptrIKfEEEESI_EEEEESK_NSA_INS5_IJNSE_INSF_IfEEEESM_EEEEEPS7_SP_SP_NSC_11hip_rocprim7__merge17predicate_wrapperIffNSC_7greaterIfEEEEEE10hipError_tPvRmT0_T1_T2_T3_T4_T5_mmT6_P12ihipStream_tbEUlT_E0_NS1_11comp_targetILNS1_3genE10ELNS1_11target_archE1201ELNS1_3gpuE5ELNS1_3repE0EEENS1_30default_config_static_selectorELNS0_4arch9wavefront6targetE0EEEvS10_,"axG",@progbits,_ZN7rocprim17ROCPRIM_400000_NS6detail17trampoline_kernelINS0_14default_configENS1_21merge_config_selectorINS0_5tupleIJffEEENS0_10empty_typeEEEZNS1_10merge_implIS3_NS0_12zip_iteratorINS5_IJN6thrust23THRUST_200600_302600_NS6detail15normal_iteratorINSC_10device_ptrIKfEEEESI_EEEEESK_NSA_INS5_IJNSE_INSF_IfEEEESM_EEEEEPS7_SP_SP_NSC_11hip_rocprim7__merge17predicate_wrapperIffNSC_7greaterIfEEEEEE10hipError_tPvRmT0_T1_T2_T3_T4_T5_mmT6_P12ihipStream_tbEUlT_E0_NS1_11comp_targetILNS1_3genE10ELNS1_11target_archE1201ELNS1_3gpuE5ELNS1_3repE0EEENS1_30default_config_static_selectorELNS0_4arch9wavefront6targetE0EEEvS10_,comdat
	.protected	_ZN7rocprim17ROCPRIM_400000_NS6detail17trampoline_kernelINS0_14default_configENS1_21merge_config_selectorINS0_5tupleIJffEEENS0_10empty_typeEEEZNS1_10merge_implIS3_NS0_12zip_iteratorINS5_IJN6thrust23THRUST_200600_302600_NS6detail15normal_iteratorINSC_10device_ptrIKfEEEESI_EEEEESK_NSA_INS5_IJNSE_INSF_IfEEEESM_EEEEEPS7_SP_SP_NSC_11hip_rocprim7__merge17predicate_wrapperIffNSC_7greaterIfEEEEEE10hipError_tPvRmT0_T1_T2_T3_T4_T5_mmT6_P12ihipStream_tbEUlT_E0_NS1_11comp_targetILNS1_3genE10ELNS1_11target_archE1201ELNS1_3gpuE5ELNS1_3repE0EEENS1_30default_config_static_selectorELNS0_4arch9wavefront6targetE0EEEvS10_ ; -- Begin function _ZN7rocprim17ROCPRIM_400000_NS6detail17trampoline_kernelINS0_14default_configENS1_21merge_config_selectorINS0_5tupleIJffEEENS0_10empty_typeEEEZNS1_10merge_implIS3_NS0_12zip_iteratorINS5_IJN6thrust23THRUST_200600_302600_NS6detail15normal_iteratorINSC_10device_ptrIKfEEEESI_EEEEESK_NSA_INS5_IJNSE_INSF_IfEEEESM_EEEEEPS7_SP_SP_NSC_11hip_rocprim7__merge17predicate_wrapperIffNSC_7greaterIfEEEEEE10hipError_tPvRmT0_T1_T2_T3_T4_T5_mmT6_P12ihipStream_tbEUlT_E0_NS1_11comp_targetILNS1_3genE10ELNS1_11target_archE1201ELNS1_3gpuE5ELNS1_3repE0EEENS1_30default_config_static_selectorELNS0_4arch9wavefront6targetE0EEEvS10_
	.globl	_ZN7rocprim17ROCPRIM_400000_NS6detail17trampoline_kernelINS0_14default_configENS1_21merge_config_selectorINS0_5tupleIJffEEENS0_10empty_typeEEEZNS1_10merge_implIS3_NS0_12zip_iteratorINS5_IJN6thrust23THRUST_200600_302600_NS6detail15normal_iteratorINSC_10device_ptrIKfEEEESI_EEEEESK_NSA_INS5_IJNSE_INSF_IfEEEESM_EEEEEPS7_SP_SP_NSC_11hip_rocprim7__merge17predicate_wrapperIffNSC_7greaterIfEEEEEE10hipError_tPvRmT0_T1_T2_T3_T4_T5_mmT6_P12ihipStream_tbEUlT_E0_NS1_11comp_targetILNS1_3genE10ELNS1_11target_archE1201ELNS1_3gpuE5ELNS1_3repE0EEENS1_30default_config_static_selectorELNS0_4arch9wavefront6targetE0EEEvS10_
	.p2align	8
	.type	_ZN7rocprim17ROCPRIM_400000_NS6detail17trampoline_kernelINS0_14default_configENS1_21merge_config_selectorINS0_5tupleIJffEEENS0_10empty_typeEEEZNS1_10merge_implIS3_NS0_12zip_iteratorINS5_IJN6thrust23THRUST_200600_302600_NS6detail15normal_iteratorINSC_10device_ptrIKfEEEESI_EEEEESK_NSA_INS5_IJNSE_INSF_IfEEEESM_EEEEEPS7_SP_SP_NSC_11hip_rocprim7__merge17predicate_wrapperIffNSC_7greaterIfEEEEEE10hipError_tPvRmT0_T1_T2_T3_T4_T5_mmT6_P12ihipStream_tbEUlT_E0_NS1_11comp_targetILNS1_3genE10ELNS1_11target_archE1201ELNS1_3gpuE5ELNS1_3repE0EEENS1_30default_config_static_selectorELNS0_4arch9wavefront6targetE0EEEvS10_,@function
_ZN7rocprim17ROCPRIM_400000_NS6detail17trampoline_kernelINS0_14default_configENS1_21merge_config_selectorINS0_5tupleIJffEEENS0_10empty_typeEEEZNS1_10merge_implIS3_NS0_12zip_iteratorINS5_IJN6thrust23THRUST_200600_302600_NS6detail15normal_iteratorINSC_10device_ptrIKfEEEESI_EEEEESK_NSA_INS5_IJNSE_INSF_IfEEEESM_EEEEEPS7_SP_SP_NSC_11hip_rocprim7__merge17predicate_wrapperIffNSC_7greaterIfEEEEEE10hipError_tPvRmT0_T1_T2_T3_T4_T5_mmT6_P12ihipStream_tbEUlT_E0_NS1_11comp_targetILNS1_3genE10ELNS1_11target_archE1201ELNS1_3gpuE5ELNS1_3repE0EEENS1_30default_config_static_selectorELNS0_4arch9wavefront6targetE0EEEvS10_: ; @_ZN7rocprim17ROCPRIM_400000_NS6detail17trampoline_kernelINS0_14default_configENS1_21merge_config_selectorINS0_5tupleIJffEEENS0_10empty_typeEEEZNS1_10merge_implIS3_NS0_12zip_iteratorINS5_IJN6thrust23THRUST_200600_302600_NS6detail15normal_iteratorINSC_10device_ptrIKfEEEESI_EEEEESK_NSA_INS5_IJNSE_INSF_IfEEEESM_EEEEEPS7_SP_SP_NSC_11hip_rocprim7__merge17predicate_wrapperIffNSC_7greaterIfEEEEEE10hipError_tPvRmT0_T1_T2_T3_T4_T5_mmT6_P12ihipStream_tbEUlT_E0_NS1_11comp_targetILNS1_3genE10ELNS1_11target_archE1201ELNS1_3gpuE5ELNS1_3repE0EEENS1_30default_config_static_selectorELNS0_4arch9wavefront6targetE0EEEvS10_
; %bb.0:
	.section	.rodata,"a",@progbits
	.p2align	6, 0x0
	.amdhsa_kernel _ZN7rocprim17ROCPRIM_400000_NS6detail17trampoline_kernelINS0_14default_configENS1_21merge_config_selectorINS0_5tupleIJffEEENS0_10empty_typeEEEZNS1_10merge_implIS3_NS0_12zip_iteratorINS5_IJN6thrust23THRUST_200600_302600_NS6detail15normal_iteratorINSC_10device_ptrIKfEEEESI_EEEEESK_NSA_INS5_IJNSE_INSF_IfEEEESM_EEEEEPS7_SP_SP_NSC_11hip_rocprim7__merge17predicate_wrapperIffNSC_7greaterIfEEEEEE10hipError_tPvRmT0_T1_T2_T3_T4_T5_mmT6_P12ihipStream_tbEUlT_E0_NS1_11comp_targetILNS1_3genE10ELNS1_11target_archE1201ELNS1_3gpuE5ELNS1_3repE0EEENS1_30default_config_static_selectorELNS0_4arch9wavefront6targetE0EEEvS10_
		.amdhsa_group_segment_fixed_size 0
		.amdhsa_private_segment_fixed_size 0
		.amdhsa_kernarg_size 112
		.amdhsa_user_sgpr_count 6
		.amdhsa_user_sgpr_private_segment_buffer 1
		.amdhsa_user_sgpr_dispatch_ptr 0
		.amdhsa_user_sgpr_queue_ptr 0
		.amdhsa_user_sgpr_kernarg_segment_ptr 1
		.amdhsa_user_sgpr_dispatch_id 0
		.amdhsa_user_sgpr_flat_scratch_init 0
		.amdhsa_user_sgpr_private_segment_size 0
		.amdhsa_wavefront_size32 1
		.amdhsa_uses_dynamic_stack 0
		.amdhsa_system_sgpr_private_segment_wavefront_offset 0
		.amdhsa_system_sgpr_workgroup_id_x 1
		.amdhsa_system_sgpr_workgroup_id_y 0
		.amdhsa_system_sgpr_workgroup_id_z 0
		.amdhsa_system_sgpr_workgroup_info 0
		.amdhsa_system_vgpr_workitem_id 0
		.amdhsa_next_free_vgpr 1
		.amdhsa_next_free_sgpr 1
		.amdhsa_reserve_vcc 0
		.amdhsa_reserve_flat_scratch 0
		.amdhsa_float_round_mode_32 0
		.amdhsa_float_round_mode_16_64 0
		.amdhsa_float_denorm_mode_32 3
		.amdhsa_float_denorm_mode_16_64 3
		.amdhsa_dx10_clamp 1
		.amdhsa_ieee_mode 1
		.amdhsa_fp16_overflow 0
		.amdhsa_workgroup_processor_mode 1
		.amdhsa_memory_ordered 1
		.amdhsa_forward_progress 1
		.amdhsa_shared_vgpr_count 0
		.amdhsa_exception_fp_ieee_invalid_op 0
		.amdhsa_exception_fp_denorm_src 0
		.amdhsa_exception_fp_ieee_div_zero 0
		.amdhsa_exception_fp_ieee_overflow 0
		.amdhsa_exception_fp_ieee_underflow 0
		.amdhsa_exception_fp_ieee_inexact 0
		.amdhsa_exception_int_div_zero 0
	.end_amdhsa_kernel
	.section	.text._ZN7rocprim17ROCPRIM_400000_NS6detail17trampoline_kernelINS0_14default_configENS1_21merge_config_selectorINS0_5tupleIJffEEENS0_10empty_typeEEEZNS1_10merge_implIS3_NS0_12zip_iteratorINS5_IJN6thrust23THRUST_200600_302600_NS6detail15normal_iteratorINSC_10device_ptrIKfEEEESI_EEEEESK_NSA_INS5_IJNSE_INSF_IfEEEESM_EEEEEPS7_SP_SP_NSC_11hip_rocprim7__merge17predicate_wrapperIffNSC_7greaterIfEEEEEE10hipError_tPvRmT0_T1_T2_T3_T4_T5_mmT6_P12ihipStream_tbEUlT_E0_NS1_11comp_targetILNS1_3genE10ELNS1_11target_archE1201ELNS1_3gpuE5ELNS1_3repE0EEENS1_30default_config_static_selectorELNS0_4arch9wavefront6targetE0EEEvS10_,"axG",@progbits,_ZN7rocprim17ROCPRIM_400000_NS6detail17trampoline_kernelINS0_14default_configENS1_21merge_config_selectorINS0_5tupleIJffEEENS0_10empty_typeEEEZNS1_10merge_implIS3_NS0_12zip_iteratorINS5_IJN6thrust23THRUST_200600_302600_NS6detail15normal_iteratorINSC_10device_ptrIKfEEEESI_EEEEESK_NSA_INS5_IJNSE_INSF_IfEEEESM_EEEEEPS7_SP_SP_NSC_11hip_rocprim7__merge17predicate_wrapperIffNSC_7greaterIfEEEEEE10hipError_tPvRmT0_T1_T2_T3_T4_T5_mmT6_P12ihipStream_tbEUlT_E0_NS1_11comp_targetILNS1_3genE10ELNS1_11target_archE1201ELNS1_3gpuE5ELNS1_3repE0EEENS1_30default_config_static_selectorELNS0_4arch9wavefront6targetE0EEEvS10_,comdat
.Lfunc_end349:
	.size	_ZN7rocprim17ROCPRIM_400000_NS6detail17trampoline_kernelINS0_14default_configENS1_21merge_config_selectorINS0_5tupleIJffEEENS0_10empty_typeEEEZNS1_10merge_implIS3_NS0_12zip_iteratorINS5_IJN6thrust23THRUST_200600_302600_NS6detail15normal_iteratorINSC_10device_ptrIKfEEEESI_EEEEESK_NSA_INS5_IJNSE_INSF_IfEEEESM_EEEEEPS7_SP_SP_NSC_11hip_rocprim7__merge17predicate_wrapperIffNSC_7greaterIfEEEEEE10hipError_tPvRmT0_T1_T2_T3_T4_T5_mmT6_P12ihipStream_tbEUlT_E0_NS1_11comp_targetILNS1_3genE10ELNS1_11target_archE1201ELNS1_3gpuE5ELNS1_3repE0EEENS1_30default_config_static_selectorELNS0_4arch9wavefront6targetE0EEEvS10_, .Lfunc_end349-_ZN7rocprim17ROCPRIM_400000_NS6detail17trampoline_kernelINS0_14default_configENS1_21merge_config_selectorINS0_5tupleIJffEEENS0_10empty_typeEEEZNS1_10merge_implIS3_NS0_12zip_iteratorINS5_IJN6thrust23THRUST_200600_302600_NS6detail15normal_iteratorINSC_10device_ptrIKfEEEESI_EEEEESK_NSA_INS5_IJNSE_INSF_IfEEEESM_EEEEEPS7_SP_SP_NSC_11hip_rocprim7__merge17predicate_wrapperIffNSC_7greaterIfEEEEEE10hipError_tPvRmT0_T1_T2_T3_T4_T5_mmT6_P12ihipStream_tbEUlT_E0_NS1_11comp_targetILNS1_3genE10ELNS1_11target_archE1201ELNS1_3gpuE5ELNS1_3repE0EEENS1_30default_config_static_selectorELNS0_4arch9wavefront6targetE0EEEvS10_
                                        ; -- End function
	.set _ZN7rocprim17ROCPRIM_400000_NS6detail17trampoline_kernelINS0_14default_configENS1_21merge_config_selectorINS0_5tupleIJffEEENS0_10empty_typeEEEZNS1_10merge_implIS3_NS0_12zip_iteratorINS5_IJN6thrust23THRUST_200600_302600_NS6detail15normal_iteratorINSC_10device_ptrIKfEEEESI_EEEEESK_NSA_INS5_IJNSE_INSF_IfEEEESM_EEEEEPS7_SP_SP_NSC_11hip_rocprim7__merge17predicate_wrapperIffNSC_7greaterIfEEEEEE10hipError_tPvRmT0_T1_T2_T3_T4_T5_mmT6_P12ihipStream_tbEUlT_E0_NS1_11comp_targetILNS1_3genE10ELNS1_11target_archE1201ELNS1_3gpuE5ELNS1_3repE0EEENS1_30default_config_static_selectorELNS0_4arch9wavefront6targetE0EEEvS10_.num_vgpr, 0
	.set _ZN7rocprim17ROCPRIM_400000_NS6detail17trampoline_kernelINS0_14default_configENS1_21merge_config_selectorINS0_5tupleIJffEEENS0_10empty_typeEEEZNS1_10merge_implIS3_NS0_12zip_iteratorINS5_IJN6thrust23THRUST_200600_302600_NS6detail15normal_iteratorINSC_10device_ptrIKfEEEESI_EEEEESK_NSA_INS5_IJNSE_INSF_IfEEEESM_EEEEEPS7_SP_SP_NSC_11hip_rocprim7__merge17predicate_wrapperIffNSC_7greaterIfEEEEEE10hipError_tPvRmT0_T1_T2_T3_T4_T5_mmT6_P12ihipStream_tbEUlT_E0_NS1_11comp_targetILNS1_3genE10ELNS1_11target_archE1201ELNS1_3gpuE5ELNS1_3repE0EEENS1_30default_config_static_selectorELNS0_4arch9wavefront6targetE0EEEvS10_.num_agpr, 0
	.set _ZN7rocprim17ROCPRIM_400000_NS6detail17trampoline_kernelINS0_14default_configENS1_21merge_config_selectorINS0_5tupleIJffEEENS0_10empty_typeEEEZNS1_10merge_implIS3_NS0_12zip_iteratorINS5_IJN6thrust23THRUST_200600_302600_NS6detail15normal_iteratorINSC_10device_ptrIKfEEEESI_EEEEESK_NSA_INS5_IJNSE_INSF_IfEEEESM_EEEEEPS7_SP_SP_NSC_11hip_rocprim7__merge17predicate_wrapperIffNSC_7greaterIfEEEEEE10hipError_tPvRmT0_T1_T2_T3_T4_T5_mmT6_P12ihipStream_tbEUlT_E0_NS1_11comp_targetILNS1_3genE10ELNS1_11target_archE1201ELNS1_3gpuE5ELNS1_3repE0EEENS1_30default_config_static_selectorELNS0_4arch9wavefront6targetE0EEEvS10_.numbered_sgpr, 0
	.set _ZN7rocprim17ROCPRIM_400000_NS6detail17trampoline_kernelINS0_14default_configENS1_21merge_config_selectorINS0_5tupleIJffEEENS0_10empty_typeEEEZNS1_10merge_implIS3_NS0_12zip_iteratorINS5_IJN6thrust23THRUST_200600_302600_NS6detail15normal_iteratorINSC_10device_ptrIKfEEEESI_EEEEESK_NSA_INS5_IJNSE_INSF_IfEEEESM_EEEEEPS7_SP_SP_NSC_11hip_rocprim7__merge17predicate_wrapperIffNSC_7greaterIfEEEEEE10hipError_tPvRmT0_T1_T2_T3_T4_T5_mmT6_P12ihipStream_tbEUlT_E0_NS1_11comp_targetILNS1_3genE10ELNS1_11target_archE1201ELNS1_3gpuE5ELNS1_3repE0EEENS1_30default_config_static_selectorELNS0_4arch9wavefront6targetE0EEEvS10_.num_named_barrier, 0
	.set _ZN7rocprim17ROCPRIM_400000_NS6detail17trampoline_kernelINS0_14default_configENS1_21merge_config_selectorINS0_5tupleIJffEEENS0_10empty_typeEEEZNS1_10merge_implIS3_NS0_12zip_iteratorINS5_IJN6thrust23THRUST_200600_302600_NS6detail15normal_iteratorINSC_10device_ptrIKfEEEESI_EEEEESK_NSA_INS5_IJNSE_INSF_IfEEEESM_EEEEEPS7_SP_SP_NSC_11hip_rocprim7__merge17predicate_wrapperIffNSC_7greaterIfEEEEEE10hipError_tPvRmT0_T1_T2_T3_T4_T5_mmT6_P12ihipStream_tbEUlT_E0_NS1_11comp_targetILNS1_3genE10ELNS1_11target_archE1201ELNS1_3gpuE5ELNS1_3repE0EEENS1_30default_config_static_selectorELNS0_4arch9wavefront6targetE0EEEvS10_.private_seg_size, 0
	.set _ZN7rocprim17ROCPRIM_400000_NS6detail17trampoline_kernelINS0_14default_configENS1_21merge_config_selectorINS0_5tupleIJffEEENS0_10empty_typeEEEZNS1_10merge_implIS3_NS0_12zip_iteratorINS5_IJN6thrust23THRUST_200600_302600_NS6detail15normal_iteratorINSC_10device_ptrIKfEEEESI_EEEEESK_NSA_INS5_IJNSE_INSF_IfEEEESM_EEEEEPS7_SP_SP_NSC_11hip_rocprim7__merge17predicate_wrapperIffNSC_7greaterIfEEEEEE10hipError_tPvRmT0_T1_T2_T3_T4_T5_mmT6_P12ihipStream_tbEUlT_E0_NS1_11comp_targetILNS1_3genE10ELNS1_11target_archE1201ELNS1_3gpuE5ELNS1_3repE0EEENS1_30default_config_static_selectorELNS0_4arch9wavefront6targetE0EEEvS10_.uses_vcc, 0
	.set _ZN7rocprim17ROCPRIM_400000_NS6detail17trampoline_kernelINS0_14default_configENS1_21merge_config_selectorINS0_5tupleIJffEEENS0_10empty_typeEEEZNS1_10merge_implIS3_NS0_12zip_iteratorINS5_IJN6thrust23THRUST_200600_302600_NS6detail15normal_iteratorINSC_10device_ptrIKfEEEESI_EEEEESK_NSA_INS5_IJNSE_INSF_IfEEEESM_EEEEEPS7_SP_SP_NSC_11hip_rocprim7__merge17predicate_wrapperIffNSC_7greaterIfEEEEEE10hipError_tPvRmT0_T1_T2_T3_T4_T5_mmT6_P12ihipStream_tbEUlT_E0_NS1_11comp_targetILNS1_3genE10ELNS1_11target_archE1201ELNS1_3gpuE5ELNS1_3repE0EEENS1_30default_config_static_selectorELNS0_4arch9wavefront6targetE0EEEvS10_.uses_flat_scratch, 0
	.set _ZN7rocprim17ROCPRIM_400000_NS6detail17trampoline_kernelINS0_14default_configENS1_21merge_config_selectorINS0_5tupleIJffEEENS0_10empty_typeEEEZNS1_10merge_implIS3_NS0_12zip_iteratorINS5_IJN6thrust23THRUST_200600_302600_NS6detail15normal_iteratorINSC_10device_ptrIKfEEEESI_EEEEESK_NSA_INS5_IJNSE_INSF_IfEEEESM_EEEEEPS7_SP_SP_NSC_11hip_rocprim7__merge17predicate_wrapperIffNSC_7greaterIfEEEEEE10hipError_tPvRmT0_T1_T2_T3_T4_T5_mmT6_P12ihipStream_tbEUlT_E0_NS1_11comp_targetILNS1_3genE10ELNS1_11target_archE1201ELNS1_3gpuE5ELNS1_3repE0EEENS1_30default_config_static_selectorELNS0_4arch9wavefront6targetE0EEEvS10_.has_dyn_sized_stack, 0
	.set _ZN7rocprim17ROCPRIM_400000_NS6detail17trampoline_kernelINS0_14default_configENS1_21merge_config_selectorINS0_5tupleIJffEEENS0_10empty_typeEEEZNS1_10merge_implIS3_NS0_12zip_iteratorINS5_IJN6thrust23THRUST_200600_302600_NS6detail15normal_iteratorINSC_10device_ptrIKfEEEESI_EEEEESK_NSA_INS5_IJNSE_INSF_IfEEEESM_EEEEEPS7_SP_SP_NSC_11hip_rocprim7__merge17predicate_wrapperIffNSC_7greaterIfEEEEEE10hipError_tPvRmT0_T1_T2_T3_T4_T5_mmT6_P12ihipStream_tbEUlT_E0_NS1_11comp_targetILNS1_3genE10ELNS1_11target_archE1201ELNS1_3gpuE5ELNS1_3repE0EEENS1_30default_config_static_selectorELNS0_4arch9wavefront6targetE0EEEvS10_.has_recursion, 0
	.set _ZN7rocprim17ROCPRIM_400000_NS6detail17trampoline_kernelINS0_14default_configENS1_21merge_config_selectorINS0_5tupleIJffEEENS0_10empty_typeEEEZNS1_10merge_implIS3_NS0_12zip_iteratorINS5_IJN6thrust23THRUST_200600_302600_NS6detail15normal_iteratorINSC_10device_ptrIKfEEEESI_EEEEESK_NSA_INS5_IJNSE_INSF_IfEEEESM_EEEEEPS7_SP_SP_NSC_11hip_rocprim7__merge17predicate_wrapperIffNSC_7greaterIfEEEEEE10hipError_tPvRmT0_T1_T2_T3_T4_T5_mmT6_P12ihipStream_tbEUlT_E0_NS1_11comp_targetILNS1_3genE10ELNS1_11target_archE1201ELNS1_3gpuE5ELNS1_3repE0EEENS1_30default_config_static_selectorELNS0_4arch9wavefront6targetE0EEEvS10_.has_indirect_call, 0
	.section	.AMDGPU.csdata,"",@progbits
; Kernel info:
; codeLenInByte = 0
; TotalNumSgprs: 0
; NumVgprs: 0
; ScratchSize: 0
; MemoryBound: 0
; FloatMode: 240
; IeeeMode: 1
; LDSByteSize: 0 bytes/workgroup (compile time only)
; SGPRBlocks: 0
; VGPRBlocks: 0
; NumSGPRsForWavesPerEU: 1
; NumVGPRsForWavesPerEU: 1
; Occupancy: 16
; WaveLimiterHint : 0
; COMPUTE_PGM_RSRC2:SCRATCH_EN: 0
; COMPUTE_PGM_RSRC2:USER_SGPR: 6
; COMPUTE_PGM_RSRC2:TRAP_HANDLER: 0
; COMPUTE_PGM_RSRC2:TGID_X_EN: 1
; COMPUTE_PGM_RSRC2:TGID_Y_EN: 0
; COMPUTE_PGM_RSRC2:TGID_Z_EN: 0
; COMPUTE_PGM_RSRC2:TIDIG_COMP_CNT: 0
	.section	.text._ZN7rocprim17ROCPRIM_400000_NS6detail17trampoline_kernelINS0_14default_configENS1_21merge_config_selectorINS0_5tupleIJffEEENS0_10empty_typeEEEZNS1_10merge_implIS3_NS0_12zip_iteratorINS5_IJN6thrust23THRUST_200600_302600_NS6detail15normal_iteratorINSC_10device_ptrIKfEEEESI_EEEEESK_NSA_INS5_IJNSE_INSF_IfEEEESM_EEEEEPS7_SP_SP_NSC_11hip_rocprim7__merge17predicate_wrapperIffNSC_7greaterIfEEEEEE10hipError_tPvRmT0_T1_T2_T3_T4_T5_mmT6_P12ihipStream_tbEUlT_E0_NS1_11comp_targetILNS1_3genE10ELNS1_11target_archE1200ELNS1_3gpuE4ELNS1_3repE0EEENS1_30default_config_static_selectorELNS0_4arch9wavefront6targetE0EEEvS10_,"axG",@progbits,_ZN7rocprim17ROCPRIM_400000_NS6detail17trampoline_kernelINS0_14default_configENS1_21merge_config_selectorINS0_5tupleIJffEEENS0_10empty_typeEEEZNS1_10merge_implIS3_NS0_12zip_iteratorINS5_IJN6thrust23THRUST_200600_302600_NS6detail15normal_iteratorINSC_10device_ptrIKfEEEESI_EEEEESK_NSA_INS5_IJNSE_INSF_IfEEEESM_EEEEEPS7_SP_SP_NSC_11hip_rocprim7__merge17predicate_wrapperIffNSC_7greaterIfEEEEEE10hipError_tPvRmT0_T1_T2_T3_T4_T5_mmT6_P12ihipStream_tbEUlT_E0_NS1_11comp_targetILNS1_3genE10ELNS1_11target_archE1200ELNS1_3gpuE4ELNS1_3repE0EEENS1_30default_config_static_selectorELNS0_4arch9wavefront6targetE0EEEvS10_,comdat
	.protected	_ZN7rocprim17ROCPRIM_400000_NS6detail17trampoline_kernelINS0_14default_configENS1_21merge_config_selectorINS0_5tupleIJffEEENS0_10empty_typeEEEZNS1_10merge_implIS3_NS0_12zip_iteratorINS5_IJN6thrust23THRUST_200600_302600_NS6detail15normal_iteratorINSC_10device_ptrIKfEEEESI_EEEEESK_NSA_INS5_IJNSE_INSF_IfEEEESM_EEEEEPS7_SP_SP_NSC_11hip_rocprim7__merge17predicate_wrapperIffNSC_7greaterIfEEEEEE10hipError_tPvRmT0_T1_T2_T3_T4_T5_mmT6_P12ihipStream_tbEUlT_E0_NS1_11comp_targetILNS1_3genE10ELNS1_11target_archE1200ELNS1_3gpuE4ELNS1_3repE0EEENS1_30default_config_static_selectorELNS0_4arch9wavefront6targetE0EEEvS10_ ; -- Begin function _ZN7rocprim17ROCPRIM_400000_NS6detail17trampoline_kernelINS0_14default_configENS1_21merge_config_selectorINS0_5tupleIJffEEENS0_10empty_typeEEEZNS1_10merge_implIS3_NS0_12zip_iteratorINS5_IJN6thrust23THRUST_200600_302600_NS6detail15normal_iteratorINSC_10device_ptrIKfEEEESI_EEEEESK_NSA_INS5_IJNSE_INSF_IfEEEESM_EEEEEPS7_SP_SP_NSC_11hip_rocprim7__merge17predicate_wrapperIffNSC_7greaterIfEEEEEE10hipError_tPvRmT0_T1_T2_T3_T4_T5_mmT6_P12ihipStream_tbEUlT_E0_NS1_11comp_targetILNS1_3genE10ELNS1_11target_archE1200ELNS1_3gpuE4ELNS1_3repE0EEENS1_30default_config_static_selectorELNS0_4arch9wavefront6targetE0EEEvS10_
	.globl	_ZN7rocprim17ROCPRIM_400000_NS6detail17trampoline_kernelINS0_14default_configENS1_21merge_config_selectorINS0_5tupleIJffEEENS0_10empty_typeEEEZNS1_10merge_implIS3_NS0_12zip_iteratorINS5_IJN6thrust23THRUST_200600_302600_NS6detail15normal_iteratorINSC_10device_ptrIKfEEEESI_EEEEESK_NSA_INS5_IJNSE_INSF_IfEEEESM_EEEEEPS7_SP_SP_NSC_11hip_rocprim7__merge17predicate_wrapperIffNSC_7greaterIfEEEEEE10hipError_tPvRmT0_T1_T2_T3_T4_T5_mmT6_P12ihipStream_tbEUlT_E0_NS1_11comp_targetILNS1_3genE10ELNS1_11target_archE1200ELNS1_3gpuE4ELNS1_3repE0EEENS1_30default_config_static_selectorELNS0_4arch9wavefront6targetE0EEEvS10_
	.p2align	8
	.type	_ZN7rocprim17ROCPRIM_400000_NS6detail17trampoline_kernelINS0_14default_configENS1_21merge_config_selectorINS0_5tupleIJffEEENS0_10empty_typeEEEZNS1_10merge_implIS3_NS0_12zip_iteratorINS5_IJN6thrust23THRUST_200600_302600_NS6detail15normal_iteratorINSC_10device_ptrIKfEEEESI_EEEEESK_NSA_INS5_IJNSE_INSF_IfEEEESM_EEEEEPS7_SP_SP_NSC_11hip_rocprim7__merge17predicate_wrapperIffNSC_7greaterIfEEEEEE10hipError_tPvRmT0_T1_T2_T3_T4_T5_mmT6_P12ihipStream_tbEUlT_E0_NS1_11comp_targetILNS1_3genE10ELNS1_11target_archE1200ELNS1_3gpuE4ELNS1_3repE0EEENS1_30default_config_static_selectorELNS0_4arch9wavefront6targetE0EEEvS10_,@function
_ZN7rocprim17ROCPRIM_400000_NS6detail17trampoline_kernelINS0_14default_configENS1_21merge_config_selectorINS0_5tupleIJffEEENS0_10empty_typeEEEZNS1_10merge_implIS3_NS0_12zip_iteratorINS5_IJN6thrust23THRUST_200600_302600_NS6detail15normal_iteratorINSC_10device_ptrIKfEEEESI_EEEEESK_NSA_INS5_IJNSE_INSF_IfEEEESM_EEEEEPS7_SP_SP_NSC_11hip_rocprim7__merge17predicate_wrapperIffNSC_7greaterIfEEEEEE10hipError_tPvRmT0_T1_T2_T3_T4_T5_mmT6_P12ihipStream_tbEUlT_E0_NS1_11comp_targetILNS1_3genE10ELNS1_11target_archE1200ELNS1_3gpuE4ELNS1_3repE0EEENS1_30default_config_static_selectorELNS0_4arch9wavefront6targetE0EEEvS10_: ; @_ZN7rocprim17ROCPRIM_400000_NS6detail17trampoline_kernelINS0_14default_configENS1_21merge_config_selectorINS0_5tupleIJffEEENS0_10empty_typeEEEZNS1_10merge_implIS3_NS0_12zip_iteratorINS5_IJN6thrust23THRUST_200600_302600_NS6detail15normal_iteratorINSC_10device_ptrIKfEEEESI_EEEEESK_NSA_INS5_IJNSE_INSF_IfEEEESM_EEEEEPS7_SP_SP_NSC_11hip_rocprim7__merge17predicate_wrapperIffNSC_7greaterIfEEEEEE10hipError_tPvRmT0_T1_T2_T3_T4_T5_mmT6_P12ihipStream_tbEUlT_E0_NS1_11comp_targetILNS1_3genE10ELNS1_11target_archE1200ELNS1_3gpuE4ELNS1_3repE0EEENS1_30default_config_static_selectorELNS0_4arch9wavefront6targetE0EEEvS10_
; %bb.0:
	.section	.rodata,"a",@progbits
	.p2align	6, 0x0
	.amdhsa_kernel _ZN7rocprim17ROCPRIM_400000_NS6detail17trampoline_kernelINS0_14default_configENS1_21merge_config_selectorINS0_5tupleIJffEEENS0_10empty_typeEEEZNS1_10merge_implIS3_NS0_12zip_iteratorINS5_IJN6thrust23THRUST_200600_302600_NS6detail15normal_iteratorINSC_10device_ptrIKfEEEESI_EEEEESK_NSA_INS5_IJNSE_INSF_IfEEEESM_EEEEEPS7_SP_SP_NSC_11hip_rocprim7__merge17predicate_wrapperIffNSC_7greaterIfEEEEEE10hipError_tPvRmT0_T1_T2_T3_T4_T5_mmT6_P12ihipStream_tbEUlT_E0_NS1_11comp_targetILNS1_3genE10ELNS1_11target_archE1200ELNS1_3gpuE4ELNS1_3repE0EEENS1_30default_config_static_selectorELNS0_4arch9wavefront6targetE0EEEvS10_
		.amdhsa_group_segment_fixed_size 0
		.amdhsa_private_segment_fixed_size 0
		.amdhsa_kernarg_size 112
		.amdhsa_user_sgpr_count 6
		.amdhsa_user_sgpr_private_segment_buffer 1
		.amdhsa_user_sgpr_dispatch_ptr 0
		.amdhsa_user_sgpr_queue_ptr 0
		.amdhsa_user_sgpr_kernarg_segment_ptr 1
		.amdhsa_user_sgpr_dispatch_id 0
		.amdhsa_user_sgpr_flat_scratch_init 0
		.amdhsa_user_sgpr_private_segment_size 0
		.amdhsa_wavefront_size32 1
		.amdhsa_uses_dynamic_stack 0
		.amdhsa_system_sgpr_private_segment_wavefront_offset 0
		.amdhsa_system_sgpr_workgroup_id_x 1
		.amdhsa_system_sgpr_workgroup_id_y 0
		.amdhsa_system_sgpr_workgroup_id_z 0
		.amdhsa_system_sgpr_workgroup_info 0
		.amdhsa_system_vgpr_workitem_id 0
		.amdhsa_next_free_vgpr 1
		.amdhsa_next_free_sgpr 1
		.amdhsa_reserve_vcc 0
		.amdhsa_reserve_flat_scratch 0
		.amdhsa_float_round_mode_32 0
		.amdhsa_float_round_mode_16_64 0
		.amdhsa_float_denorm_mode_32 3
		.amdhsa_float_denorm_mode_16_64 3
		.amdhsa_dx10_clamp 1
		.amdhsa_ieee_mode 1
		.amdhsa_fp16_overflow 0
		.amdhsa_workgroup_processor_mode 1
		.amdhsa_memory_ordered 1
		.amdhsa_forward_progress 1
		.amdhsa_shared_vgpr_count 0
		.amdhsa_exception_fp_ieee_invalid_op 0
		.amdhsa_exception_fp_denorm_src 0
		.amdhsa_exception_fp_ieee_div_zero 0
		.amdhsa_exception_fp_ieee_overflow 0
		.amdhsa_exception_fp_ieee_underflow 0
		.amdhsa_exception_fp_ieee_inexact 0
		.amdhsa_exception_int_div_zero 0
	.end_amdhsa_kernel
	.section	.text._ZN7rocprim17ROCPRIM_400000_NS6detail17trampoline_kernelINS0_14default_configENS1_21merge_config_selectorINS0_5tupleIJffEEENS0_10empty_typeEEEZNS1_10merge_implIS3_NS0_12zip_iteratorINS5_IJN6thrust23THRUST_200600_302600_NS6detail15normal_iteratorINSC_10device_ptrIKfEEEESI_EEEEESK_NSA_INS5_IJNSE_INSF_IfEEEESM_EEEEEPS7_SP_SP_NSC_11hip_rocprim7__merge17predicate_wrapperIffNSC_7greaterIfEEEEEE10hipError_tPvRmT0_T1_T2_T3_T4_T5_mmT6_P12ihipStream_tbEUlT_E0_NS1_11comp_targetILNS1_3genE10ELNS1_11target_archE1200ELNS1_3gpuE4ELNS1_3repE0EEENS1_30default_config_static_selectorELNS0_4arch9wavefront6targetE0EEEvS10_,"axG",@progbits,_ZN7rocprim17ROCPRIM_400000_NS6detail17trampoline_kernelINS0_14default_configENS1_21merge_config_selectorINS0_5tupleIJffEEENS0_10empty_typeEEEZNS1_10merge_implIS3_NS0_12zip_iteratorINS5_IJN6thrust23THRUST_200600_302600_NS6detail15normal_iteratorINSC_10device_ptrIKfEEEESI_EEEEESK_NSA_INS5_IJNSE_INSF_IfEEEESM_EEEEEPS7_SP_SP_NSC_11hip_rocprim7__merge17predicate_wrapperIffNSC_7greaterIfEEEEEE10hipError_tPvRmT0_T1_T2_T3_T4_T5_mmT6_P12ihipStream_tbEUlT_E0_NS1_11comp_targetILNS1_3genE10ELNS1_11target_archE1200ELNS1_3gpuE4ELNS1_3repE0EEENS1_30default_config_static_selectorELNS0_4arch9wavefront6targetE0EEEvS10_,comdat
.Lfunc_end350:
	.size	_ZN7rocprim17ROCPRIM_400000_NS6detail17trampoline_kernelINS0_14default_configENS1_21merge_config_selectorINS0_5tupleIJffEEENS0_10empty_typeEEEZNS1_10merge_implIS3_NS0_12zip_iteratorINS5_IJN6thrust23THRUST_200600_302600_NS6detail15normal_iteratorINSC_10device_ptrIKfEEEESI_EEEEESK_NSA_INS5_IJNSE_INSF_IfEEEESM_EEEEEPS7_SP_SP_NSC_11hip_rocprim7__merge17predicate_wrapperIffNSC_7greaterIfEEEEEE10hipError_tPvRmT0_T1_T2_T3_T4_T5_mmT6_P12ihipStream_tbEUlT_E0_NS1_11comp_targetILNS1_3genE10ELNS1_11target_archE1200ELNS1_3gpuE4ELNS1_3repE0EEENS1_30default_config_static_selectorELNS0_4arch9wavefront6targetE0EEEvS10_, .Lfunc_end350-_ZN7rocprim17ROCPRIM_400000_NS6detail17trampoline_kernelINS0_14default_configENS1_21merge_config_selectorINS0_5tupleIJffEEENS0_10empty_typeEEEZNS1_10merge_implIS3_NS0_12zip_iteratorINS5_IJN6thrust23THRUST_200600_302600_NS6detail15normal_iteratorINSC_10device_ptrIKfEEEESI_EEEEESK_NSA_INS5_IJNSE_INSF_IfEEEESM_EEEEEPS7_SP_SP_NSC_11hip_rocprim7__merge17predicate_wrapperIffNSC_7greaterIfEEEEEE10hipError_tPvRmT0_T1_T2_T3_T4_T5_mmT6_P12ihipStream_tbEUlT_E0_NS1_11comp_targetILNS1_3genE10ELNS1_11target_archE1200ELNS1_3gpuE4ELNS1_3repE0EEENS1_30default_config_static_selectorELNS0_4arch9wavefront6targetE0EEEvS10_
                                        ; -- End function
	.set _ZN7rocprim17ROCPRIM_400000_NS6detail17trampoline_kernelINS0_14default_configENS1_21merge_config_selectorINS0_5tupleIJffEEENS0_10empty_typeEEEZNS1_10merge_implIS3_NS0_12zip_iteratorINS5_IJN6thrust23THRUST_200600_302600_NS6detail15normal_iteratorINSC_10device_ptrIKfEEEESI_EEEEESK_NSA_INS5_IJNSE_INSF_IfEEEESM_EEEEEPS7_SP_SP_NSC_11hip_rocprim7__merge17predicate_wrapperIffNSC_7greaterIfEEEEEE10hipError_tPvRmT0_T1_T2_T3_T4_T5_mmT6_P12ihipStream_tbEUlT_E0_NS1_11comp_targetILNS1_3genE10ELNS1_11target_archE1200ELNS1_3gpuE4ELNS1_3repE0EEENS1_30default_config_static_selectorELNS0_4arch9wavefront6targetE0EEEvS10_.num_vgpr, 0
	.set _ZN7rocprim17ROCPRIM_400000_NS6detail17trampoline_kernelINS0_14default_configENS1_21merge_config_selectorINS0_5tupleIJffEEENS0_10empty_typeEEEZNS1_10merge_implIS3_NS0_12zip_iteratorINS5_IJN6thrust23THRUST_200600_302600_NS6detail15normal_iteratorINSC_10device_ptrIKfEEEESI_EEEEESK_NSA_INS5_IJNSE_INSF_IfEEEESM_EEEEEPS7_SP_SP_NSC_11hip_rocprim7__merge17predicate_wrapperIffNSC_7greaterIfEEEEEE10hipError_tPvRmT0_T1_T2_T3_T4_T5_mmT6_P12ihipStream_tbEUlT_E0_NS1_11comp_targetILNS1_3genE10ELNS1_11target_archE1200ELNS1_3gpuE4ELNS1_3repE0EEENS1_30default_config_static_selectorELNS0_4arch9wavefront6targetE0EEEvS10_.num_agpr, 0
	.set _ZN7rocprim17ROCPRIM_400000_NS6detail17trampoline_kernelINS0_14default_configENS1_21merge_config_selectorINS0_5tupleIJffEEENS0_10empty_typeEEEZNS1_10merge_implIS3_NS0_12zip_iteratorINS5_IJN6thrust23THRUST_200600_302600_NS6detail15normal_iteratorINSC_10device_ptrIKfEEEESI_EEEEESK_NSA_INS5_IJNSE_INSF_IfEEEESM_EEEEEPS7_SP_SP_NSC_11hip_rocprim7__merge17predicate_wrapperIffNSC_7greaterIfEEEEEE10hipError_tPvRmT0_T1_T2_T3_T4_T5_mmT6_P12ihipStream_tbEUlT_E0_NS1_11comp_targetILNS1_3genE10ELNS1_11target_archE1200ELNS1_3gpuE4ELNS1_3repE0EEENS1_30default_config_static_selectorELNS0_4arch9wavefront6targetE0EEEvS10_.numbered_sgpr, 0
	.set _ZN7rocprim17ROCPRIM_400000_NS6detail17trampoline_kernelINS0_14default_configENS1_21merge_config_selectorINS0_5tupleIJffEEENS0_10empty_typeEEEZNS1_10merge_implIS3_NS0_12zip_iteratorINS5_IJN6thrust23THRUST_200600_302600_NS6detail15normal_iteratorINSC_10device_ptrIKfEEEESI_EEEEESK_NSA_INS5_IJNSE_INSF_IfEEEESM_EEEEEPS7_SP_SP_NSC_11hip_rocprim7__merge17predicate_wrapperIffNSC_7greaterIfEEEEEE10hipError_tPvRmT0_T1_T2_T3_T4_T5_mmT6_P12ihipStream_tbEUlT_E0_NS1_11comp_targetILNS1_3genE10ELNS1_11target_archE1200ELNS1_3gpuE4ELNS1_3repE0EEENS1_30default_config_static_selectorELNS0_4arch9wavefront6targetE0EEEvS10_.num_named_barrier, 0
	.set _ZN7rocprim17ROCPRIM_400000_NS6detail17trampoline_kernelINS0_14default_configENS1_21merge_config_selectorINS0_5tupleIJffEEENS0_10empty_typeEEEZNS1_10merge_implIS3_NS0_12zip_iteratorINS5_IJN6thrust23THRUST_200600_302600_NS6detail15normal_iteratorINSC_10device_ptrIKfEEEESI_EEEEESK_NSA_INS5_IJNSE_INSF_IfEEEESM_EEEEEPS7_SP_SP_NSC_11hip_rocprim7__merge17predicate_wrapperIffNSC_7greaterIfEEEEEE10hipError_tPvRmT0_T1_T2_T3_T4_T5_mmT6_P12ihipStream_tbEUlT_E0_NS1_11comp_targetILNS1_3genE10ELNS1_11target_archE1200ELNS1_3gpuE4ELNS1_3repE0EEENS1_30default_config_static_selectorELNS0_4arch9wavefront6targetE0EEEvS10_.private_seg_size, 0
	.set _ZN7rocprim17ROCPRIM_400000_NS6detail17trampoline_kernelINS0_14default_configENS1_21merge_config_selectorINS0_5tupleIJffEEENS0_10empty_typeEEEZNS1_10merge_implIS3_NS0_12zip_iteratorINS5_IJN6thrust23THRUST_200600_302600_NS6detail15normal_iteratorINSC_10device_ptrIKfEEEESI_EEEEESK_NSA_INS5_IJNSE_INSF_IfEEEESM_EEEEEPS7_SP_SP_NSC_11hip_rocprim7__merge17predicate_wrapperIffNSC_7greaterIfEEEEEE10hipError_tPvRmT0_T1_T2_T3_T4_T5_mmT6_P12ihipStream_tbEUlT_E0_NS1_11comp_targetILNS1_3genE10ELNS1_11target_archE1200ELNS1_3gpuE4ELNS1_3repE0EEENS1_30default_config_static_selectorELNS0_4arch9wavefront6targetE0EEEvS10_.uses_vcc, 0
	.set _ZN7rocprim17ROCPRIM_400000_NS6detail17trampoline_kernelINS0_14default_configENS1_21merge_config_selectorINS0_5tupleIJffEEENS0_10empty_typeEEEZNS1_10merge_implIS3_NS0_12zip_iteratorINS5_IJN6thrust23THRUST_200600_302600_NS6detail15normal_iteratorINSC_10device_ptrIKfEEEESI_EEEEESK_NSA_INS5_IJNSE_INSF_IfEEEESM_EEEEEPS7_SP_SP_NSC_11hip_rocprim7__merge17predicate_wrapperIffNSC_7greaterIfEEEEEE10hipError_tPvRmT0_T1_T2_T3_T4_T5_mmT6_P12ihipStream_tbEUlT_E0_NS1_11comp_targetILNS1_3genE10ELNS1_11target_archE1200ELNS1_3gpuE4ELNS1_3repE0EEENS1_30default_config_static_selectorELNS0_4arch9wavefront6targetE0EEEvS10_.uses_flat_scratch, 0
	.set _ZN7rocprim17ROCPRIM_400000_NS6detail17trampoline_kernelINS0_14default_configENS1_21merge_config_selectorINS0_5tupleIJffEEENS0_10empty_typeEEEZNS1_10merge_implIS3_NS0_12zip_iteratorINS5_IJN6thrust23THRUST_200600_302600_NS6detail15normal_iteratorINSC_10device_ptrIKfEEEESI_EEEEESK_NSA_INS5_IJNSE_INSF_IfEEEESM_EEEEEPS7_SP_SP_NSC_11hip_rocprim7__merge17predicate_wrapperIffNSC_7greaterIfEEEEEE10hipError_tPvRmT0_T1_T2_T3_T4_T5_mmT6_P12ihipStream_tbEUlT_E0_NS1_11comp_targetILNS1_3genE10ELNS1_11target_archE1200ELNS1_3gpuE4ELNS1_3repE0EEENS1_30default_config_static_selectorELNS0_4arch9wavefront6targetE0EEEvS10_.has_dyn_sized_stack, 0
	.set _ZN7rocprim17ROCPRIM_400000_NS6detail17trampoline_kernelINS0_14default_configENS1_21merge_config_selectorINS0_5tupleIJffEEENS0_10empty_typeEEEZNS1_10merge_implIS3_NS0_12zip_iteratorINS5_IJN6thrust23THRUST_200600_302600_NS6detail15normal_iteratorINSC_10device_ptrIKfEEEESI_EEEEESK_NSA_INS5_IJNSE_INSF_IfEEEESM_EEEEEPS7_SP_SP_NSC_11hip_rocprim7__merge17predicate_wrapperIffNSC_7greaterIfEEEEEE10hipError_tPvRmT0_T1_T2_T3_T4_T5_mmT6_P12ihipStream_tbEUlT_E0_NS1_11comp_targetILNS1_3genE10ELNS1_11target_archE1200ELNS1_3gpuE4ELNS1_3repE0EEENS1_30default_config_static_selectorELNS0_4arch9wavefront6targetE0EEEvS10_.has_recursion, 0
	.set _ZN7rocprim17ROCPRIM_400000_NS6detail17trampoline_kernelINS0_14default_configENS1_21merge_config_selectorINS0_5tupleIJffEEENS0_10empty_typeEEEZNS1_10merge_implIS3_NS0_12zip_iteratorINS5_IJN6thrust23THRUST_200600_302600_NS6detail15normal_iteratorINSC_10device_ptrIKfEEEESI_EEEEESK_NSA_INS5_IJNSE_INSF_IfEEEESM_EEEEEPS7_SP_SP_NSC_11hip_rocprim7__merge17predicate_wrapperIffNSC_7greaterIfEEEEEE10hipError_tPvRmT0_T1_T2_T3_T4_T5_mmT6_P12ihipStream_tbEUlT_E0_NS1_11comp_targetILNS1_3genE10ELNS1_11target_archE1200ELNS1_3gpuE4ELNS1_3repE0EEENS1_30default_config_static_selectorELNS0_4arch9wavefront6targetE0EEEvS10_.has_indirect_call, 0
	.section	.AMDGPU.csdata,"",@progbits
; Kernel info:
; codeLenInByte = 0
; TotalNumSgprs: 0
; NumVgprs: 0
; ScratchSize: 0
; MemoryBound: 0
; FloatMode: 240
; IeeeMode: 1
; LDSByteSize: 0 bytes/workgroup (compile time only)
; SGPRBlocks: 0
; VGPRBlocks: 0
; NumSGPRsForWavesPerEU: 1
; NumVGPRsForWavesPerEU: 1
; Occupancy: 16
; WaveLimiterHint : 0
; COMPUTE_PGM_RSRC2:SCRATCH_EN: 0
; COMPUTE_PGM_RSRC2:USER_SGPR: 6
; COMPUTE_PGM_RSRC2:TRAP_HANDLER: 0
; COMPUTE_PGM_RSRC2:TGID_X_EN: 1
; COMPUTE_PGM_RSRC2:TGID_Y_EN: 0
; COMPUTE_PGM_RSRC2:TGID_Z_EN: 0
; COMPUTE_PGM_RSRC2:TIDIG_COMP_CNT: 0
	.section	.text._ZN7rocprim17ROCPRIM_400000_NS6detail17trampoline_kernelINS0_14default_configENS1_21merge_config_selectorINS0_5tupleIJffEEENS0_10empty_typeEEEZNS1_10merge_implIS3_NS0_12zip_iteratorINS5_IJN6thrust23THRUST_200600_302600_NS6detail15normal_iteratorINSC_10device_ptrIKfEEEESI_EEEEESK_NSA_INS5_IJNSE_INSF_IfEEEESM_EEEEEPS7_SP_SP_NSC_11hip_rocprim7__merge17predicate_wrapperIffNSC_7greaterIfEEEEEE10hipError_tPvRmT0_T1_T2_T3_T4_T5_mmT6_P12ihipStream_tbEUlT_E0_NS1_11comp_targetILNS1_3genE9ELNS1_11target_archE1100ELNS1_3gpuE3ELNS1_3repE0EEENS1_30default_config_static_selectorELNS0_4arch9wavefront6targetE0EEEvS10_,"axG",@progbits,_ZN7rocprim17ROCPRIM_400000_NS6detail17trampoline_kernelINS0_14default_configENS1_21merge_config_selectorINS0_5tupleIJffEEENS0_10empty_typeEEEZNS1_10merge_implIS3_NS0_12zip_iteratorINS5_IJN6thrust23THRUST_200600_302600_NS6detail15normal_iteratorINSC_10device_ptrIKfEEEESI_EEEEESK_NSA_INS5_IJNSE_INSF_IfEEEESM_EEEEEPS7_SP_SP_NSC_11hip_rocprim7__merge17predicate_wrapperIffNSC_7greaterIfEEEEEE10hipError_tPvRmT0_T1_T2_T3_T4_T5_mmT6_P12ihipStream_tbEUlT_E0_NS1_11comp_targetILNS1_3genE9ELNS1_11target_archE1100ELNS1_3gpuE3ELNS1_3repE0EEENS1_30default_config_static_selectorELNS0_4arch9wavefront6targetE0EEEvS10_,comdat
	.protected	_ZN7rocprim17ROCPRIM_400000_NS6detail17trampoline_kernelINS0_14default_configENS1_21merge_config_selectorINS0_5tupleIJffEEENS0_10empty_typeEEEZNS1_10merge_implIS3_NS0_12zip_iteratorINS5_IJN6thrust23THRUST_200600_302600_NS6detail15normal_iteratorINSC_10device_ptrIKfEEEESI_EEEEESK_NSA_INS5_IJNSE_INSF_IfEEEESM_EEEEEPS7_SP_SP_NSC_11hip_rocprim7__merge17predicate_wrapperIffNSC_7greaterIfEEEEEE10hipError_tPvRmT0_T1_T2_T3_T4_T5_mmT6_P12ihipStream_tbEUlT_E0_NS1_11comp_targetILNS1_3genE9ELNS1_11target_archE1100ELNS1_3gpuE3ELNS1_3repE0EEENS1_30default_config_static_selectorELNS0_4arch9wavefront6targetE0EEEvS10_ ; -- Begin function _ZN7rocprim17ROCPRIM_400000_NS6detail17trampoline_kernelINS0_14default_configENS1_21merge_config_selectorINS0_5tupleIJffEEENS0_10empty_typeEEEZNS1_10merge_implIS3_NS0_12zip_iteratorINS5_IJN6thrust23THRUST_200600_302600_NS6detail15normal_iteratorINSC_10device_ptrIKfEEEESI_EEEEESK_NSA_INS5_IJNSE_INSF_IfEEEESM_EEEEEPS7_SP_SP_NSC_11hip_rocprim7__merge17predicate_wrapperIffNSC_7greaterIfEEEEEE10hipError_tPvRmT0_T1_T2_T3_T4_T5_mmT6_P12ihipStream_tbEUlT_E0_NS1_11comp_targetILNS1_3genE9ELNS1_11target_archE1100ELNS1_3gpuE3ELNS1_3repE0EEENS1_30default_config_static_selectorELNS0_4arch9wavefront6targetE0EEEvS10_
	.globl	_ZN7rocprim17ROCPRIM_400000_NS6detail17trampoline_kernelINS0_14default_configENS1_21merge_config_selectorINS0_5tupleIJffEEENS0_10empty_typeEEEZNS1_10merge_implIS3_NS0_12zip_iteratorINS5_IJN6thrust23THRUST_200600_302600_NS6detail15normal_iteratorINSC_10device_ptrIKfEEEESI_EEEEESK_NSA_INS5_IJNSE_INSF_IfEEEESM_EEEEEPS7_SP_SP_NSC_11hip_rocprim7__merge17predicate_wrapperIffNSC_7greaterIfEEEEEE10hipError_tPvRmT0_T1_T2_T3_T4_T5_mmT6_P12ihipStream_tbEUlT_E0_NS1_11comp_targetILNS1_3genE9ELNS1_11target_archE1100ELNS1_3gpuE3ELNS1_3repE0EEENS1_30default_config_static_selectorELNS0_4arch9wavefront6targetE0EEEvS10_
	.p2align	8
	.type	_ZN7rocprim17ROCPRIM_400000_NS6detail17trampoline_kernelINS0_14default_configENS1_21merge_config_selectorINS0_5tupleIJffEEENS0_10empty_typeEEEZNS1_10merge_implIS3_NS0_12zip_iteratorINS5_IJN6thrust23THRUST_200600_302600_NS6detail15normal_iteratorINSC_10device_ptrIKfEEEESI_EEEEESK_NSA_INS5_IJNSE_INSF_IfEEEESM_EEEEEPS7_SP_SP_NSC_11hip_rocprim7__merge17predicate_wrapperIffNSC_7greaterIfEEEEEE10hipError_tPvRmT0_T1_T2_T3_T4_T5_mmT6_P12ihipStream_tbEUlT_E0_NS1_11comp_targetILNS1_3genE9ELNS1_11target_archE1100ELNS1_3gpuE3ELNS1_3repE0EEENS1_30default_config_static_selectorELNS0_4arch9wavefront6targetE0EEEvS10_,@function
_ZN7rocprim17ROCPRIM_400000_NS6detail17trampoline_kernelINS0_14default_configENS1_21merge_config_selectorINS0_5tupleIJffEEENS0_10empty_typeEEEZNS1_10merge_implIS3_NS0_12zip_iteratorINS5_IJN6thrust23THRUST_200600_302600_NS6detail15normal_iteratorINSC_10device_ptrIKfEEEESI_EEEEESK_NSA_INS5_IJNSE_INSF_IfEEEESM_EEEEEPS7_SP_SP_NSC_11hip_rocprim7__merge17predicate_wrapperIffNSC_7greaterIfEEEEEE10hipError_tPvRmT0_T1_T2_T3_T4_T5_mmT6_P12ihipStream_tbEUlT_E0_NS1_11comp_targetILNS1_3genE9ELNS1_11target_archE1100ELNS1_3gpuE3ELNS1_3repE0EEENS1_30default_config_static_selectorELNS0_4arch9wavefront6targetE0EEEvS10_: ; @_ZN7rocprim17ROCPRIM_400000_NS6detail17trampoline_kernelINS0_14default_configENS1_21merge_config_selectorINS0_5tupleIJffEEENS0_10empty_typeEEEZNS1_10merge_implIS3_NS0_12zip_iteratorINS5_IJN6thrust23THRUST_200600_302600_NS6detail15normal_iteratorINSC_10device_ptrIKfEEEESI_EEEEESK_NSA_INS5_IJNSE_INSF_IfEEEESM_EEEEEPS7_SP_SP_NSC_11hip_rocprim7__merge17predicate_wrapperIffNSC_7greaterIfEEEEEE10hipError_tPvRmT0_T1_T2_T3_T4_T5_mmT6_P12ihipStream_tbEUlT_E0_NS1_11comp_targetILNS1_3genE9ELNS1_11target_archE1100ELNS1_3gpuE3ELNS1_3repE0EEENS1_30default_config_static_selectorELNS0_4arch9wavefront6targetE0EEEvS10_
; %bb.0:
	.section	.rodata,"a",@progbits
	.p2align	6, 0x0
	.amdhsa_kernel _ZN7rocprim17ROCPRIM_400000_NS6detail17trampoline_kernelINS0_14default_configENS1_21merge_config_selectorINS0_5tupleIJffEEENS0_10empty_typeEEEZNS1_10merge_implIS3_NS0_12zip_iteratorINS5_IJN6thrust23THRUST_200600_302600_NS6detail15normal_iteratorINSC_10device_ptrIKfEEEESI_EEEEESK_NSA_INS5_IJNSE_INSF_IfEEEESM_EEEEEPS7_SP_SP_NSC_11hip_rocprim7__merge17predicate_wrapperIffNSC_7greaterIfEEEEEE10hipError_tPvRmT0_T1_T2_T3_T4_T5_mmT6_P12ihipStream_tbEUlT_E0_NS1_11comp_targetILNS1_3genE9ELNS1_11target_archE1100ELNS1_3gpuE3ELNS1_3repE0EEENS1_30default_config_static_selectorELNS0_4arch9wavefront6targetE0EEEvS10_
		.amdhsa_group_segment_fixed_size 0
		.amdhsa_private_segment_fixed_size 0
		.amdhsa_kernarg_size 112
		.amdhsa_user_sgpr_count 6
		.amdhsa_user_sgpr_private_segment_buffer 1
		.amdhsa_user_sgpr_dispatch_ptr 0
		.amdhsa_user_sgpr_queue_ptr 0
		.amdhsa_user_sgpr_kernarg_segment_ptr 1
		.amdhsa_user_sgpr_dispatch_id 0
		.amdhsa_user_sgpr_flat_scratch_init 0
		.amdhsa_user_sgpr_private_segment_size 0
		.amdhsa_wavefront_size32 1
		.amdhsa_uses_dynamic_stack 0
		.amdhsa_system_sgpr_private_segment_wavefront_offset 0
		.amdhsa_system_sgpr_workgroup_id_x 1
		.amdhsa_system_sgpr_workgroup_id_y 0
		.amdhsa_system_sgpr_workgroup_id_z 0
		.amdhsa_system_sgpr_workgroup_info 0
		.amdhsa_system_vgpr_workitem_id 0
		.amdhsa_next_free_vgpr 1
		.amdhsa_next_free_sgpr 1
		.amdhsa_reserve_vcc 0
		.amdhsa_reserve_flat_scratch 0
		.amdhsa_float_round_mode_32 0
		.amdhsa_float_round_mode_16_64 0
		.amdhsa_float_denorm_mode_32 3
		.amdhsa_float_denorm_mode_16_64 3
		.amdhsa_dx10_clamp 1
		.amdhsa_ieee_mode 1
		.amdhsa_fp16_overflow 0
		.amdhsa_workgroup_processor_mode 1
		.amdhsa_memory_ordered 1
		.amdhsa_forward_progress 1
		.amdhsa_shared_vgpr_count 0
		.amdhsa_exception_fp_ieee_invalid_op 0
		.amdhsa_exception_fp_denorm_src 0
		.amdhsa_exception_fp_ieee_div_zero 0
		.amdhsa_exception_fp_ieee_overflow 0
		.amdhsa_exception_fp_ieee_underflow 0
		.amdhsa_exception_fp_ieee_inexact 0
		.amdhsa_exception_int_div_zero 0
	.end_amdhsa_kernel
	.section	.text._ZN7rocprim17ROCPRIM_400000_NS6detail17trampoline_kernelINS0_14default_configENS1_21merge_config_selectorINS0_5tupleIJffEEENS0_10empty_typeEEEZNS1_10merge_implIS3_NS0_12zip_iteratorINS5_IJN6thrust23THRUST_200600_302600_NS6detail15normal_iteratorINSC_10device_ptrIKfEEEESI_EEEEESK_NSA_INS5_IJNSE_INSF_IfEEEESM_EEEEEPS7_SP_SP_NSC_11hip_rocprim7__merge17predicate_wrapperIffNSC_7greaterIfEEEEEE10hipError_tPvRmT0_T1_T2_T3_T4_T5_mmT6_P12ihipStream_tbEUlT_E0_NS1_11comp_targetILNS1_3genE9ELNS1_11target_archE1100ELNS1_3gpuE3ELNS1_3repE0EEENS1_30default_config_static_selectorELNS0_4arch9wavefront6targetE0EEEvS10_,"axG",@progbits,_ZN7rocprim17ROCPRIM_400000_NS6detail17trampoline_kernelINS0_14default_configENS1_21merge_config_selectorINS0_5tupleIJffEEENS0_10empty_typeEEEZNS1_10merge_implIS3_NS0_12zip_iteratorINS5_IJN6thrust23THRUST_200600_302600_NS6detail15normal_iteratorINSC_10device_ptrIKfEEEESI_EEEEESK_NSA_INS5_IJNSE_INSF_IfEEEESM_EEEEEPS7_SP_SP_NSC_11hip_rocprim7__merge17predicate_wrapperIffNSC_7greaterIfEEEEEE10hipError_tPvRmT0_T1_T2_T3_T4_T5_mmT6_P12ihipStream_tbEUlT_E0_NS1_11comp_targetILNS1_3genE9ELNS1_11target_archE1100ELNS1_3gpuE3ELNS1_3repE0EEENS1_30default_config_static_selectorELNS0_4arch9wavefront6targetE0EEEvS10_,comdat
.Lfunc_end351:
	.size	_ZN7rocprim17ROCPRIM_400000_NS6detail17trampoline_kernelINS0_14default_configENS1_21merge_config_selectorINS0_5tupleIJffEEENS0_10empty_typeEEEZNS1_10merge_implIS3_NS0_12zip_iteratorINS5_IJN6thrust23THRUST_200600_302600_NS6detail15normal_iteratorINSC_10device_ptrIKfEEEESI_EEEEESK_NSA_INS5_IJNSE_INSF_IfEEEESM_EEEEEPS7_SP_SP_NSC_11hip_rocprim7__merge17predicate_wrapperIffNSC_7greaterIfEEEEEE10hipError_tPvRmT0_T1_T2_T3_T4_T5_mmT6_P12ihipStream_tbEUlT_E0_NS1_11comp_targetILNS1_3genE9ELNS1_11target_archE1100ELNS1_3gpuE3ELNS1_3repE0EEENS1_30default_config_static_selectorELNS0_4arch9wavefront6targetE0EEEvS10_, .Lfunc_end351-_ZN7rocprim17ROCPRIM_400000_NS6detail17trampoline_kernelINS0_14default_configENS1_21merge_config_selectorINS0_5tupleIJffEEENS0_10empty_typeEEEZNS1_10merge_implIS3_NS0_12zip_iteratorINS5_IJN6thrust23THRUST_200600_302600_NS6detail15normal_iteratorINSC_10device_ptrIKfEEEESI_EEEEESK_NSA_INS5_IJNSE_INSF_IfEEEESM_EEEEEPS7_SP_SP_NSC_11hip_rocprim7__merge17predicate_wrapperIffNSC_7greaterIfEEEEEE10hipError_tPvRmT0_T1_T2_T3_T4_T5_mmT6_P12ihipStream_tbEUlT_E0_NS1_11comp_targetILNS1_3genE9ELNS1_11target_archE1100ELNS1_3gpuE3ELNS1_3repE0EEENS1_30default_config_static_selectorELNS0_4arch9wavefront6targetE0EEEvS10_
                                        ; -- End function
	.set _ZN7rocprim17ROCPRIM_400000_NS6detail17trampoline_kernelINS0_14default_configENS1_21merge_config_selectorINS0_5tupleIJffEEENS0_10empty_typeEEEZNS1_10merge_implIS3_NS0_12zip_iteratorINS5_IJN6thrust23THRUST_200600_302600_NS6detail15normal_iteratorINSC_10device_ptrIKfEEEESI_EEEEESK_NSA_INS5_IJNSE_INSF_IfEEEESM_EEEEEPS7_SP_SP_NSC_11hip_rocprim7__merge17predicate_wrapperIffNSC_7greaterIfEEEEEE10hipError_tPvRmT0_T1_T2_T3_T4_T5_mmT6_P12ihipStream_tbEUlT_E0_NS1_11comp_targetILNS1_3genE9ELNS1_11target_archE1100ELNS1_3gpuE3ELNS1_3repE0EEENS1_30default_config_static_selectorELNS0_4arch9wavefront6targetE0EEEvS10_.num_vgpr, 0
	.set _ZN7rocprim17ROCPRIM_400000_NS6detail17trampoline_kernelINS0_14default_configENS1_21merge_config_selectorINS0_5tupleIJffEEENS0_10empty_typeEEEZNS1_10merge_implIS3_NS0_12zip_iteratorINS5_IJN6thrust23THRUST_200600_302600_NS6detail15normal_iteratorINSC_10device_ptrIKfEEEESI_EEEEESK_NSA_INS5_IJNSE_INSF_IfEEEESM_EEEEEPS7_SP_SP_NSC_11hip_rocprim7__merge17predicate_wrapperIffNSC_7greaterIfEEEEEE10hipError_tPvRmT0_T1_T2_T3_T4_T5_mmT6_P12ihipStream_tbEUlT_E0_NS1_11comp_targetILNS1_3genE9ELNS1_11target_archE1100ELNS1_3gpuE3ELNS1_3repE0EEENS1_30default_config_static_selectorELNS0_4arch9wavefront6targetE0EEEvS10_.num_agpr, 0
	.set _ZN7rocprim17ROCPRIM_400000_NS6detail17trampoline_kernelINS0_14default_configENS1_21merge_config_selectorINS0_5tupleIJffEEENS0_10empty_typeEEEZNS1_10merge_implIS3_NS0_12zip_iteratorINS5_IJN6thrust23THRUST_200600_302600_NS6detail15normal_iteratorINSC_10device_ptrIKfEEEESI_EEEEESK_NSA_INS5_IJNSE_INSF_IfEEEESM_EEEEEPS7_SP_SP_NSC_11hip_rocprim7__merge17predicate_wrapperIffNSC_7greaterIfEEEEEE10hipError_tPvRmT0_T1_T2_T3_T4_T5_mmT6_P12ihipStream_tbEUlT_E0_NS1_11comp_targetILNS1_3genE9ELNS1_11target_archE1100ELNS1_3gpuE3ELNS1_3repE0EEENS1_30default_config_static_selectorELNS0_4arch9wavefront6targetE0EEEvS10_.numbered_sgpr, 0
	.set _ZN7rocprim17ROCPRIM_400000_NS6detail17trampoline_kernelINS0_14default_configENS1_21merge_config_selectorINS0_5tupleIJffEEENS0_10empty_typeEEEZNS1_10merge_implIS3_NS0_12zip_iteratorINS5_IJN6thrust23THRUST_200600_302600_NS6detail15normal_iteratorINSC_10device_ptrIKfEEEESI_EEEEESK_NSA_INS5_IJNSE_INSF_IfEEEESM_EEEEEPS7_SP_SP_NSC_11hip_rocprim7__merge17predicate_wrapperIffNSC_7greaterIfEEEEEE10hipError_tPvRmT0_T1_T2_T3_T4_T5_mmT6_P12ihipStream_tbEUlT_E0_NS1_11comp_targetILNS1_3genE9ELNS1_11target_archE1100ELNS1_3gpuE3ELNS1_3repE0EEENS1_30default_config_static_selectorELNS0_4arch9wavefront6targetE0EEEvS10_.num_named_barrier, 0
	.set _ZN7rocprim17ROCPRIM_400000_NS6detail17trampoline_kernelINS0_14default_configENS1_21merge_config_selectorINS0_5tupleIJffEEENS0_10empty_typeEEEZNS1_10merge_implIS3_NS0_12zip_iteratorINS5_IJN6thrust23THRUST_200600_302600_NS6detail15normal_iteratorINSC_10device_ptrIKfEEEESI_EEEEESK_NSA_INS5_IJNSE_INSF_IfEEEESM_EEEEEPS7_SP_SP_NSC_11hip_rocprim7__merge17predicate_wrapperIffNSC_7greaterIfEEEEEE10hipError_tPvRmT0_T1_T2_T3_T4_T5_mmT6_P12ihipStream_tbEUlT_E0_NS1_11comp_targetILNS1_3genE9ELNS1_11target_archE1100ELNS1_3gpuE3ELNS1_3repE0EEENS1_30default_config_static_selectorELNS0_4arch9wavefront6targetE0EEEvS10_.private_seg_size, 0
	.set _ZN7rocprim17ROCPRIM_400000_NS6detail17trampoline_kernelINS0_14default_configENS1_21merge_config_selectorINS0_5tupleIJffEEENS0_10empty_typeEEEZNS1_10merge_implIS3_NS0_12zip_iteratorINS5_IJN6thrust23THRUST_200600_302600_NS6detail15normal_iteratorINSC_10device_ptrIKfEEEESI_EEEEESK_NSA_INS5_IJNSE_INSF_IfEEEESM_EEEEEPS7_SP_SP_NSC_11hip_rocprim7__merge17predicate_wrapperIffNSC_7greaterIfEEEEEE10hipError_tPvRmT0_T1_T2_T3_T4_T5_mmT6_P12ihipStream_tbEUlT_E0_NS1_11comp_targetILNS1_3genE9ELNS1_11target_archE1100ELNS1_3gpuE3ELNS1_3repE0EEENS1_30default_config_static_selectorELNS0_4arch9wavefront6targetE0EEEvS10_.uses_vcc, 0
	.set _ZN7rocprim17ROCPRIM_400000_NS6detail17trampoline_kernelINS0_14default_configENS1_21merge_config_selectorINS0_5tupleIJffEEENS0_10empty_typeEEEZNS1_10merge_implIS3_NS0_12zip_iteratorINS5_IJN6thrust23THRUST_200600_302600_NS6detail15normal_iteratorINSC_10device_ptrIKfEEEESI_EEEEESK_NSA_INS5_IJNSE_INSF_IfEEEESM_EEEEEPS7_SP_SP_NSC_11hip_rocprim7__merge17predicate_wrapperIffNSC_7greaterIfEEEEEE10hipError_tPvRmT0_T1_T2_T3_T4_T5_mmT6_P12ihipStream_tbEUlT_E0_NS1_11comp_targetILNS1_3genE9ELNS1_11target_archE1100ELNS1_3gpuE3ELNS1_3repE0EEENS1_30default_config_static_selectorELNS0_4arch9wavefront6targetE0EEEvS10_.uses_flat_scratch, 0
	.set _ZN7rocprim17ROCPRIM_400000_NS6detail17trampoline_kernelINS0_14default_configENS1_21merge_config_selectorINS0_5tupleIJffEEENS0_10empty_typeEEEZNS1_10merge_implIS3_NS0_12zip_iteratorINS5_IJN6thrust23THRUST_200600_302600_NS6detail15normal_iteratorINSC_10device_ptrIKfEEEESI_EEEEESK_NSA_INS5_IJNSE_INSF_IfEEEESM_EEEEEPS7_SP_SP_NSC_11hip_rocprim7__merge17predicate_wrapperIffNSC_7greaterIfEEEEEE10hipError_tPvRmT0_T1_T2_T3_T4_T5_mmT6_P12ihipStream_tbEUlT_E0_NS1_11comp_targetILNS1_3genE9ELNS1_11target_archE1100ELNS1_3gpuE3ELNS1_3repE0EEENS1_30default_config_static_selectorELNS0_4arch9wavefront6targetE0EEEvS10_.has_dyn_sized_stack, 0
	.set _ZN7rocprim17ROCPRIM_400000_NS6detail17trampoline_kernelINS0_14default_configENS1_21merge_config_selectorINS0_5tupleIJffEEENS0_10empty_typeEEEZNS1_10merge_implIS3_NS0_12zip_iteratorINS5_IJN6thrust23THRUST_200600_302600_NS6detail15normal_iteratorINSC_10device_ptrIKfEEEESI_EEEEESK_NSA_INS5_IJNSE_INSF_IfEEEESM_EEEEEPS7_SP_SP_NSC_11hip_rocprim7__merge17predicate_wrapperIffNSC_7greaterIfEEEEEE10hipError_tPvRmT0_T1_T2_T3_T4_T5_mmT6_P12ihipStream_tbEUlT_E0_NS1_11comp_targetILNS1_3genE9ELNS1_11target_archE1100ELNS1_3gpuE3ELNS1_3repE0EEENS1_30default_config_static_selectorELNS0_4arch9wavefront6targetE0EEEvS10_.has_recursion, 0
	.set _ZN7rocprim17ROCPRIM_400000_NS6detail17trampoline_kernelINS0_14default_configENS1_21merge_config_selectorINS0_5tupleIJffEEENS0_10empty_typeEEEZNS1_10merge_implIS3_NS0_12zip_iteratorINS5_IJN6thrust23THRUST_200600_302600_NS6detail15normal_iteratorINSC_10device_ptrIKfEEEESI_EEEEESK_NSA_INS5_IJNSE_INSF_IfEEEESM_EEEEEPS7_SP_SP_NSC_11hip_rocprim7__merge17predicate_wrapperIffNSC_7greaterIfEEEEEE10hipError_tPvRmT0_T1_T2_T3_T4_T5_mmT6_P12ihipStream_tbEUlT_E0_NS1_11comp_targetILNS1_3genE9ELNS1_11target_archE1100ELNS1_3gpuE3ELNS1_3repE0EEENS1_30default_config_static_selectorELNS0_4arch9wavefront6targetE0EEEvS10_.has_indirect_call, 0
	.section	.AMDGPU.csdata,"",@progbits
; Kernel info:
; codeLenInByte = 0
; TotalNumSgprs: 0
; NumVgprs: 0
; ScratchSize: 0
; MemoryBound: 0
; FloatMode: 240
; IeeeMode: 1
; LDSByteSize: 0 bytes/workgroup (compile time only)
; SGPRBlocks: 0
; VGPRBlocks: 0
; NumSGPRsForWavesPerEU: 1
; NumVGPRsForWavesPerEU: 1
; Occupancy: 16
; WaveLimiterHint : 0
; COMPUTE_PGM_RSRC2:SCRATCH_EN: 0
; COMPUTE_PGM_RSRC2:USER_SGPR: 6
; COMPUTE_PGM_RSRC2:TRAP_HANDLER: 0
; COMPUTE_PGM_RSRC2:TGID_X_EN: 1
; COMPUTE_PGM_RSRC2:TGID_Y_EN: 0
; COMPUTE_PGM_RSRC2:TGID_Z_EN: 0
; COMPUTE_PGM_RSRC2:TIDIG_COMP_CNT: 0
	.section	.text._ZN7rocprim17ROCPRIM_400000_NS6detail17trampoline_kernelINS0_14default_configENS1_21merge_config_selectorINS0_5tupleIJffEEENS0_10empty_typeEEEZNS1_10merge_implIS3_NS0_12zip_iteratorINS5_IJN6thrust23THRUST_200600_302600_NS6detail15normal_iteratorINSC_10device_ptrIKfEEEESI_EEEEESK_NSA_INS5_IJNSE_INSF_IfEEEESM_EEEEEPS7_SP_SP_NSC_11hip_rocprim7__merge17predicate_wrapperIffNSC_7greaterIfEEEEEE10hipError_tPvRmT0_T1_T2_T3_T4_T5_mmT6_P12ihipStream_tbEUlT_E0_NS1_11comp_targetILNS1_3genE8ELNS1_11target_archE1030ELNS1_3gpuE2ELNS1_3repE0EEENS1_30default_config_static_selectorELNS0_4arch9wavefront6targetE0EEEvS10_,"axG",@progbits,_ZN7rocprim17ROCPRIM_400000_NS6detail17trampoline_kernelINS0_14default_configENS1_21merge_config_selectorINS0_5tupleIJffEEENS0_10empty_typeEEEZNS1_10merge_implIS3_NS0_12zip_iteratorINS5_IJN6thrust23THRUST_200600_302600_NS6detail15normal_iteratorINSC_10device_ptrIKfEEEESI_EEEEESK_NSA_INS5_IJNSE_INSF_IfEEEESM_EEEEEPS7_SP_SP_NSC_11hip_rocprim7__merge17predicate_wrapperIffNSC_7greaterIfEEEEEE10hipError_tPvRmT0_T1_T2_T3_T4_T5_mmT6_P12ihipStream_tbEUlT_E0_NS1_11comp_targetILNS1_3genE8ELNS1_11target_archE1030ELNS1_3gpuE2ELNS1_3repE0EEENS1_30default_config_static_selectorELNS0_4arch9wavefront6targetE0EEEvS10_,comdat
	.protected	_ZN7rocprim17ROCPRIM_400000_NS6detail17trampoline_kernelINS0_14default_configENS1_21merge_config_selectorINS0_5tupleIJffEEENS0_10empty_typeEEEZNS1_10merge_implIS3_NS0_12zip_iteratorINS5_IJN6thrust23THRUST_200600_302600_NS6detail15normal_iteratorINSC_10device_ptrIKfEEEESI_EEEEESK_NSA_INS5_IJNSE_INSF_IfEEEESM_EEEEEPS7_SP_SP_NSC_11hip_rocprim7__merge17predicate_wrapperIffNSC_7greaterIfEEEEEE10hipError_tPvRmT0_T1_T2_T3_T4_T5_mmT6_P12ihipStream_tbEUlT_E0_NS1_11comp_targetILNS1_3genE8ELNS1_11target_archE1030ELNS1_3gpuE2ELNS1_3repE0EEENS1_30default_config_static_selectorELNS0_4arch9wavefront6targetE0EEEvS10_ ; -- Begin function _ZN7rocprim17ROCPRIM_400000_NS6detail17trampoline_kernelINS0_14default_configENS1_21merge_config_selectorINS0_5tupleIJffEEENS0_10empty_typeEEEZNS1_10merge_implIS3_NS0_12zip_iteratorINS5_IJN6thrust23THRUST_200600_302600_NS6detail15normal_iteratorINSC_10device_ptrIKfEEEESI_EEEEESK_NSA_INS5_IJNSE_INSF_IfEEEESM_EEEEEPS7_SP_SP_NSC_11hip_rocprim7__merge17predicate_wrapperIffNSC_7greaterIfEEEEEE10hipError_tPvRmT0_T1_T2_T3_T4_T5_mmT6_P12ihipStream_tbEUlT_E0_NS1_11comp_targetILNS1_3genE8ELNS1_11target_archE1030ELNS1_3gpuE2ELNS1_3repE0EEENS1_30default_config_static_selectorELNS0_4arch9wavefront6targetE0EEEvS10_
	.globl	_ZN7rocprim17ROCPRIM_400000_NS6detail17trampoline_kernelINS0_14default_configENS1_21merge_config_selectorINS0_5tupleIJffEEENS0_10empty_typeEEEZNS1_10merge_implIS3_NS0_12zip_iteratorINS5_IJN6thrust23THRUST_200600_302600_NS6detail15normal_iteratorINSC_10device_ptrIKfEEEESI_EEEEESK_NSA_INS5_IJNSE_INSF_IfEEEESM_EEEEEPS7_SP_SP_NSC_11hip_rocprim7__merge17predicate_wrapperIffNSC_7greaterIfEEEEEE10hipError_tPvRmT0_T1_T2_T3_T4_T5_mmT6_P12ihipStream_tbEUlT_E0_NS1_11comp_targetILNS1_3genE8ELNS1_11target_archE1030ELNS1_3gpuE2ELNS1_3repE0EEENS1_30default_config_static_selectorELNS0_4arch9wavefront6targetE0EEEvS10_
	.p2align	8
	.type	_ZN7rocprim17ROCPRIM_400000_NS6detail17trampoline_kernelINS0_14default_configENS1_21merge_config_selectorINS0_5tupleIJffEEENS0_10empty_typeEEEZNS1_10merge_implIS3_NS0_12zip_iteratorINS5_IJN6thrust23THRUST_200600_302600_NS6detail15normal_iteratorINSC_10device_ptrIKfEEEESI_EEEEESK_NSA_INS5_IJNSE_INSF_IfEEEESM_EEEEEPS7_SP_SP_NSC_11hip_rocprim7__merge17predicate_wrapperIffNSC_7greaterIfEEEEEE10hipError_tPvRmT0_T1_T2_T3_T4_T5_mmT6_P12ihipStream_tbEUlT_E0_NS1_11comp_targetILNS1_3genE8ELNS1_11target_archE1030ELNS1_3gpuE2ELNS1_3repE0EEENS1_30default_config_static_selectorELNS0_4arch9wavefront6targetE0EEEvS10_,@function
_ZN7rocprim17ROCPRIM_400000_NS6detail17trampoline_kernelINS0_14default_configENS1_21merge_config_selectorINS0_5tupleIJffEEENS0_10empty_typeEEEZNS1_10merge_implIS3_NS0_12zip_iteratorINS5_IJN6thrust23THRUST_200600_302600_NS6detail15normal_iteratorINSC_10device_ptrIKfEEEESI_EEEEESK_NSA_INS5_IJNSE_INSF_IfEEEESM_EEEEEPS7_SP_SP_NSC_11hip_rocprim7__merge17predicate_wrapperIffNSC_7greaterIfEEEEEE10hipError_tPvRmT0_T1_T2_T3_T4_T5_mmT6_P12ihipStream_tbEUlT_E0_NS1_11comp_targetILNS1_3genE8ELNS1_11target_archE1030ELNS1_3gpuE2ELNS1_3repE0EEENS1_30default_config_static_selectorELNS0_4arch9wavefront6targetE0EEEvS10_: ; @_ZN7rocprim17ROCPRIM_400000_NS6detail17trampoline_kernelINS0_14default_configENS1_21merge_config_selectorINS0_5tupleIJffEEENS0_10empty_typeEEEZNS1_10merge_implIS3_NS0_12zip_iteratorINS5_IJN6thrust23THRUST_200600_302600_NS6detail15normal_iteratorINSC_10device_ptrIKfEEEESI_EEEEESK_NSA_INS5_IJNSE_INSF_IfEEEESM_EEEEEPS7_SP_SP_NSC_11hip_rocprim7__merge17predicate_wrapperIffNSC_7greaterIfEEEEEE10hipError_tPvRmT0_T1_T2_T3_T4_T5_mmT6_P12ihipStream_tbEUlT_E0_NS1_11comp_targetILNS1_3genE8ELNS1_11target_archE1030ELNS1_3gpuE2ELNS1_3repE0EEENS1_30default_config_static_selectorELNS0_4arch9wavefront6targetE0EEEvS10_
; %bb.0:
	s_clause 0x2
	s_load_dwordx4 s[0:3], s[4:5], 0x58
	s_load_dwordx8 s[8:15], s[4:5], 0x8
	s_load_dwordx4 s[16:19], s[4:5], 0x28
	s_lshl_b32 s20, s6, 12
	s_mov_b32 s25, 0
	v_mov_b32_e32 v1, 0
	s_mov_b32 s27, s25
	s_waitcnt lgkmcnt(0)
	s_add_i32 s22, s2, s0
	s_add_i32 s0, s22, 0xfff
	s_lshr_b32 s0, s0, 12
	s_min_u32 s1, s6, s0
	s_lshl_b32 s1, s1, 2
	s_load_dword s24, s[8:9], s1 offset:0x0
	s_add_i32 s1, s6, 1
	s_min_u32 s0, s1, s0
	s_lshl_b32 s0, s0, 2
	s_load_dword s21, s[8:9], s0 offset:0x0
	s_add_i32 s0, s20, 0x1000
	s_min_u32 s23, s22, s0
	s_waitcnt lgkmcnt(0)
	s_lshl_b64 s[2:3], s[24:25], 2
	s_sub_i32 s26, s20, s24
	s_add_u32 s0, s10, s2
	s_addc_u32 s1, s11, s3
	s_add_u32 s2, s12, s2
	s_addc_u32 s3, s13, s3
	s_lshl_b64 s[8:9], s[26:27], 2
	s_mov_b32 s13, exec_lo
	s_add_u32 s6, s14, s8
	s_addc_u32 s7, s15, s9
	s_add_u32 s8, s16, s8
	s_addc_u32 s9, s17, s9
	s_add_i32 s10, s26, s21
	s_sub_i32 s15, s21, s24
	s_sub_i32 s12, s23, s10
	s_add_u32 s10, s12, s15
	s_addc_u32 s11, 0, 0
	v_cmpx_le_u32_e64 s15, v0
	s_xor_b32 s13, exec_lo, s13
	s_cbranch_execz .LBB352_4
; %bb.1:
	s_mov_b32 s14, exec_lo
	v_cmpx_gt_u64_e64 s[10:11], v[0:1]
	s_cbranch_execz .LBB352_3
; %bb.2:
	v_subrev_nc_u32_e32 v1, s15, v0
	v_lshlrev_b32_e32 v3, 3, v0
	v_lshlrev_b32_e32 v2, 2, v1
	s_clause 0x1
	global_load_dword v1, v2, s[6:7]
	global_load_dword v2, v2, s[8:9]
	s_waitcnt vmcnt(0)
	ds_write_b64 v3, v[1:2]
.LBB352_3:
	s_or_b32 exec_lo, exec_lo, s14
.LBB352_4:
	s_or_saveexec_b32 s13, s13
	v_lshlrev_b32_e32 v50, 2, v0
	v_lshlrev_b32_e32 v51, 3, v0
	s_xor_b32 exec_lo, exec_lo, s13
	s_cbranch_execz .LBB352_6
; %bb.5:
	s_clause 0x1
	global_load_dword v1, v50, s[0:1]
	global_load_dword v2, v50, s[2:3]
	s_waitcnt vmcnt(0)
	ds_write_b64 v51, v[1:2]
.LBB352_6:
	s_or_b32 exec_lo, exec_lo, s13
	v_or_b32_e32 v1, 0x100, v0
	v_mov_b32_e32 v2, 0
	s_mov_b32 s13, exec_lo
	v_cmpx_le_u32_e64 s15, v1
	s_xor_b32 s13, exec_lo, s13
	s_cbranch_execz .LBB352_10
; %bb.7:
	s_mov_b32 s14, exec_lo
	v_cmpx_gt_u64_e64 s[10:11], v[1:2]
	s_cbranch_execz .LBB352_9
; %bb.8:
	v_sub_co_u32 v2, s16, v0, s15
	v_sub_co_ci_u32_e64 v3, null, 0, 0, s16
	v_lshlrev_b64 v[2:3], 2, v[2:3]
	v_add_co_u32 v4, vcc_lo, s6, v2
	v_add_co_ci_u32_e64 v5, null, s7, v3, vcc_lo
	v_add_co_u32 v2, vcc_lo, s8, v2
	v_add_co_ci_u32_e64 v3, null, s9, v3, vcc_lo
	global_load_dword v4, v[4:5], off offset:1024
	global_load_dword v5, v[2:3], off offset:1024
	s_waitcnt vmcnt(0)
	ds_write_b64 v51, v[4:5] offset:2048
.LBB352_9:
	s_or_b32 exec_lo, exec_lo, s14
.LBB352_10:
	s_andn2_saveexec_b32 s13, s13
	s_cbranch_execz .LBB352_12
; %bb.11:
	s_clause 0x1
	global_load_dword v2, v50, s[0:1] offset:1024
	global_load_dword v3, v50, s[2:3] offset:1024
	s_waitcnt vmcnt(0)
	ds_write_b64 v51, v[2:3] offset:2048
.LBB352_12:
	s_or_b32 exec_lo, exec_lo, s13
	v_or_b32_e32 v2, 0x200, v0
	v_mov_b32_e32 v3, 0
	s_mov_b32 s13, exec_lo
	v_cmpx_le_u32_e64 s15, v2
	s_xor_b32 s13, exec_lo, s13
	s_cbranch_execz .LBB352_16
; %bb.13:
	s_mov_b32 s14, exec_lo
	v_cmpx_gt_u64_e64 s[10:11], v[2:3]
	s_cbranch_execz .LBB352_15
; %bb.14:
	v_subrev_nc_u32_e32 v3, s15, v2
	v_lshlrev_b32_e32 v4, 2, v3
	s_clause 0x1
	global_load_dword v3, v4, s[6:7]
	global_load_dword v4, v4, s[8:9]
	s_waitcnt vmcnt(0)
	ds_write_b64 v51, v[3:4] offset:4096
.LBB352_15:
	s_or_b32 exec_lo, exec_lo, s14
.LBB352_16:
	s_andn2_saveexec_b32 s13, s13
	s_cbranch_execz .LBB352_18
; %bb.17:
	v_lshlrev_b32_e32 v4, 2, v2
	s_clause 0x1
	global_load_dword v3, v4, s[0:1]
	global_load_dword v4, v4, s[2:3]
	s_waitcnt vmcnt(0)
	ds_write_b64 v51, v[3:4] offset:4096
.LBB352_18:
	s_or_b32 exec_lo, exec_lo, s13
	v_or_b32_e32 v3, 0x300, v0
	v_mov_b32_e32 v4, 0
	s_mov_b32 s13, exec_lo
	v_cmpx_le_u32_e64 s15, v3
	s_xor_b32 s13, exec_lo, s13
	s_cbranch_execz .LBB352_22
; %bb.19:
	s_mov_b32 s14, exec_lo
	v_cmpx_gt_u64_e64 s[10:11], v[3:4]
	s_cbranch_execz .LBB352_21
; %bb.20:
	v_subrev_nc_u32_e32 v4, s15, v3
	v_lshlrev_b32_e32 v5, 2, v4
	s_clause 0x1
	global_load_dword v4, v5, s[6:7]
	global_load_dword v5, v5, s[8:9]
	s_waitcnt vmcnt(0)
	ds_write_b64 v51, v[4:5] offset:6144
.LBB352_21:
	s_or_b32 exec_lo, exec_lo, s14
.LBB352_22:
	s_andn2_saveexec_b32 s13, s13
	s_cbranch_execz .LBB352_24
; %bb.23:
	v_lshlrev_b32_e32 v5, 2, v3
	s_clause 0x1
	global_load_dword v4, v5, s[0:1]
	global_load_dword v5, v5, s[2:3]
	s_waitcnt vmcnt(0)
	ds_write_b64 v51, v[4:5] offset:6144
.LBB352_24:
	;; [unrolled: 32-line block ×13, first 2 shown]
	s_or_b32 exec_lo, exec_lo, s13
	v_or_b32_e32 v15, 0xf00, v0
	v_mov_b32_e32 v16, 0
	s_mov_b32 s13, exec_lo
	v_cmpx_le_u32_e64 s15, v15
	s_xor_b32 s13, exec_lo, s13
	s_cbranch_execz .LBB352_94
; %bb.91:
	v_cmp_gt_u64_e32 vcc_lo, s[10:11], v[15:16]
	s_and_saveexec_b32 s10, vcc_lo
	s_cbranch_execz .LBB352_93
; %bb.92:
	v_subrev_nc_u32_e32 v16, s15, v15
	v_lshlrev_b32_e32 v17, 2, v16
	s_clause 0x1
	global_load_dword v16, v17, s[6:7]
	global_load_dword v17, v17, s[8:9]
	s_waitcnt vmcnt(0)
	ds_write_b64 v51, v[16:17] offset:30720
.LBB352_93:
	s_or_b32 exec_lo, exec_lo, s10
.LBB352_94:
	s_or_saveexec_b32 s6, s13
	s_load_dwordx2 s[16:17], s[4:5], 0x38
	s_xor_b32 exec_lo, exec_lo, s6
	s_cbranch_execz .LBB352_96
; %bb.95:
	v_lshlrev_b32_e32 v17, 2, v15
	s_clause 0x1
	global_load_dword v16, v17, s[0:1]
	global_load_dword v17, v17, s[2:3]
	s_waitcnt vmcnt(0)
	ds_write_b64 v51, v[16:17] offset:30720
.LBB352_96:
	s_or_b32 exec_lo, exec_lo, s6
	v_lshlrev_b32_e32 v48, 4, v0
	s_mov_b32 s0, exec_lo
	s_waitcnt lgkmcnt(0)
	s_barrier
	buffer_gl0_inv
	v_sub_nc_u32_e64 v49, v48, s12 clamp
	v_min_u32_e32 v16, s15, v48
	v_cmpx_lt_u32_e64 v49, v16
	s_cbranch_execz .LBB352_100
; %bb.97:
	v_lshlrev_b32_e32 v17, 3, v48
	s_mov_b32 s1, 0
	v_lshl_add_u32 v17, s15, 3, v17
	.p2align	6
.LBB352_98:                             ; =>This Inner Loop Header: Depth=1
	v_add_nc_u32_e32 v18, v16, v49
	v_lshrrev_b32_e32 v18, 1, v18
	v_not_b32_e32 v19, v18
	v_lshlrev_b32_e32 v20, 3, v18
	v_add_nc_u32_e32 v21, 1, v18
	v_lshl_add_u32 v19, v19, 3, v17
	ds_read_b32 v20, v20
	ds_read_b32 v19, v19
	s_waitcnt lgkmcnt(0)
	v_cmp_gt_f32_e32 vcc_lo, v19, v20
	v_cndmask_b32_e32 v16, v16, v18, vcc_lo
	v_cndmask_b32_e32 v49, v21, v49, vcc_lo
	v_cmp_ge_u32_e32 vcc_lo, v49, v16
	s_or_b32 s1, vcc_lo, s1
	s_andn2_b32 exec_lo, exec_lo, s1
	s_cbranch_execnz .LBB352_98
; %bb.99:
	s_or_b32 exec_lo, exec_lo, s1
.LBB352_100:
	s_or_b32 exec_lo, exec_lo, s0
	v_add_nc_u32_e32 v16, s15, v48
	s_add_i32 s23, s12, s15
	v_cmp_ge_u32_e32 vcc_lo, s15, v49
	v_mov_b32_e32 v34, 0
	v_mov_b32_e32 v35, 0
	v_sub_nc_u32_e32 v52, v16, v49
	v_mov_b32_e32 v32, 0
	v_mov_b32_e32 v33, 0
	;; [unrolled: 1-line block ×4, first 2 shown]
	v_cmp_ge_u32_e64 s0, s23, v52
	v_mov_b32_e32 v22, 0
	v_mov_b32_e32 v23, 0
	;; [unrolled: 1-line block ×26, first 2 shown]
	s_or_b32 s0, vcc_lo, s0
	s_and_saveexec_b32 s21, s0
	s_cbranch_execz .LBB352_106
; %bb.101:
	v_cmp_gt_u32_e32 vcc_lo, s15, v49
	v_mov_b32_e32 v16, 0
	v_mov_b32_e32 v18, 0
	;; [unrolled: 1-line block ×3, first 2 shown]
	s_and_saveexec_b32 s0, vcc_lo
; %bb.102:
	v_lshlrev_b32_e32 v17, 3, v49
	ds_read_b64 v[18:19], v17
; %bb.103:
	s_or_b32 exec_lo, exec_lo, s0
	v_cmp_le_u32_e64 s0, s23, v52
	v_mov_b32_e32 v17, 0
	s_mov_b32 s2, exec_lo
	v_cmpx_gt_u32_e64 s23, v52
; %bb.104:
	v_lshlrev_b32_e32 v16, 3, v52
	ds_read_b64 v[16:17], v16
; %bb.105:
	s_or_b32 exec_lo, exec_lo, s2
	s_waitcnt lgkmcnt(0)
	v_cmp_ngt_f32_e64 s1, v16, v18
	v_mov_b32_e32 v35, s15
	s_and_b32 s1, vcc_lo, s1
	s_or_b32 vcc_lo, s0, s1
	v_cndmask_b32_e32 v20, v52, v49, vcc_lo
	v_cndmask_b32_e32 v21, s23, v35, vcc_lo
	v_add_nc_u32_e32 v22, 1, v20
	v_add_nc_u32_e32 v20, -1, v21
	v_cndmask_b32_e32 v24, v49, v22, vcc_lo
	v_min_u32_e32 v20, v22, v20
	v_cndmask_b32_e32 v25, v22, v52, vcc_lo
	v_cmp_gt_u32_e64 s0, s15, v24
	v_lshlrev_b32_e32 v20, 3, v20
	v_cmp_le_u32_e64 s2, s23, v25
	ds_read_b64 v[20:21], v20
	s_waitcnt lgkmcnt(0)
	v_cndmask_b32_e32 v26, v20, v16, vcc_lo
	v_cndmask_b32_e32 v20, v18, v20, vcc_lo
	v_cmp_ngt_f32_e64 s1, v26, v20
	s_and_b32 s0, s0, s1
	s_or_b32 s0, s2, s0
	v_cndmask_b32_e64 v22, v25, v24, s0
	v_cndmask_b32_e64 v23, s23, v35, s0
	;; [unrolled: 1-line block ×3, first 2 shown]
	v_add_nc_u32_e32 v27, 1, v22
	v_add_nc_u32_e32 v22, -1, v23
	v_cndmask_b32_e64 v28, v24, v27, s0
	v_min_u32_e32 v22, v27, v22
	v_cndmask_b32_e64 v27, v27, v25, s0
	v_cmp_gt_u32_e64 s1, s15, v28
	v_lshlrev_b32_e32 v22, 3, v22
	v_cmp_le_u32_e64 s3, s23, v27
	ds_read_b64 v[22:23], v22
	s_waitcnt lgkmcnt(0)
	v_cndmask_b32_e64 v42, v22, v26, s0
	v_cndmask_b32_e64 v22, v20, v22, s0
	v_cmp_ngt_f32_e64 s2, v42, v22
	s_and_b32 s1, s1, s2
	s_or_b32 s1, s3, s1
	v_cndmask_b32_e64 v24, v27, v28, s1
	v_cndmask_b32_e64 v25, s23, v35, s1
	v_add_nc_u32_e32 v29, 1, v24
	v_add_nc_u32_e32 v24, -1, v25
	v_cndmask_b32_e64 v28, v28, v29, s1
	v_min_u32_e32 v24, v29, v24
	v_cmp_gt_u32_e64 s2, s15, v28
	v_lshlrev_b32_e32 v24, 3, v24
	ds_read_b64 v[24:25], v24
	s_waitcnt lgkmcnt(0)
	v_cndmask_b32_e64 v45, v24, v42, s1
	v_cndmask_b32_e64 v49, v22, v24, s1
	;; [unrolled: 1-line block ×3, first 2 shown]
	v_cmp_ngt_f32_e64 s3, v45, v49
	v_cmp_le_u32_e64 s4, s23, v24
	s_and_b32 s2, s2, s3
	s_or_b32 s2, s4, s2
	v_cndmask_b32_e64 v27, v24, v28, s2
	v_cndmask_b32_e64 v29, s23, v35, s2
	v_cndmask_b32_e64 v26, v45, v49, s2
	v_add_nc_u32_e32 v27, 1, v27
	v_add_nc_u32_e32 v29, -1, v29
	v_cndmask_b32_e64 v28, v28, v27, s2
	v_min_u32_e32 v29, v27, v29
	v_cndmask_b32_e64 v24, v27, v24, s2
	v_cmp_gt_u32_e64 s3, s15, v28
	v_lshlrev_b32_e32 v29, 3, v29
	v_cmp_le_u32_e64 s5, s23, v24
	ds_read_b64 v[31:32], v29
	s_waitcnt lgkmcnt(0)
	v_cndmask_b32_e64 v60, v31, v45, s2
	v_cndmask_b32_e64 v61, v49, v31, s2
	v_cmp_ngt_f32_e64 s4, v60, v61
	s_and_b32 s3, s3, s4
	s_or_b32 s3, s5, s3
	v_cndmask_b32_e64 v27, v24, v28, s3
	v_cndmask_b32_e64 v29, s23, v35, s3
	v_add_nc_u32_e32 v27, 1, v27
	v_add_nc_u32_e32 v29, -1, v29
	v_cndmask_b32_e64 v28, v28, v27, s3
	v_min_u32_e32 v29, v27, v29
	v_cndmask_b32_e64 v24, v27, v24, s3
	v_cmp_gt_u32_e64 s4, s15, v28
	v_lshlrev_b32_e32 v29, 3, v29
	v_cmp_le_u32_e64 s6, s23, v24
	ds_read_b64 v[33:34], v29
	s_waitcnt lgkmcnt(0)
	v_cndmask_b32_e64 v62, v33, v60, s3
	v_cndmask_b32_e64 v33, v61, v33, s3
	v_cmp_ngt_f32_e64 s5, v62, v33
	s_and_b32 s4, s4, s5
	s_or_b32 s4, s6, s4
	v_cndmask_b32_e64 v27, v24, v28, s4
	v_cndmask_b32_e64 v29, s23, v35, s4
	;; [unrolled: 17-line block ×5, first 2 shown]
	v_add_nc_u32_e32 v27, 1, v27
	v_add_nc_u32_e32 v29, -1, v29
	v_cndmask_b32_e64 v28, v28, v27, s7
	v_min_u32_e32 v29, v27, v29
	v_cndmask_b32_e64 v24, v27, v24, s7
	v_cmp_gt_u32_e64 s8, s15, v28
	v_lshlrev_b32_e32 v29, 3, v29
	v_cmp_le_u32_e64 s10, s23, v24
	ds_read_b64 v[43:44], v29
	s_waitcnt lgkmcnt(0)
	v_cndmask_b32_e64 v68, v43, v67, s7
	v_cndmask_b32_e64 v69, v40, v43, s7
	;; [unrolled: 1-line block ×3, first 2 shown]
	v_cmp_ngt_f32_e64 s9, v68, v69
	s_and_b32 s8, s8, s9
	s_or_b32 s8, s10, s8
	v_cndmask_b32_e64 v27, v24, v28, s8
	v_cndmask_b32_e64 v29, s23, v35, s8
	v_add_nc_u32_e32 v27, 1, v27
	v_add_nc_u32_e32 v29, -1, v29
	v_cndmask_b32_e64 v28, v28, v27, s8
	v_min_u32_e32 v29, v27, v29
	v_cndmask_b32_e64 v24, v27, v24, s8
	v_cmp_gt_u32_e64 s9, s15, v28
	v_lshlrev_b32_e32 v29, 3, v29
	v_cmp_le_u32_e64 s11, s23, v24
	ds_read_b64 v[46:47], v29
	s_waitcnt lgkmcnt(0)
	v_cndmask_b32_e64 v70, v46, v68, s8
	v_cndmask_b32_e64 v71, v69, v46, s8
	;; [unrolled: 1-line block ×3, first 2 shown]
	v_cmp_ngt_f32_e64 s10, v70, v71
	s_and_b32 s9, s9, s10
	s_or_b32 s9, s11, s9
	v_cndmask_b32_e64 v27, v24, v28, s9
	v_cndmask_b32_e64 v29, s23, v35, s9
	v_add_nc_u32_e32 v27, 1, v27
	v_add_nc_u32_e32 v29, -1, v29
	v_cndmask_b32_e64 v28, v28, v27, s9
	v_min_u32_e32 v29, v27, v29
	v_cndmask_b32_e64 v24, v27, v24, s9
	v_cmp_gt_u32_e64 s10, s15, v28
	v_lshlrev_b32_e32 v29, 3, v29
	v_cmp_le_u32_e64 s12, s23, v24
	ds_read_b64 v[52:53], v29
	s_waitcnt lgkmcnt(0)
	v_cndmask_b32_e64 v72, v52, v70, s9
	v_cndmask_b32_e64 v52, v71, v52, s9
	v_cmp_ngt_f32_e64 s11, v72, v52
	s_and_b32 s10, s10, s11
	s_or_b32 s10, s12, s10
	v_cndmask_b32_e64 v27, v24, v28, s10
	v_cndmask_b32_e64 v29, s23, v35, s10
	v_add_nc_u32_e32 v27, 1, v27
	v_add_nc_u32_e32 v29, -1, v29
	v_cndmask_b32_e64 v28, v28, v27, s10
	v_min_u32_e32 v29, v27, v29
	v_cndmask_b32_e64 v24, v27, v24, s10
	v_cmp_gt_u32_e64 s11, s15, v28
	v_lshlrev_b32_e32 v29, 3, v29
	v_cmp_le_u32_e64 s13, s23, v24
	ds_read_b64 v[54:55], v29
	s_waitcnt lgkmcnt(0)
	v_cndmask_b32_e64 v73, v54, v72, s10
	v_cndmask_b32_e64 v54, v52, v54, s10
	v_cmp_ngt_f32_e64 s12, v73, v54
	s_and_b32 s11, s11, s12
	s_or_b32 s11, s13, s11
	v_cndmask_b32_e64 v27, v24, v28, s11
	v_cndmask_b32_e64 v29, s23, v35, s11
	v_add_nc_u32_e32 v27, 1, v27
	v_add_nc_u32_e32 v29, -1, v29
	v_cndmask_b32_e64 v36, v28, v27, s11
	v_min_u32_e32 v29, v27, v29
	v_cndmask_b32_e64 v38, v27, v24, s11
	v_cndmask_b32_e32 v28, v16, v18, vcc_lo
	v_cmp_gt_u32_e64 s12, s15, v36
	v_lshlrev_b32_e32 v29, 3, v29
	v_cmp_le_u32_e64 s14, s23, v38
	ds_read_b64 v[56:57], v29
	v_cndmask_b32_e32 v29, v17, v19, vcc_lo
	s_waitcnt lgkmcnt(0)
	v_cndmask_b32_e64 v74, v56, v73, s11
	v_cndmask_b32_e64 v56, v54, v56, s11
	v_cmp_ngt_f32_e64 s13, v74, v56
	s_and_b32 s12, s12, s13
	s_or_b32 s12, s14, s12
	v_cndmask_b32_e64 v24, v38, v36, s12
	v_cndmask_b32_e64 v27, s23, v35, s12
	v_add_nc_u32_e32 v43, 1, v24
	v_add_nc_u32_e32 v24, -1, v27
	v_cndmask_b32_e64 v49, v36, v43, s12
	v_min_u32_e32 v24, v43, v24
	v_cndmask_b32_e64 v76, v43, v38, s12
	v_cndmask_b32_e64 v36, v60, v61, s3
	;; [unrolled: 1-line block ×3, first 2 shown]
	v_lshlrev_b32_e32 v24, 3, v24
	ds_read_b64 v[58:59], v24
	v_cndmask_b32_e32 v24, v21, v17, vcc_lo
	v_cndmask_b32_e32 v21, v19, v21, vcc_lo
	v_cmp_gt_u32_e32 vcc_lo, s15, v49
	v_cndmask_b32_e64 v27, v23, v24, s0
	v_cndmask_b32_e64 v23, v21, v23, s0
	v_cndmask_b32_e64 v31, v24, v21, s0
	v_cndmask_b32_e64 v24, v42, v22, s1
	v_cndmask_b32_e64 v42, v62, v33, s4
	v_cndmask_b32_e64 v16, v25, v27, s1
	v_cndmask_b32_e64 v17, v23, v25, s1
	v_cndmask_b32_e64 v25, v27, v23, s1
	v_cmp_le_u32_e64 s1, s23, v76
	v_cndmask_b32_e64 v27, v16, v17, s2
	v_cndmask_b32_e64 v16, v32, v16, s2
	;; [unrolled: 1-line block ×3, first 2 shown]
	s_waitcnt lgkmcnt(0)
	v_cndmask_b32_e64 v75, v58, v74, s12
	v_cndmask_b32_e64 v58, v56, v58, s12
	;; [unrolled: 1-line block ×4, first 2 shown]
	v_cmp_ngt_f32_e64 s0, v75, v58
	v_cndmask_b32_e64 v20, v37, v18, s4
	v_cndmask_b32_e64 v21, v19, v37, s4
	;; [unrolled: 1-line block ×3, first 2 shown]
	s_and_b32 s0, vcc_lo, s0
	v_cndmask_b32_e64 v43, v18, v19, s4
	s_or_b32 vcc_lo, s1, s0
	v_cndmask_b32_e64 v16, v39, v20, s5
	v_cndmask_b32_e32 v22, v76, v49, vcc_lo
	v_cndmask_b32_e32 v23, s23, v35, vcc_lo
	v_cndmask_b32_e64 v17, v21, v39, s5
	v_cndmask_b32_e64 v39, v20, v21, s5
	v_add_nc_u32_e32 v34, 1, v22
	v_add_nc_u32_e32 v22, -1, v23
	v_cndmask_b32_e64 v23, v41, v16, s6
	v_cndmask_b32_e64 v35, v17, v41, s6
	v_cndmask_b32_e32 v49, v49, v34, vcc_lo
	v_min_u32_e32 v18, v34, v22
	v_cndmask_b32_e64 v19, v44, v23, s7
	v_cndmask_b32_e64 v22, v35, v44, s7
	;; [unrolled: 1-line block ×3, first 2 shown]
	v_cndmask_b32_e32 v34, v34, v76, vcc_lo
	v_lshlrev_b32_e32 v18, 3, v18
	v_cndmask_b32_e64 v20, v47, v19, s8
	v_cndmask_b32_e64 v21, v22, v47, s8
	;; [unrolled: 1-line block ×4, first 2 shown]
	ds_read_b64 v[32:33], v18
	v_cndmask_b32_e64 v18, v53, v20, s9
	v_cndmask_b32_e64 v53, v21, v53, s9
	;; [unrolled: 1-line block ×8, first 2 shown]
	v_cmp_gt_u32_e64 s0, s15, v49
	v_cmp_le_u32_e64 s2, s23, v34
	v_cndmask_b32_e64 v35, v57, v19, s11
	v_cndmask_b32_e64 v52, v23, v57, s11
	;; [unrolled: 1-line block ×9, first 2 shown]
	s_waitcnt lgkmcnt(0)
	v_cndmask_b32_e32 v53, v32, v75, vcc_lo
	v_cndmask_b32_e32 v54, v58, v32, vcc_lo
	;; [unrolled: 1-line block ×6, first 2 shown]
	v_cmp_ngt_f32_e64 s1, v53, v54
	s_and_b32 s0, s0, s1
	s_or_b32 vcc_lo, s2, s0
	v_cndmask_b32_e32 v34, v53, v54, vcc_lo
	v_cndmask_b32_e32 v35, v49, v55, vcc_lo
.LBB352_106:
	s_or_b32 exec_lo, exec_lo, s21
	v_and_b32_e32 v49, 0x3f8, v50
	s_mov_b32 s21, 0
	s_sub_i32 s4, s22, s20
	s_lshl_b64 s[2:3], s[20:21], 2
	v_lshl_add_u32 v48, v48, 3, v49
	s_add_u32 s0, s18, s2
	s_addc_u32 s1, s19, s3
	s_barrier
	buffer_gl0_inv
	ds_write2_b64 v48, v[28:29], v[30:31] offset1:1
	ds_write2_b64 v48, v[24:25], v[26:27] offset0:2 offset1:3
	ds_write2_b64 v48, v[36:37], v[42:43] offset0:4 offset1:5
	;; [unrolled: 1-line block ×4, first 2 shown]
	v_lshrrev_b32_e32 v42, 2, v1
	v_lshrrev_b32_e32 v41, 2, v2
	;; [unrolled: 1-line block ×15, first 2 shown]
	s_add_u32 s2, s16, s2
	s_addc_u32 s3, s17, s3
	s_cmpk_gt_u32 s4, 0xfff
	ds_write2_b64 v48, v[16:17], v[20:21] offset0:10 offset1:11
	ds_write2_b64 v48, v[22:23], v[18:19] offset0:12 offset1:13
	;; [unrolled: 1-line block ×3, first 2 shown]
	s_waitcnt lgkmcnt(0)
	s_cbranch_scc0 .LBB352_108
; %bb.107:
	v_lshrrev_b32_e32 v16, 2, v0
	v_and_b32_e32 v17, 0x78, v42
	v_and_b32_e32 v18, 0xf8, v41
	;; [unrolled: 1-line block ×5, first 2 shown]
	v_add_nc_u32_e32 v17, v17, v51
	v_and_b32_e32 v35, 0x1f8, v38
	v_add_nc_u32_e32 v22, v18, v51
	v_and_b32_e32 v43, 0x1f8, v37
	v_add_nc_u32_e32 v16, v16, v51
	v_add_nc_u32_e32 v32, v19, v51
	v_and_b32_e32 v44, 0x1f8, v36
	s_barrier
	buffer_gl0_inv
	ds_read_b64 v[18:19], v16
	ds_read_b64 v[20:21], v17 offset:2048
	ds_read_b64 v[22:23], v22 offset:4096
	;; [unrolled: 1-line block ×3, first 2 shown]
	v_add_nc_u32_e32 v16, v34, v51
	v_and_b32_e32 v52, 0x3f8, v30
	v_add_nc_u32_e32 v17, v35, v51
	v_and_b32_e32 v49, 0x3f8, v31
	v_and_b32_e32 v53, 0x3f8, v29
	v_add_nc_u32_e32 v45, v43, v51
	v_add_nc_u32_e32 v47, v44, v51
	ds_read_b64 v[34:35], v16 offset:8192
	ds_read_b64 v[43:44], v17 offset:10240
	;; [unrolled: 1-line block ×4, first 2 shown]
	v_add_nc_u32_e32 v17, v52, v51
	v_and_b32_e32 v52, 0x3f8, v28
	v_add_nc_u32_e32 v16, v49, v51
	v_add_nc_u32_e32 v49, v53, v51
	v_and_b32_e32 v53, 0x3f8, v27
	v_and_b32_e32 v54, 0x3f8, v26
	;; [unrolled: 1-line block ×4, first 2 shown]
	v_add_nc_u32_e32 v58, v52, v51
	v_add_nc_u32_e32 v60, v53, v51
	;; [unrolled: 1-line block ×5, first 2 shown]
	ds_read_b64 v[52:53], v16 offset:16384
	ds_read_b64 v[54:55], v17 offset:18432
	;; [unrolled: 1-line block ×8, first 2 shown]
	v_add_co_u32 v49, s5, s0, v50
	v_add_co_ci_u32_e64 v70, null, s1, 0, s5
	v_add_co_u32 v71, s5, s2, v50
	s_waitcnt lgkmcnt(15)
	global_store_dword v50, v18, s[0:1]
	global_store_dword v50, v19, s[2:3]
	s_waitcnt lgkmcnt(14)
	global_store_dword v50, v20, s[0:1] offset:1024
	global_store_dword v50, v21, s[2:3] offset:1024
	v_add_co_u32 v18, vcc_lo, 0x800, v49
	v_add_co_ci_u32_e64 v72, null, s3, 0, s5
	v_add_co_ci_u32_e64 v19, null, 0, v70, vcc_lo
	v_add_co_u32 v20, vcc_lo, v49, 0x1000
	v_add_co_ci_u32_e64 v21, null, 0, v70, vcc_lo
	v_add_co_u32 v66, vcc_lo, v71, 0x1000
	;; [unrolled: 2-line block ×3, first 2 shown]
	v_add_co_ci_u32_e64 v69, null, 0, v72, vcc_lo
	s_waitcnt lgkmcnt(13)
	global_store_dword v[20:21], v22, off offset:-2048
	global_store_dword v[66:67], v23, off offset:-2048
	s_waitcnt lgkmcnt(12)
	global_store_dword v[18:19], v32, off offset:1024
	global_store_dword v[68:69], v33, off offset:1024
	v_add_co_u32 v18, vcc_lo, 0x1000, v49
	v_add_co_ci_u32_e64 v19, null, 0, v70, vcc_lo
	s_waitcnt lgkmcnt(11)
	global_store_dword v[20:21], v34, off
	v_add_co_u32 v20, vcc_lo, 0x1000, v71
	v_add_co_ci_u32_e64 v21, null, 0, v72, vcc_lo
	global_store_dword v[66:67], v35, off
	s_waitcnt lgkmcnt(10)
	global_store_dword v[18:19], v43, off offset:1024
	v_add_co_u32 v18, vcc_lo, 0x1800, v49
	v_add_co_ci_u32_e64 v19, null, 0, v70, vcc_lo
	v_add_co_u32 v22, vcc_lo, v49, 0x2000
	v_add_co_ci_u32_e64 v23, null, 0, v70, vcc_lo
	v_add_co_u32 v32, vcc_lo, v71, 0x2000
	v_add_co_ci_u32_e64 v33, null, 0, v72, vcc_lo
	v_add_co_u32 v34, vcc_lo, 0x1800, v71
	v_add_co_ci_u32_e64 v35, null, 0, v72, vcc_lo
	global_store_dword v[20:21], v44, off offset:1024
	s_waitcnt lgkmcnt(9)
	global_store_dword v[22:23], v45, off offset:-2048
	global_store_dword v[32:33], v46, off offset:-2048
	s_waitcnt lgkmcnt(8)
	global_store_dword v[18:19], v47, off offset:1024
	global_store_dword v[34:35], v48, off offset:1024
	v_add_co_u32 v18, vcc_lo, 0x2000, v49
	v_add_co_ci_u32_e64 v19, null, 0, v70, vcc_lo
	v_add_co_u32 v20, vcc_lo, 0x2000, v71
	s_waitcnt lgkmcnt(7)
	global_store_dword v[22:23], v52, off
	v_add_co_ci_u32_e64 v21, null, 0, v72, vcc_lo
	global_store_dword v[32:33], v53, off
	s_waitcnt lgkmcnt(6)
	global_store_dword v[18:19], v54, off offset:1024
	v_add_co_u32 v18, vcc_lo, 0x2800, v49
	v_add_co_ci_u32_e64 v19, null, 0, v70, vcc_lo
	v_add_co_u32 v22, vcc_lo, v49, 0x3000
	v_add_co_ci_u32_e64 v23, null, 0, v70, vcc_lo
	;; [unrolled: 2-line block ×4, first 2 shown]
	global_store_dword v[20:21], v55, off offset:1024
	s_waitcnt lgkmcnt(5)
	global_store_dword v[22:23], v56, off offset:-2048
	global_store_dword v[32:33], v57, off offset:-2048
	s_waitcnt lgkmcnt(4)
	global_store_dword v[18:19], v58, off offset:1024
	global_store_dword v[34:35], v59, off offset:1024
	v_add_co_u32 v18, vcc_lo, 0x3000, v49
	v_add_co_ci_u32_e64 v19, null, 0, v70, vcc_lo
	v_add_co_u32 v20, vcc_lo, 0x3000, v71
	s_waitcnt lgkmcnt(3)
	global_store_dword v[22:23], v60, off
	v_add_co_ci_u32_e64 v21, null, 0, v72, vcc_lo
	v_add_co_u32 v22, vcc_lo, 0x3800, v49
	global_store_dword v[32:33], v61, off
	v_add_co_ci_u32_e64 v23, null, 0, v70, vcc_lo
	v_add_co_u32 v32, vcc_lo, 0x3800, v71
	v_add_co_ci_u32_e64 v33, null, 0, v72, vcc_lo
	s_waitcnt lgkmcnt(2)
	global_store_dword v[18:19], v62, off offset:1024
	global_store_dword v[20:21], v63, off offset:1024
	s_waitcnt lgkmcnt(1)
	global_store_dword v[22:23], v64, off
	s_mov_b32 s21, -1
	global_store_dword v[32:33], v65, off
	s_cbranch_execz .LBB352_109
	s_branch .LBB352_126
.LBB352_108:
                                        ; implicit-def: $vgpr17
.LBB352_109:
	s_waitcnt lgkmcnt(0)
	v_and_b32_e32 v16, 0x78, v42
	v_and_b32_e32 v17, 0xf8, v41
	;; [unrolled: 1-line block ×5, first 2 shown]
	v_add_nc_u32_e32 v16, v16, v51
	v_add_nc_u32_e32 v17, v17, v51
	v_and_b32_e32 v21, 0x1f8, v37
	v_add_nc_u32_e32 v18, v18, v51
	v_and_b32_e32 v22, 0x1f8, v36
	;; [unrolled: 2-line block ×3, first 2 shown]
	s_barrier
	s_waitcnt_vscnt null, 0x0
	buffer_gl0_inv
	ds_read_b64 v[48:49], v16 offset:2048
	ds_read_b64 v[46:47], v17 offset:4096
	;; [unrolled: 1-line block ×4, first 2 shown]
	v_add_nc_u32_e32 v16, v20, v51
	v_add_nc_u32_e32 v17, v21, v51
	;; [unrolled: 1-line block ×3, first 2 shown]
	v_and_b32_e32 v20, 0x3f8, v30
	v_add_nc_u32_e32 v19, v23, v51
	v_and_b32_e32 v21, 0x3f8, v29
	ds_read_b64 v[40:41], v16 offset:10240
	ds_read_b64 v[38:39], v17 offset:12288
	;; [unrolled: 1-line block ×4, first 2 shown]
	v_and_b32_e32 v18, 0x3f8, v28
	v_and_b32_e32 v19, 0x3f8, v27
	v_add_nc_u32_e32 v16, v20, v51
	v_and_b32_e32 v20, 0x3f8, v26
	v_add_nc_u32_e32 v17, v21, v51
	v_and_b32_e32 v21, 0x3f8, v25
	v_and_b32_e32 v22, 0x3f8, v24
	v_add_nc_u32_e32 v18, v18, v51
	v_add_nc_u32_e32 v19, v19, v51
	;; [unrolled: 1-line block ×5, first 2 shown]
	ds_read_b64 v[34:35], v16 offset:18432
	ds_read_b64 v[30:31], v17 offset:20480
	;; [unrolled: 1-line block ×7, first 2 shown]
	v_add_co_u32 v22, s5, s0, v50
	v_add_co_ci_u32_e64 v23, null, s1, 0, s5
	v_add_co_u32 v20, s5, s2, v50
	v_add_co_ci_u32_e64 v21, null, s3, 0, s5
	s_mov_b32 s5, exec_lo
	v_cmpx_gt_u32_e64 s4, v0
	s_cbranch_execnz .LBB352_129
; %bb.110:
	s_or_b32 exec_lo, exec_lo, s5
	s_mov_b32 s5, exec_lo
	v_cmpx_gt_u32_e64 s4, v1
	s_cbranch_execnz .LBB352_130
.LBB352_111:
	s_or_b32 exec_lo, exec_lo, s5
	s_mov_b32 s5, exec_lo
	v_cmpx_gt_u32_e64 s4, v2
	s_cbranch_execnz .LBB352_131
.LBB352_112:
	s_or_b32 exec_lo, exec_lo, s5
	s_mov_b32 s5, exec_lo
	v_cmpx_gt_u32_e64 s4, v3
	s_cbranch_execnz .LBB352_132
.LBB352_113:
	s_or_b32 exec_lo, exec_lo, s5
	s_mov_b32 s5, exec_lo
	v_cmpx_gt_u32_e64 s4, v4
	s_cbranch_execnz .LBB352_133
.LBB352_114:
	s_or_b32 exec_lo, exec_lo, s5
	s_mov_b32 s5, exec_lo
	v_cmpx_gt_u32_e64 s4, v5
	s_cbranch_execnz .LBB352_134
.LBB352_115:
	s_or_b32 exec_lo, exec_lo, s5
	s_mov_b32 s5, exec_lo
	v_cmpx_gt_u32_e64 s4, v6
	s_cbranch_execnz .LBB352_135
.LBB352_116:
	s_or_b32 exec_lo, exec_lo, s5
	s_mov_b32 s5, exec_lo
	v_cmpx_gt_u32_e64 s4, v7
	s_cbranch_execnz .LBB352_136
.LBB352_117:
	s_or_b32 exec_lo, exec_lo, s5
	s_mov_b32 s5, exec_lo
	v_cmpx_gt_u32_e64 s4, v8
	s_cbranch_execnz .LBB352_137
.LBB352_118:
	s_or_b32 exec_lo, exec_lo, s5
	s_mov_b32 s5, exec_lo
	v_cmpx_gt_u32_e64 s4, v9
	s_cbranch_execnz .LBB352_138
.LBB352_119:
	s_or_b32 exec_lo, exec_lo, s5
	s_mov_b32 s5, exec_lo
	v_cmpx_gt_u32_e64 s4, v10
	s_cbranch_execnz .LBB352_139
.LBB352_120:
	s_or_b32 exec_lo, exec_lo, s5
	s_mov_b32 s5, exec_lo
	v_cmpx_gt_u32_e64 s4, v11
	s_cbranch_execnz .LBB352_140
.LBB352_121:
	s_or_b32 exec_lo, exec_lo, s5
	s_mov_b32 s5, exec_lo
	v_cmpx_gt_u32_e64 s4, v12
	s_cbranch_execnz .LBB352_141
.LBB352_122:
	s_or_b32 exec_lo, exec_lo, s5
	s_mov_b32 s5, exec_lo
	v_cmpx_gt_u32_e64 s4, v13
	s_cbranch_execnz .LBB352_142
.LBB352_123:
	s_or_b32 exec_lo, exec_lo, s5
	s_mov_b32 s5, exec_lo
	v_cmpx_gt_u32_e64 s4, v14
	s_cbranch_execz .LBB352_125
.LBB352_124:
	v_add_co_u32 v0, vcc_lo, 0x3800, v22
	v_add_co_ci_u32_e64 v1, null, 0, v23, vcc_lo
	v_add_co_u32 v2, vcc_lo, 0x3800, v20
	v_add_co_ci_u32_e64 v3, null, 0, v21, vcc_lo
	s_waitcnt lgkmcnt(1)
	global_store_dword v[0:1], v18, off
	global_store_dword v[2:3], v19, off
.LBB352_125:
	s_or_b32 exec_lo, exec_lo, s5
	v_cmp_gt_u32_e64 s21, s4, v15
.LBB352_126:
	s_and_saveexec_b32 s4, s21
	s_cbranch_execnz .LBB352_128
; %bb.127:
	s_endpgm
.LBB352_128:
	v_add_co_u32 v0, s0, s0, v50
	v_add_co_ci_u32_e64 v1, null, s1, 0, s0
	v_add_co_u32 v2, s0, s2, v50
	v_add_co_ci_u32_e64 v3, null, s3, 0, s0
	v_add_co_u32 v0, vcc_lo, 0x3800, v0
	v_add_co_ci_u32_e64 v1, null, 0, v1, vcc_lo
	v_add_co_u32 v2, vcc_lo, 0x3800, v2
	v_add_co_ci_u32_e64 v3, null, 0, v3, vcc_lo
	s_waitcnt lgkmcnt(0)
	global_store_dword v[0:1], v16, off offset:1024
	global_store_dword v[2:3], v17, off offset:1024
	s_endpgm
.LBB352_129:
	v_lshrrev_b32_e32 v51, 2, v0
	v_and_b32_e32 v51, 56, v51
	v_lshl_add_u32 v0, v0, 3, v51
	ds_read_b64 v[51:52], v0
	s_waitcnt lgkmcnt(0)
	global_store_dword v[22:23], v51, off
	global_store_dword v[20:21], v52, off
	s_or_b32 exec_lo, exec_lo, s5
	s_mov_b32 s5, exec_lo
	v_cmpx_gt_u32_e64 s4, v1
	s_cbranch_execz .LBB352_111
.LBB352_130:
	s_waitcnt lgkmcnt(14)
	global_store_dword v[22:23], v48, off offset:1024
	global_store_dword v[20:21], v49, off offset:1024
	s_or_b32 exec_lo, exec_lo, s5
	s_mov_b32 s5, exec_lo
	v_cmpx_gt_u32_e64 s4, v2
	s_cbranch_execz .LBB352_112
.LBB352_131:
	v_add_co_u32 v0, vcc_lo, 0x800, v22
	v_add_co_ci_u32_e64 v1, null, 0, v23, vcc_lo
	s_waitcnt lgkmcnt(14)
	v_add_co_u32 v48, vcc_lo, 0x800, v20
	v_add_co_ci_u32_e64 v49, null, 0, v21, vcc_lo
	s_waitcnt lgkmcnt(13)
	global_store_dword v[0:1], v46, off
	global_store_dword v[48:49], v47, off
	s_or_b32 exec_lo, exec_lo, s5
	s_mov_b32 s5, exec_lo
	v_cmpx_gt_u32_e64 s4, v3
	s_cbranch_execz .LBB352_113
.LBB352_132:
	v_add_co_u32 v0, vcc_lo, 0x800, v22
	v_add_co_ci_u32_e64 v1, null, 0, v23, vcc_lo
	v_add_co_u32 v2, vcc_lo, 0x800, v20
	v_add_co_ci_u32_e64 v3, null, 0, v21, vcc_lo
	s_waitcnt lgkmcnt(12)
	global_store_dword v[0:1], v44, off offset:1024
	global_store_dword v[2:3], v45, off offset:1024
	s_or_b32 exec_lo, exec_lo, s5
	s_mov_b32 s5, exec_lo
	v_cmpx_gt_u32_e64 s4, v4
	s_cbranch_execz .LBB352_114
.LBB352_133:
	v_add_co_u32 v0, vcc_lo, 0x1000, v22
	v_add_co_ci_u32_e64 v1, null, 0, v23, vcc_lo
	v_add_co_u32 v2, vcc_lo, 0x1000, v20
	v_add_co_ci_u32_e64 v3, null, 0, v21, vcc_lo
	s_waitcnt lgkmcnt(11)
	global_store_dword v[0:1], v42, off
	global_store_dword v[2:3], v43, off
	s_or_b32 exec_lo, exec_lo, s5
	s_mov_b32 s5, exec_lo
	v_cmpx_gt_u32_e64 s4, v5
	s_cbranch_execz .LBB352_115
.LBB352_134:
	v_add_co_u32 v0, vcc_lo, 0x1000, v22
	v_add_co_ci_u32_e64 v1, null, 0, v23, vcc_lo
	v_add_co_u32 v2, vcc_lo, 0x1000, v20
	v_add_co_ci_u32_e64 v3, null, 0, v21, vcc_lo
	s_waitcnt lgkmcnt(10)
	global_store_dword v[0:1], v40, off offset:1024
	global_store_dword v[2:3], v41, off offset:1024
	s_or_b32 exec_lo, exec_lo, s5
	s_mov_b32 s5, exec_lo
	v_cmpx_gt_u32_e64 s4, v6
	s_cbranch_execz .LBB352_116
.LBB352_135:
	v_add_co_u32 v0, vcc_lo, 0x1800, v22
	v_add_co_ci_u32_e64 v1, null, 0, v23, vcc_lo
	v_add_co_u32 v2, vcc_lo, 0x1800, v20
	v_add_co_ci_u32_e64 v3, null, 0, v21, vcc_lo
	s_waitcnt lgkmcnt(9)
	global_store_dword v[0:1], v38, off
	global_store_dword v[2:3], v39, off
	s_or_b32 exec_lo, exec_lo, s5
	s_mov_b32 s5, exec_lo
	v_cmpx_gt_u32_e64 s4, v7
	s_cbranch_execz .LBB352_117
.LBB352_136:
	v_add_co_u32 v0, vcc_lo, 0x1800, v22
	v_add_co_ci_u32_e64 v1, null, 0, v23, vcc_lo
	v_add_co_u32 v2, vcc_lo, 0x1800, v20
	v_add_co_ci_u32_e64 v3, null, 0, v21, vcc_lo
	s_waitcnt lgkmcnt(8)
	global_store_dword v[0:1], v36, off offset:1024
	global_store_dword v[2:3], v37, off offset:1024
	s_or_b32 exec_lo, exec_lo, s5
	s_mov_b32 s5, exec_lo
	v_cmpx_gt_u32_e64 s4, v8
	s_cbranch_execz .LBB352_118
.LBB352_137:
	v_add_co_u32 v0, vcc_lo, 0x2000, v22
	v_add_co_ci_u32_e64 v1, null, 0, v23, vcc_lo
	v_add_co_u32 v2, vcc_lo, 0x2000, v20
	v_add_co_ci_u32_e64 v3, null, 0, v21, vcc_lo
	s_waitcnt lgkmcnt(7)
	global_store_dword v[0:1], v32, off
	global_store_dword v[2:3], v33, off
	s_or_b32 exec_lo, exec_lo, s5
	s_mov_b32 s5, exec_lo
	v_cmpx_gt_u32_e64 s4, v9
	s_cbranch_execz .LBB352_119
.LBB352_138:
	v_add_co_u32 v0, vcc_lo, 0x2000, v22
	v_add_co_ci_u32_e64 v1, null, 0, v23, vcc_lo
	v_add_co_u32 v2, vcc_lo, 0x2000, v20
	v_add_co_ci_u32_e64 v3, null, 0, v21, vcc_lo
	s_waitcnt lgkmcnt(6)
	global_store_dword v[0:1], v34, off offset:1024
	global_store_dword v[2:3], v35, off offset:1024
	s_or_b32 exec_lo, exec_lo, s5
	s_mov_b32 s5, exec_lo
	v_cmpx_gt_u32_e64 s4, v10
	s_cbranch_execz .LBB352_120
.LBB352_139:
	v_add_co_u32 v0, vcc_lo, 0x2800, v22
	v_add_co_ci_u32_e64 v1, null, 0, v23, vcc_lo
	v_add_co_u32 v2, vcc_lo, 0x2800, v20
	v_add_co_ci_u32_e64 v3, null, 0, v21, vcc_lo
	s_waitcnt lgkmcnt(5)
	global_store_dword v[0:1], v30, off
	global_store_dword v[2:3], v31, off
	s_or_b32 exec_lo, exec_lo, s5
	s_mov_b32 s5, exec_lo
	v_cmpx_gt_u32_e64 s4, v11
	s_cbranch_execz .LBB352_121
.LBB352_140:
	v_add_co_u32 v0, vcc_lo, 0x2800, v22
	v_add_co_ci_u32_e64 v1, null, 0, v23, vcc_lo
	v_add_co_u32 v2, vcc_lo, 0x2800, v20
	v_add_co_ci_u32_e64 v3, null, 0, v21, vcc_lo
	s_waitcnt lgkmcnt(4)
	global_store_dword v[0:1], v28, off offset:1024
	global_store_dword v[2:3], v29, off offset:1024
	s_or_b32 exec_lo, exec_lo, s5
	s_mov_b32 s5, exec_lo
	v_cmpx_gt_u32_e64 s4, v12
	s_cbranch_execz .LBB352_122
.LBB352_141:
	v_add_co_u32 v0, vcc_lo, 0x3000, v22
	v_add_co_ci_u32_e64 v1, null, 0, v23, vcc_lo
	v_add_co_u32 v2, vcc_lo, 0x3000, v20
	v_add_co_ci_u32_e64 v3, null, 0, v21, vcc_lo
	s_waitcnt lgkmcnt(3)
	global_store_dword v[0:1], v26, off
	global_store_dword v[2:3], v27, off
	s_or_b32 exec_lo, exec_lo, s5
	s_mov_b32 s5, exec_lo
	v_cmpx_gt_u32_e64 s4, v13
	s_cbranch_execz .LBB352_123
.LBB352_142:
	v_add_co_u32 v0, vcc_lo, 0x3000, v22
	v_add_co_ci_u32_e64 v1, null, 0, v23, vcc_lo
	v_add_co_u32 v2, vcc_lo, 0x3000, v20
	v_add_co_ci_u32_e64 v3, null, 0, v21, vcc_lo
	s_waitcnt lgkmcnt(2)
	global_store_dword v[0:1], v24, off offset:1024
	global_store_dword v[2:3], v25, off offset:1024
	s_or_b32 exec_lo, exec_lo, s5
	s_mov_b32 s5, exec_lo
	v_cmpx_gt_u32_e64 s4, v14
	s_cbranch_execnz .LBB352_124
	s_branch .LBB352_125
	.section	.rodata,"a",@progbits
	.p2align	6, 0x0
	.amdhsa_kernel _ZN7rocprim17ROCPRIM_400000_NS6detail17trampoline_kernelINS0_14default_configENS1_21merge_config_selectorINS0_5tupleIJffEEENS0_10empty_typeEEEZNS1_10merge_implIS3_NS0_12zip_iteratorINS5_IJN6thrust23THRUST_200600_302600_NS6detail15normal_iteratorINSC_10device_ptrIKfEEEESI_EEEEESK_NSA_INS5_IJNSE_INSF_IfEEEESM_EEEEEPS7_SP_SP_NSC_11hip_rocprim7__merge17predicate_wrapperIffNSC_7greaterIfEEEEEE10hipError_tPvRmT0_T1_T2_T3_T4_T5_mmT6_P12ihipStream_tbEUlT_E0_NS1_11comp_targetILNS1_3genE8ELNS1_11target_archE1030ELNS1_3gpuE2ELNS1_3repE0EEENS1_30default_config_static_selectorELNS0_4arch9wavefront6targetE0EEEvS10_
		.amdhsa_group_segment_fixed_size 33792
		.amdhsa_private_segment_fixed_size 0
		.amdhsa_kernarg_size 112
		.amdhsa_user_sgpr_count 6
		.amdhsa_user_sgpr_private_segment_buffer 1
		.amdhsa_user_sgpr_dispatch_ptr 0
		.amdhsa_user_sgpr_queue_ptr 0
		.amdhsa_user_sgpr_kernarg_segment_ptr 1
		.amdhsa_user_sgpr_dispatch_id 0
		.amdhsa_user_sgpr_flat_scratch_init 0
		.amdhsa_user_sgpr_private_segment_size 0
		.amdhsa_wavefront_size32 1
		.amdhsa_uses_dynamic_stack 0
		.amdhsa_system_sgpr_private_segment_wavefront_offset 0
		.amdhsa_system_sgpr_workgroup_id_x 1
		.amdhsa_system_sgpr_workgroup_id_y 0
		.amdhsa_system_sgpr_workgroup_id_z 0
		.amdhsa_system_sgpr_workgroup_info 0
		.amdhsa_system_vgpr_workitem_id 0
		.amdhsa_next_free_vgpr 145
		.amdhsa_next_free_sgpr 28
		.amdhsa_reserve_vcc 1
		.amdhsa_reserve_flat_scratch 0
		.amdhsa_float_round_mode_32 0
		.amdhsa_float_round_mode_16_64 0
		.amdhsa_float_denorm_mode_32 3
		.amdhsa_float_denorm_mode_16_64 3
		.amdhsa_dx10_clamp 1
		.amdhsa_ieee_mode 1
		.amdhsa_fp16_overflow 0
		.amdhsa_workgroup_processor_mode 1
		.amdhsa_memory_ordered 1
		.amdhsa_forward_progress 1
		.amdhsa_shared_vgpr_count 0
		.amdhsa_exception_fp_ieee_invalid_op 0
		.amdhsa_exception_fp_denorm_src 0
		.amdhsa_exception_fp_ieee_div_zero 0
		.amdhsa_exception_fp_ieee_overflow 0
		.amdhsa_exception_fp_ieee_underflow 0
		.amdhsa_exception_fp_ieee_inexact 0
		.amdhsa_exception_int_div_zero 0
	.end_amdhsa_kernel
	.section	.text._ZN7rocprim17ROCPRIM_400000_NS6detail17trampoline_kernelINS0_14default_configENS1_21merge_config_selectorINS0_5tupleIJffEEENS0_10empty_typeEEEZNS1_10merge_implIS3_NS0_12zip_iteratorINS5_IJN6thrust23THRUST_200600_302600_NS6detail15normal_iteratorINSC_10device_ptrIKfEEEESI_EEEEESK_NSA_INS5_IJNSE_INSF_IfEEEESM_EEEEEPS7_SP_SP_NSC_11hip_rocprim7__merge17predicate_wrapperIffNSC_7greaterIfEEEEEE10hipError_tPvRmT0_T1_T2_T3_T4_T5_mmT6_P12ihipStream_tbEUlT_E0_NS1_11comp_targetILNS1_3genE8ELNS1_11target_archE1030ELNS1_3gpuE2ELNS1_3repE0EEENS1_30default_config_static_selectorELNS0_4arch9wavefront6targetE0EEEvS10_,"axG",@progbits,_ZN7rocprim17ROCPRIM_400000_NS6detail17trampoline_kernelINS0_14default_configENS1_21merge_config_selectorINS0_5tupleIJffEEENS0_10empty_typeEEEZNS1_10merge_implIS3_NS0_12zip_iteratorINS5_IJN6thrust23THRUST_200600_302600_NS6detail15normal_iteratorINSC_10device_ptrIKfEEEESI_EEEEESK_NSA_INS5_IJNSE_INSF_IfEEEESM_EEEEEPS7_SP_SP_NSC_11hip_rocprim7__merge17predicate_wrapperIffNSC_7greaterIfEEEEEE10hipError_tPvRmT0_T1_T2_T3_T4_T5_mmT6_P12ihipStream_tbEUlT_E0_NS1_11comp_targetILNS1_3genE8ELNS1_11target_archE1030ELNS1_3gpuE2ELNS1_3repE0EEENS1_30default_config_static_selectorELNS0_4arch9wavefront6targetE0EEEvS10_,comdat
.Lfunc_end352:
	.size	_ZN7rocprim17ROCPRIM_400000_NS6detail17trampoline_kernelINS0_14default_configENS1_21merge_config_selectorINS0_5tupleIJffEEENS0_10empty_typeEEEZNS1_10merge_implIS3_NS0_12zip_iteratorINS5_IJN6thrust23THRUST_200600_302600_NS6detail15normal_iteratorINSC_10device_ptrIKfEEEESI_EEEEESK_NSA_INS5_IJNSE_INSF_IfEEEESM_EEEEEPS7_SP_SP_NSC_11hip_rocprim7__merge17predicate_wrapperIffNSC_7greaterIfEEEEEE10hipError_tPvRmT0_T1_T2_T3_T4_T5_mmT6_P12ihipStream_tbEUlT_E0_NS1_11comp_targetILNS1_3genE8ELNS1_11target_archE1030ELNS1_3gpuE2ELNS1_3repE0EEENS1_30default_config_static_selectorELNS0_4arch9wavefront6targetE0EEEvS10_, .Lfunc_end352-_ZN7rocprim17ROCPRIM_400000_NS6detail17trampoline_kernelINS0_14default_configENS1_21merge_config_selectorINS0_5tupleIJffEEENS0_10empty_typeEEEZNS1_10merge_implIS3_NS0_12zip_iteratorINS5_IJN6thrust23THRUST_200600_302600_NS6detail15normal_iteratorINSC_10device_ptrIKfEEEESI_EEEEESK_NSA_INS5_IJNSE_INSF_IfEEEESM_EEEEEPS7_SP_SP_NSC_11hip_rocprim7__merge17predicate_wrapperIffNSC_7greaterIfEEEEEE10hipError_tPvRmT0_T1_T2_T3_T4_T5_mmT6_P12ihipStream_tbEUlT_E0_NS1_11comp_targetILNS1_3genE8ELNS1_11target_archE1030ELNS1_3gpuE2ELNS1_3repE0EEENS1_30default_config_static_selectorELNS0_4arch9wavefront6targetE0EEEvS10_
                                        ; -- End function
	.set _ZN7rocprim17ROCPRIM_400000_NS6detail17trampoline_kernelINS0_14default_configENS1_21merge_config_selectorINS0_5tupleIJffEEENS0_10empty_typeEEEZNS1_10merge_implIS3_NS0_12zip_iteratorINS5_IJN6thrust23THRUST_200600_302600_NS6detail15normal_iteratorINSC_10device_ptrIKfEEEESI_EEEEESK_NSA_INS5_IJNSE_INSF_IfEEEESM_EEEEEPS7_SP_SP_NSC_11hip_rocprim7__merge17predicate_wrapperIffNSC_7greaterIfEEEEEE10hipError_tPvRmT0_T1_T2_T3_T4_T5_mmT6_P12ihipStream_tbEUlT_E0_NS1_11comp_targetILNS1_3genE8ELNS1_11target_archE1030ELNS1_3gpuE2ELNS1_3repE0EEENS1_30default_config_static_selectorELNS0_4arch9wavefront6targetE0EEEvS10_.num_vgpr, 77
	.set _ZN7rocprim17ROCPRIM_400000_NS6detail17trampoline_kernelINS0_14default_configENS1_21merge_config_selectorINS0_5tupleIJffEEENS0_10empty_typeEEEZNS1_10merge_implIS3_NS0_12zip_iteratorINS5_IJN6thrust23THRUST_200600_302600_NS6detail15normal_iteratorINSC_10device_ptrIKfEEEESI_EEEEESK_NSA_INS5_IJNSE_INSF_IfEEEESM_EEEEEPS7_SP_SP_NSC_11hip_rocprim7__merge17predicate_wrapperIffNSC_7greaterIfEEEEEE10hipError_tPvRmT0_T1_T2_T3_T4_T5_mmT6_P12ihipStream_tbEUlT_E0_NS1_11comp_targetILNS1_3genE8ELNS1_11target_archE1030ELNS1_3gpuE2ELNS1_3repE0EEENS1_30default_config_static_selectorELNS0_4arch9wavefront6targetE0EEEvS10_.num_agpr, 0
	.set _ZN7rocprim17ROCPRIM_400000_NS6detail17trampoline_kernelINS0_14default_configENS1_21merge_config_selectorINS0_5tupleIJffEEENS0_10empty_typeEEEZNS1_10merge_implIS3_NS0_12zip_iteratorINS5_IJN6thrust23THRUST_200600_302600_NS6detail15normal_iteratorINSC_10device_ptrIKfEEEESI_EEEEESK_NSA_INS5_IJNSE_INSF_IfEEEESM_EEEEEPS7_SP_SP_NSC_11hip_rocprim7__merge17predicate_wrapperIffNSC_7greaterIfEEEEEE10hipError_tPvRmT0_T1_T2_T3_T4_T5_mmT6_P12ihipStream_tbEUlT_E0_NS1_11comp_targetILNS1_3genE8ELNS1_11target_archE1030ELNS1_3gpuE2ELNS1_3repE0EEENS1_30default_config_static_selectorELNS0_4arch9wavefront6targetE0EEEvS10_.numbered_sgpr, 28
	.set _ZN7rocprim17ROCPRIM_400000_NS6detail17trampoline_kernelINS0_14default_configENS1_21merge_config_selectorINS0_5tupleIJffEEENS0_10empty_typeEEEZNS1_10merge_implIS3_NS0_12zip_iteratorINS5_IJN6thrust23THRUST_200600_302600_NS6detail15normal_iteratorINSC_10device_ptrIKfEEEESI_EEEEESK_NSA_INS5_IJNSE_INSF_IfEEEESM_EEEEEPS7_SP_SP_NSC_11hip_rocprim7__merge17predicate_wrapperIffNSC_7greaterIfEEEEEE10hipError_tPvRmT0_T1_T2_T3_T4_T5_mmT6_P12ihipStream_tbEUlT_E0_NS1_11comp_targetILNS1_3genE8ELNS1_11target_archE1030ELNS1_3gpuE2ELNS1_3repE0EEENS1_30default_config_static_selectorELNS0_4arch9wavefront6targetE0EEEvS10_.num_named_barrier, 0
	.set _ZN7rocprim17ROCPRIM_400000_NS6detail17trampoline_kernelINS0_14default_configENS1_21merge_config_selectorINS0_5tupleIJffEEENS0_10empty_typeEEEZNS1_10merge_implIS3_NS0_12zip_iteratorINS5_IJN6thrust23THRUST_200600_302600_NS6detail15normal_iteratorINSC_10device_ptrIKfEEEESI_EEEEESK_NSA_INS5_IJNSE_INSF_IfEEEESM_EEEEEPS7_SP_SP_NSC_11hip_rocprim7__merge17predicate_wrapperIffNSC_7greaterIfEEEEEE10hipError_tPvRmT0_T1_T2_T3_T4_T5_mmT6_P12ihipStream_tbEUlT_E0_NS1_11comp_targetILNS1_3genE8ELNS1_11target_archE1030ELNS1_3gpuE2ELNS1_3repE0EEENS1_30default_config_static_selectorELNS0_4arch9wavefront6targetE0EEEvS10_.private_seg_size, 0
	.set _ZN7rocprim17ROCPRIM_400000_NS6detail17trampoline_kernelINS0_14default_configENS1_21merge_config_selectorINS0_5tupleIJffEEENS0_10empty_typeEEEZNS1_10merge_implIS3_NS0_12zip_iteratorINS5_IJN6thrust23THRUST_200600_302600_NS6detail15normal_iteratorINSC_10device_ptrIKfEEEESI_EEEEESK_NSA_INS5_IJNSE_INSF_IfEEEESM_EEEEEPS7_SP_SP_NSC_11hip_rocprim7__merge17predicate_wrapperIffNSC_7greaterIfEEEEEE10hipError_tPvRmT0_T1_T2_T3_T4_T5_mmT6_P12ihipStream_tbEUlT_E0_NS1_11comp_targetILNS1_3genE8ELNS1_11target_archE1030ELNS1_3gpuE2ELNS1_3repE0EEENS1_30default_config_static_selectorELNS0_4arch9wavefront6targetE0EEEvS10_.uses_vcc, 1
	.set _ZN7rocprim17ROCPRIM_400000_NS6detail17trampoline_kernelINS0_14default_configENS1_21merge_config_selectorINS0_5tupleIJffEEENS0_10empty_typeEEEZNS1_10merge_implIS3_NS0_12zip_iteratorINS5_IJN6thrust23THRUST_200600_302600_NS6detail15normal_iteratorINSC_10device_ptrIKfEEEESI_EEEEESK_NSA_INS5_IJNSE_INSF_IfEEEESM_EEEEEPS7_SP_SP_NSC_11hip_rocprim7__merge17predicate_wrapperIffNSC_7greaterIfEEEEEE10hipError_tPvRmT0_T1_T2_T3_T4_T5_mmT6_P12ihipStream_tbEUlT_E0_NS1_11comp_targetILNS1_3genE8ELNS1_11target_archE1030ELNS1_3gpuE2ELNS1_3repE0EEENS1_30default_config_static_selectorELNS0_4arch9wavefront6targetE0EEEvS10_.uses_flat_scratch, 0
	.set _ZN7rocprim17ROCPRIM_400000_NS6detail17trampoline_kernelINS0_14default_configENS1_21merge_config_selectorINS0_5tupleIJffEEENS0_10empty_typeEEEZNS1_10merge_implIS3_NS0_12zip_iteratorINS5_IJN6thrust23THRUST_200600_302600_NS6detail15normal_iteratorINSC_10device_ptrIKfEEEESI_EEEEESK_NSA_INS5_IJNSE_INSF_IfEEEESM_EEEEEPS7_SP_SP_NSC_11hip_rocprim7__merge17predicate_wrapperIffNSC_7greaterIfEEEEEE10hipError_tPvRmT0_T1_T2_T3_T4_T5_mmT6_P12ihipStream_tbEUlT_E0_NS1_11comp_targetILNS1_3genE8ELNS1_11target_archE1030ELNS1_3gpuE2ELNS1_3repE0EEENS1_30default_config_static_selectorELNS0_4arch9wavefront6targetE0EEEvS10_.has_dyn_sized_stack, 0
	.set _ZN7rocprim17ROCPRIM_400000_NS6detail17trampoline_kernelINS0_14default_configENS1_21merge_config_selectorINS0_5tupleIJffEEENS0_10empty_typeEEEZNS1_10merge_implIS3_NS0_12zip_iteratorINS5_IJN6thrust23THRUST_200600_302600_NS6detail15normal_iteratorINSC_10device_ptrIKfEEEESI_EEEEESK_NSA_INS5_IJNSE_INSF_IfEEEESM_EEEEEPS7_SP_SP_NSC_11hip_rocprim7__merge17predicate_wrapperIffNSC_7greaterIfEEEEEE10hipError_tPvRmT0_T1_T2_T3_T4_T5_mmT6_P12ihipStream_tbEUlT_E0_NS1_11comp_targetILNS1_3genE8ELNS1_11target_archE1030ELNS1_3gpuE2ELNS1_3repE0EEENS1_30default_config_static_selectorELNS0_4arch9wavefront6targetE0EEEvS10_.has_recursion, 0
	.set _ZN7rocprim17ROCPRIM_400000_NS6detail17trampoline_kernelINS0_14default_configENS1_21merge_config_selectorINS0_5tupleIJffEEENS0_10empty_typeEEEZNS1_10merge_implIS3_NS0_12zip_iteratorINS5_IJN6thrust23THRUST_200600_302600_NS6detail15normal_iteratorINSC_10device_ptrIKfEEEESI_EEEEESK_NSA_INS5_IJNSE_INSF_IfEEEESM_EEEEEPS7_SP_SP_NSC_11hip_rocprim7__merge17predicate_wrapperIffNSC_7greaterIfEEEEEE10hipError_tPvRmT0_T1_T2_T3_T4_T5_mmT6_P12ihipStream_tbEUlT_E0_NS1_11comp_targetILNS1_3genE8ELNS1_11target_archE1030ELNS1_3gpuE2ELNS1_3repE0EEENS1_30default_config_static_selectorELNS0_4arch9wavefront6targetE0EEEvS10_.has_indirect_call, 0
	.section	.AMDGPU.csdata,"",@progbits
; Kernel info:
; codeLenInByte = 8104
; TotalNumSgprs: 30
; NumVgprs: 77
; ScratchSize: 0
; MemoryBound: 0
; FloatMode: 240
; IeeeMode: 1
; LDSByteSize: 33792 bytes/workgroup (compile time only)
; SGPRBlocks: 0
; VGPRBlocks: 18
; NumSGPRsForWavesPerEU: 30
; NumVGPRsForWavesPerEU: 145
; Occupancy: 6
; WaveLimiterHint : 1
; COMPUTE_PGM_RSRC2:SCRATCH_EN: 0
; COMPUTE_PGM_RSRC2:USER_SGPR: 6
; COMPUTE_PGM_RSRC2:TRAP_HANDLER: 0
; COMPUTE_PGM_RSRC2:TGID_X_EN: 1
; COMPUTE_PGM_RSRC2:TGID_Y_EN: 0
; COMPUTE_PGM_RSRC2:TGID_Z_EN: 0
; COMPUTE_PGM_RSRC2:TIDIG_COMP_CNT: 0
	.section	.text._ZN7rocprim17ROCPRIM_400000_NS6detail17trampoline_kernelINS0_14default_configENS1_21merge_config_selectorINS0_5tupleIJyyEEENS0_10empty_typeEEEZNS1_10merge_implIS3_NS0_12zip_iteratorINS5_IJN6thrust23THRUST_200600_302600_NS6detail15normal_iteratorINSC_10device_ptrIKyEEEESI_EEEEESK_NSA_INS5_IJNSE_INSF_IyEEEESM_EEEEEPS7_SP_SP_NSC_11hip_rocprim7__merge17predicate_wrapperIyyNSC_7greaterImEEEEEE10hipError_tPvRmT0_T1_T2_T3_T4_T5_mmT6_P12ihipStream_tbEUlT_E_NS1_11comp_targetILNS1_3genE0ELNS1_11target_archE4294967295ELNS1_3gpuE0ELNS1_3repE0EEENS1_30default_config_static_selectorELNS0_4arch9wavefront6targetE0EEEvS10_,"axG",@progbits,_ZN7rocprim17ROCPRIM_400000_NS6detail17trampoline_kernelINS0_14default_configENS1_21merge_config_selectorINS0_5tupleIJyyEEENS0_10empty_typeEEEZNS1_10merge_implIS3_NS0_12zip_iteratorINS5_IJN6thrust23THRUST_200600_302600_NS6detail15normal_iteratorINSC_10device_ptrIKyEEEESI_EEEEESK_NSA_INS5_IJNSE_INSF_IyEEEESM_EEEEEPS7_SP_SP_NSC_11hip_rocprim7__merge17predicate_wrapperIyyNSC_7greaterImEEEEEE10hipError_tPvRmT0_T1_T2_T3_T4_T5_mmT6_P12ihipStream_tbEUlT_E_NS1_11comp_targetILNS1_3genE0ELNS1_11target_archE4294967295ELNS1_3gpuE0ELNS1_3repE0EEENS1_30default_config_static_selectorELNS0_4arch9wavefront6targetE0EEEvS10_,comdat
	.protected	_ZN7rocprim17ROCPRIM_400000_NS6detail17trampoline_kernelINS0_14default_configENS1_21merge_config_selectorINS0_5tupleIJyyEEENS0_10empty_typeEEEZNS1_10merge_implIS3_NS0_12zip_iteratorINS5_IJN6thrust23THRUST_200600_302600_NS6detail15normal_iteratorINSC_10device_ptrIKyEEEESI_EEEEESK_NSA_INS5_IJNSE_INSF_IyEEEESM_EEEEEPS7_SP_SP_NSC_11hip_rocprim7__merge17predicate_wrapperIyyNSC_7greaterImEEEEEE10hipError_tPvRmT0_T1_T2_T3_T4_T5_mmT6_P12ihipStream_tbEUlT_E_NS1_11comp_targetILNS1_3genE0ELNS1_11target_archE4294967295ELNS1_3gpuE0ELNS1_3repE0EEENS1_30default_config_static_selectorELNS0_4arch9wavefront6targetE0EEEvS10_ ; -- Begin function _ZN7rocprim17ROCPRIM_400000_NS6detail17trampoline_kernelINS0_14default_configENS1_21merge_config_selectorINS0_5tupleIJyyEEENS0_10empty_typeEEEZNS1_10merge_implIS3_NS0_12zip_iteratorINS5_IJN6thrust23THRUST_200600_302600_NS6detail15normal_iteratorINSC_10device_ptrIKyEEEESI_EEEEESK_NSA_INS5_IJNSE_INSF_IyEEEESM_EEEEEPS7_SP_SP_NSC_11hip_rocprim7__merge17predicate_wrapperIyyNSC_7greaterImEEEEEE10hipError_tPvRmT0_T1_T2_T3_T4_T5_mmT6_P12ihipStream_tbEUlT_E_NS1_11comp_targetILNS1_3genE0ELNS1_11target_archE4294967295ELNS1_3gpuE0ELNS1_3repE0EEENS1_30default_config_static_selectorELNS0_4arch9wavefront6targetE0EEEvS10_
	.globl	_ZN7rocprim17ROCPRIM_400000_NS6detail17trampoline_kernelINS0_14default_configENS1_21merge_config_selectorINS0_5tupleIJyyEEENS0_10empty_typeEEEZNS1_10merge_implIS3_NS0_12zip_iteratorINS5_IJN6thrust23THRUST_200600_302600_NS6detail15normal_iteratorINSC_10device_ptrIKyEEEESI_EEEEESK_NSA_INS5_IJNSE_INSF_IyEEEESM_EEEEEPS7_SP_SP_NSC_11hip_rocprim7__merge17predicate_wrapperIyyNSC_7greaterImEEEEEE10hipError_tPvRmT0_T1_T2_T3_T4_T5_mmT6_P12ihipStream_tbEUlT_E_NS1_11comp_targetILNS1_3genE0ELNS1_11target_archE4294967295ELNS1_3gpuE0ELNS1_3repE0EEENS1_30default_config_static_selectorELNS0_4arch9wavefront6targetE0EEEvS10_
	.p2align	8
	.type	_ZN7rocprim17ROCPRIM_400000_NS6detail17trampoline_kernelINS0_14default_configENS1_21merge_config_selectorINS0_5tupleIJyyEEENS0_10empty_typeEEEZNS1_10merge_implIS3_NS0_12zip_iteratorINS5_IJN6thrust23THRUST_200600_302600_NS6detail15normal_iteratorINSC_10device_ptrIKyEEEESI_EEEEESK_NSA_INS5_IJNSE_INSF_IyEEEESM_EEEEEPS7_SP_SP_NSC_11hip_rocprim7__merge17predicate_wrapperIyyNSC_7greaterImEEEEEE10hipError_tPvRmT0_T1_T2_T3_T4_T5_mmT6_P12ihipStream_tbEUlT_E_NS1_11comp_targetILNS1_3genE0ELNS1_11target_archE4294967295ELNS1_3gpuE0ELNS1_3repE0EEENS1_30default_config_static_selectorELNS0_4arch9wavefront6targetE0EEEvS10_,@function
_ZN7rocprim17ROCPRIM_400000_NS6detail17trampoline_kernelINS0_14default_configENS1_21merge_config_selectorINS0_5tupleIJyyEEENS0_10empty_typeEEEZNS1_10merge_implIS3_NS0_12zip_iteratorINS5_IJN6thrust23THRUST_200600_302600_NS6detail15normal_iteratorINSC_10device_ptrIKyEEEESI_EEEEESK_NSA_INS5_IJNSE_INSF_IyEEEESM_EEEEEPS7_SP_SP_NSC_11hip_rocprim7__merge17predicate_wrapperIyyNSC_7greaterImEEEEEE10hipError_tPvRmT0_T1_T2_T3_T4_T5_mmT6_P12ihipStream_tbEUlT_E_NS1_11comp_targetILNS1_3genE0ELNS1_11target_archE4294967295ELNS1_3gpuE0ELNS1_3repE0EEENS1_30default_config_static_selectorELNS0_4arch9wavefront6targetE0EEEvS10_: ; @_ZN7rocprim17ROCPRIM_400000_NS6detail17trampoline_kernelINS0_14default_configENS1_21merge_config_selectorINS0_5tupleIJyyEEENS0_10empty_typeEEEZNS1_10merge_implIS3_NS0_12zip_iteratorINS5_IJN6thrust23THRUST_200600_302600_NS6detail15normal_iteratorINSC_10device_ptrIKyEEEESI_EEEEESK_NSA_INS5_IJNSE_INSF_IyEEEESM_EEEEEPS7_SP_SP_NSC_11hip_rocprim7__merge17predicate_wrapperIyyNSC_7greaterImEEEEEE10hipError_tPvRmT0_T1_T2_T3_T4_T5_mmT6_P12ihipStream_tbEUlT_E_NS1_11comp_targetILNS1_3genE0ELNS1_11target_archE4294967295ELNS1_3gpuE0ELNS1_3repE0EEENS1_30default_config_static_selectorELNS0_4arch9wavefront6targetE0EEEvS10_
; %bb.0:
	.section	.rodata,"a",@progbits
	.p2align	6, 0x0
	.amdhsa_kernel _ZN7rocprim17ROCPRIM_400000_NS6detail17trampoline_kernelINS0_14default_configENS1_21merge_config_selectorINS0_5tupleIJyyEEENS0_10empty_typeEEEZNS1_10merge_implIS3_NS0_12zip_iteratorINS5_IJN6thrust23THRUST_200600_302600_NS6detail15normal_iteratorINSC_10device_ptrIKyEEEESI_EEEEESK_NSA_INS5_IJNSE_INSF_IyEEEESM_EEEEEPS7_SP_SP_NSC_11hip_rocprim7__merge17predicate_wrapperIyyNSC_7greaterImEEEEEE10hipError_tPvRmT0_T1_T2_T3_T4_T5_mmT6_P12ihipStream_tbEUlT_E_NS1_11comp_targetILNS1_3genE0ELNS1_11target_archE4294967295ELNS1_3gpuE0ELNS1_3repE0EEENS1_30default_config_static_selectorELNS0_4arch9wavefront6targetE0EEEvS10_
		.amdhsa_group_segment_fixed_size 0
		.amdhsa_private_segment_fixed_size 0
		.amdhsa_kernarg_size 64
		.amdhsa_user_sgpr_count 6
		.amdhsa_user_sgpr_private_segment_buffer 1
		.amdhsa_user_sgpr_dispatch_ptr 0
		.amdhsa_user_sgpr_queue_ptr 0
		.amdhsa_user_sgpr_kernarg_segment_ptr 1
		.amdhsa_user_sgpr_dispatch_id 0
		.amdhsa_user_sgpr_flat_scratch_init 0
		.amdhsa_user_sgpr_private_segment_size 0
		.amdhsa_wavefront_size32 1
		.amdhsa_uses_dynamic_stack 0
		.amdhsa_system_sgpr_private_segment_wavefront_offset 0
		.amdhsa_system_sgpr_workgroup_id_x 1
		.amdhsa_system_sgpr_workgroup_id_y 0
		.amdhsa_system_sgpr_workgroup_id_z 0
		.amdhsa_system_sgpr_workgroup_info 0
		.amdhsa_system_vgpr_workitem_id 0
		.amdhsa_next_free_vgpr 1
		.amdhsa_next_free_sgpr 1
		.amdhsa_reserve_vcc 0
		.amdhsa_reserve_flat_scratch 0
		.amdhsa_float_round_mode_32 0
		.amdhsa_float_round_mode_16_64 0
		.amdhsa_float_denorm_mode_32 3
		.amdhsa_float_denorm_mode_16_64 3
		.amdhsa_dx10_clamp 1
		.amdhsa_ieee_mode 1
		.amdhsa_fp16_overflow 0
		.amdhsa_workgroup_processor_mode 1
		.amdhsa_memory_ordered 1
		.amdhsa_forward_progress 1
		.amdhsa_shared_vgpr_count 0
		.amdhsa_exception_fp_ieee_invalid_op 0
		.amdhsa_exception_fp_denorm_src 0
		.amdhsa_exception_fp_ieee_div_zero 0
		.amdhsa_exception_fp_ieee_overflow 0
		.amdhsa_exception_fp_ieee_underflow 0
		.amdhsa_exception_fp_ieee_inexact 0
		.amdhsa_exception_int_div_zero 0
	.end_amdhsa_kernel
	.section	.text._ZN7rocprim17ROCPRIM_400000_NS6detail17trampoline_kernelINS0_14default_configENS1_21merge_config_selectorINS0_5tupleIJyyEEENS0_10empty_typeEEEZNS1_10merge_implIS3_NS0_12zip_iteratorINS5_IJN6thrust23THRUST_200600_302600_NS6detail15normal_iteratorINSC_10device_ptrIKyEEEESI_EEEEESK_NSA_INS5_IJNSE_INSF_IyEEEESM_EEEEEPS7_SP_SP_NSC_11hip_rocprim7__merge17predicate_wrapperIyyNSC_7greaterImEEEEEE10hipError_tPvRmT0_T1_T2_T3_T4_T5_mmT6_P12ihipStream_tbEUlT_E_NS1_11comp_targetILNS1_3genE0ELNS1_11target_archE4294967295ELNS1_3gpuE0ELNS1_3repE0EEENS1_30default_config_static_selectorELNS0_4arch9wavefront6targetE0EEEvS10_,"axG",@progbits,_ZN7rocprim17ROCPRIM_400000_NS6detail17trampoline_kernelINS0_14default_configENS1_21merge_config_selectorINS0_5tupleIJyyEEENS0_10empty_typeEEEZNS1_10merge_implIS3_NS0_12zip_iteratorINS5_IJN6thrust23THRUST_200600_302600_NS6detail15normal_iteratorINSC_10device_ptrIKyEEEESI_EEEEESK_NSA_INS5_IJNSE_INSF_IyEEEESM_EEEEEPS7_SP_SP_NSC_11hip_rocprim7__merge17predicate_wrapperIyyNSC_7greaterImEEEEEE10hipError_tPvRmT0_T1_T2_T3_T4_T5_mmT6_P12ihipStream_tbEUlT_E_NS1_11comp_targetILNS1_3genE0ELNS1_11target_archE4294967295ELNS1_3gpuE0ELNS1_3repE0EEENS1_30default_config_static_selectorELNS0_4arch9wavefront6targetE0EEEvS10_,comdat
.Lfunc_end353:
	.size	_ZN7rocprim17ROCPRIM_400000_NS6detail17trampoline_kernelINS0_14default_configENS1_21merge_config_selectorINS0_5tupleIJyyEEENS0_10empty_typeEEEZNS1_10merge_implIS3_NS0_12zip_iteratorINS5_IJN6thrust23THRUST_200600_302600_NS6detail15normal_iteratorINSC_10device_ptrIKyEEEESI_EEEEESK_NSA_INS5_IJNSE_INSF_IyEEEESM_EEEEEPS7_SP_SP_NSC_11hip_rocprim7__merge17predicate_wrapperIyyNSC_7greaterImEEEEEE10hipError_tPvRmT0_T1_T2_T3_T4_T5_mmT6_P12ihipStream_tbEUlT_E_NS1_11comp_targetILNS1_3genE0ELNS1_11target_archE4294967295ELNS1_3gpuE0ELNS1_3repE0EEENS1_30default_config_static_selectorELNS0_4arch9wavefront6targetE0EEEvS10_, .Lfunc_end353-_ZN7rocprim17ROCPRIM_400000_NS6detail17trampoline_kernelINS0_14default_configENS1_21merge_config_selectorINS0_5tupleIJyyEEENS0_10empty_typeEEEZNS1_10merge_implIS3_NS0_12zip_iteratorINS5_IJN6thrust23THRUST_200600_302600_NS6detail15normal_iteratorINSC_10device_ptrIKyEEEESI_EEEEESK_NSA_INS5_IJNSE_INSF_IyEEEESM_EEEEEPS7_SP_SP_NSC_11hip_rocprim7__merge17predicate_wrapperIyyNSC_7greaterImEEEEEE10hipError_tPvRmT0_T1_T2_T3_T4_T5_mmT6_P12ihipStream_tbEUlT_E_NS1_11comp_targetILNS1_3genE0ELNS1_11target_archE4294967295ELNS1_3gpuE0ELNS1_3repE0EEENS1_30default_config_static_selectorELNS0_4arch9wavefront6targetE0EEEvS10_
                                        ; -- End function
	.set _ZN7rocprim17ROCPRIM_400000_NS6detail17trampoline_kernelINS0_14default_configENS1_21merge_config_selectorINS0_5tupleIJyyEEENS0_10empty_typeEEEZNS1_10merge_implIS3_NS0_12zip_iteratorINS5_IJN6thrust23THRUST_200600_302600_NS6detail15normal_iteratorINSC_10device_ptrIKyEEEESI_EEEEESK_NSA_INS5_IJNSE_INSF_IyEEEESM_EEEEEPS7_SP_SP_NSC_11hip_rocprim7__merge17predicate_wrapperIyyNSC_7greaterImEEEEEE10hipError_tPvRmT0_T1_T2_T3_T4_T5_mmT6_P12ihipStream_tbEUlT_E_NS1_11comp_targetILNS1_3genE0ELNS1_11target_archE4294967295ELNS1_3gpuE0ELNS1_3repE0EEENS1_30default_config_static_selectorELNS0_4arch9wavefront6targetE0EEEvS10_.num_vgpr, 0
	.set _ZN7rocprim17ROCPRIM_400000_NS6detail17trampoline_kernelINS0_14default_configENS1_21merge_config_selectorINS0_5tupleIJyyEEENS0_10empty_typeEEEZNS1_10merge_implIS3_NS0_12zip_iteratorINS5_IJN6thrust23THRUST_200600_302600_NS6detail15normal_iteratorINSC_10device_ptrIKyEEEESI_EEEEESK_NSA_INS5_IJNSE_INSF_IyEEEESM_EEEEEPS7_SP_SP_NSC_11hip_rocprim7__merge17predicate_wrapperIyyNSC_7greaterImEEEEEE10hipError_tPvRmT0_T1_T2_T3_T4_T5_mmT6_P12ihipStream_tbEUlT_E_NS1_11comp_targetILNS1_3genE0ELNS1_11target_archE4294967295ELNS1_3gpuE0ELNS1_3repE0EEENS1_30default_config_static_selectorELNS0_4arch9wavefront6targetE0EEEvS10_.num_agpr, 0
	.set _ZN7rocprim17ROCPRIM_400000_NS6detail17trampoline_kernelINS0_14default_configENS1_21merge_config_selectorINS0_5tupleIJyyEEENS0_10empty_typeEEEZNS1_10merge_implIS3_NS0_12zip_iteratorINS5_IJN6thrust23THRUST_200600_302600_NS6detail15normal_iteratorINSC_10device_ptrIKyEEEESI_EEEEESK_NSA_INS5_IJNSE_INSF_IyEEEESM_EEEEEPS7_SP_SP_NSC_11hip_rocprim7__merge17predicate_wrapperIyyNSC_7greaterImEEEEEE10hipError_tPvRmT0_T1_T2_T3_T4_T5_mmT6_P12ihipStream_tbEUlT_E_NS1_11comp_targetILNS1_3genE0ELNS1_11target_archE4294967295ELNS1_3gpuE0ELNS1_3repE0EEENS1_30default_config_static_selectorELNS0_4arch9wavefront6targetE0EEEvS10_.numbered_sgpr, 0
	.set _ZN7rocprim17ROCPRIM_400000_NS6detail17trampoline_kernelINS0_14default_configENS1_21merge_config_selectorINS0_5tupleIJyyEEENS0_10empty_typeEEEZNS1_10merge_implIS3_NS0_12zip_iteratorINS5_IJN6thrust23THRUST_200600_302600_NS6detail15normal_iteratorINSC_10device_ptrIKyEEEESI_EEEEESK_NSA_INS5_IJNSE_INSF_IyEEEESM_EEEEEPS7_SP_SP_NSC_11hip_rocprim7__merge17predicate_wrapperIyyNSC_7greaterImEEEEEE10hipError_tPvRmT0_T1_T2_T3_T4_T5_mmT6_P12ihipStream_tbEUlT_E_NS1_11comp_targetILNS1_3genE0ELNS1_11target_archE4294967295ELNS1_3gpuE0ELNS1_3repE0EEENS1_30default_config_static_selectorELNS0_4arch9wavefront6targetE0EEEvS10_.num_named_barrier, 0
	.set _ZN7rocprim17ROCPRIM_400000_NS6detail17trampoline_kernelINS0_14default_configENS1_21merge_config_selectorINS0_5tupleIJyyEEENS0_10empty_typeEEEZNS1_10merge_implIS3_NS0_12zip_iteratorINS5_IJN6thrust23THRUST_200600_302600_NS6detail15normal_iteratorINSC_10device_ptrIKyEEEESI_EEEEESK_NSA_INS5_IJNSE_INSF_IyEEEESM_EEEEEPS7_SP_SP_NSC_11hip_rocprim7__merge17predicate_wrapperIyyNSC_7greaterImEEEEEE10hipError_tPvRmT0_T1_T2_T3_T4_T5_mmT6_P12ihipStream_tbEUlT_E_NS1_11comp_targetILNS1_3genE0ELNS1_11target_archE4294967295ELNS1_3gpuE0ELNS1_3repE0EEENS1_30default_config_static_selectorELNS0_4arch9wavefront6targetE0EEEvS10_.private_seg_size, 0
	.set _ZN7rocprim17ROCPRIM_400000_NS6detail17trampoline_kernelINS0_14default_configENS1_21merge_config_selectorINS0_5tupleIJyyEEENS0_10empty_typeEEEZNS1_10merge_implIS3_NS0_12zip_iteratorINS5_IJN6thrust23THRUST_200600_302600_NS6detail15normal_iteratorINSC_10device_ptrIKyEEEESI_EEEEESK_NSA_INS5_IJNSE_INSF_IyEEEESM_EEEEEPS7_SP_SP_NSC_11hip_rocprim7__merge17predicate_wrapperIyyNSC_7greaterImEEEEEE10hipError_tPvRmT0_T1_T2_T3_T4_T5_mmT6_P12ihipStream_tbEUlT_E_NS1_11comp_targetILNS1_3genE0ELNS1_11target_archE4294967295ELNS1_3gpuE0ELNS1_3repE0EEENS1_30default_config_static_selectorELNS0_4arch9wavefront6targetE0EEEvS10_.uses_vcc, 0
	.set _ZN7rocprim17ROCPRIM_400000_NS6detail17trampoline_kernelINS0_14default_configENS1_21merge_config_selectorINS0_5tupleIJyyEEENS0_10empty_typeEEEZNS1_10merge_implIS3_NS0_12zip_iteratorINS5_IJN6thrust23THRUST_200600_302600_NS6detail15normal_iteratorINSC_10device_ptrIKyEEEESI_EEEEESK_NSA_INS5_IJNSE_INSF_IyEEEESM_EEEEEPS7_SP_SP_NSC_11hip_rocprim7__merge17predicate_wrapperIyyNSC_7greaterImEEEEEE10hipError_tPvRmT0_T1_T2_T3_T4_T5_mmT6_P12ihipStream_tbEUlT_E_NS1_11comp_targetILNS1_3genE0ELNS1_11target_archE4294967295ELNS1_3gpuE0ELNS1_3repE0EEENS1_30default_config_static_selectorELNS0_4arch9wavefront6targetE0EEEvS10_.uses_flat_scratch, 0
	.set _ZN7rocprim17ROCPRIM_400000_NS6detail17trampoline_kernelINS0_14default_configENS1_21merge_config_selectorINS0_5tupleIJyyEEENS0_10empty_typeEEEZNS1_10merge_implIS3_NS0_12zip_iteratorINS5_IJN6thrust23THRUST_200600_302600_NS6detail15normal_iteratorINSC_10device_ptrIKyEEEESI_EEEEESK_NSA_INS5_IJNSE_INSF_IyEEEESM_EEEEEPS7_SP_SP_NSC_11hip_rocprim7__merge17predicate_wrapperIyyNSC_7greaterImEEEEEE10hipError_tPvRmT0_T1_T2_T3_T4_T5_mmT6_P12ihipStream_tbEUlT_E_NS1_11comp_targetILNS1_3genE0ELNS1_11target_archE4294967295ELNS1_3gpuE0ELNS1_3repE0EEENS1_30default_config_static_selectorELNS0_4arch9wavefront6targetE0EEEvS10_.has_dyn_sized_stack, 0
	.set _ZN7rocprim17ROCPRIM_400000_NS6detail17trampoline_kernelINS0_14default_configENS1_21merge_config_selectorINS0_5tupleIJyyEEENS0_10empty_typeEEEZNS1_10merge_implIS3_NS0_12zip_iteratorINS5_IJN6thrust23THRUST_200600_302600_NS6detail15normal_iteratorINSC_10device_ptrIKyEEEESI_EEEEESK_NSA_INS5_IJNSE_INSF_IyEEEESM_EEEEEPS7_SP_SP_NSC_11hip_rocprim7__merge17predicate_wrapperIyyNSC_7greaterImEEEEEE10hipError_tPvRmT0_T1_T2_T3_T4_T5_mmT6_P12ihipStream_tbEUlT_E_NS1_11comp_targetILNS1_3genE0ELNS1_11target_archE4294967295ELNS1_3gpuE0ELNS1_3repE0EEENS1_30default_config_static_selectorELNS0_4arch9wavefront6targetE0EEEvS10_.has_recursion, 0
	.set _ZN7rocprim17ROCPRIM_400000_NS6detail17trampoline_kernelINS0_14default_configENS1_21merge_config_selectorINS0_5tupleIJyyEEENS0_10empty_typeEEEZNS1_10merge_implIS3_NS0_12zip_iteratorINS5_IJN6thrust23THRUST_200600_302600_NS6detail15normal_iteratorINSC_10device_ptrIKyEEEESI_EEEEESK_NSA_INS5_IJNSE_INSF_IyEEEESM_EEEEEPS7_SP_SP_NSC_11hip_rocprim7__merge17predicate_wrapperIyyNSC_7greaterImEEEEEE10hipError_tPvRmT0_T1_T2_T3_T4_T5_mmT6_P12ihipStream_tbEUlT_E_NS1_11comp_targetILNS1_3genE0ELNS1_11target_archE4294967295ELNS1_3gpuE0ELNS1_3repE0EEENS1_30default_config_static_selectorELNS0_4arch9wavefront6targetE0EEEvS10_.has_indirect_call, 0
	.section	.AMDGPU.csdata,"",@progbits
; Kernel info:
; codeLenInByte = 0
; TotalNumSgprs: 0
; NumVgprs: 0
; ScratchSize: 0
; MemoryBound: 0
; FloatMode: 240
; IeeeMode: 1
; LDSByteSize: 0 bytes/workgroup (compile time only)
; SGPRBlocks: 0
; VGPRBlocks: 0
; NumSGPRsForWavesPerEU: 1
; NumVGPRsForWavesPerEU: 1
; Occupancy: 16
; WaveLimiterHint : 0
; COMPUTE_PGM_RSRC2:SCRATCH_EN: 0
; COMPUTE_PGM_RSRC2:USER_SGPR: 6
; COMPUTE_PGM_RSRC2:TRAP_HANDLER: 0
; COMPUTE_PGM_RSRC2:TGID_X_EN: 1
; COMPUTE_PGM_RSRC2:TGID_Y_EN: 0
; COMPUTE_PGM_RSRC2:TGID_Z_EN: 0
; COMPUTE_PGM_RSRC2:TIDIG_COMP_CNT: 0
	.section	.text._ZN7rocprim17ROCPRIM_400000_NS6detail17trampoline_kernelINS0_14default_configENS1_21merge_config_selectorINS0_5tupleIJyyEEENS0_10empty_typeEEEZNS1_10merge_implIS3_NS0_12zip_iteratorINS5_IJN6thrust23THRUST_200600_302600_NS6detail15normal_iteratorINSC_10device_ptrIKyEEEESI_EEEEESK_NSA_INS5_IJNSE_INSF_IyEEEESM_EEEEEPS7_SP_SP_NSC_11hip_rocprim7__merge17predicate_wrapperIyyNSC_7greaterImEEEEEE10hipError_tPvRmT0_T1_T2_T3_T4_T5_mmT6_P12ihipStream_tbEUlT_E_NS1_11comp_targetILNS1_3genE5ELNS1_11target_archE942ELNS1_3gpuE9ELNS1_3repE0EEENS1_30default_config_static_selectorELNS0_4arch9wavefront6targetE0EEEvS10_,"axG",@progbits,_ZN7rocprim17ROCPRIM_400000_NS6detail17trampoline_kernelINS0_14default_configENS1_21merge_config_selectorINS0_5tupleIJyyEEENS0_10empty_typeEEEZNS1_10merge_implIS3_NS0_12zip_iteratorINS5_IJN6thrust23THRUST_200600_302600_NS6detail15normal_iteratorINSC_10device_ptrIKyEEEESI_EEEEESK_NSA_INS5_IJNSE_INSF_IyEEEESM_EEEEEPS7_SP_SP_NSC_11hip_rocprim7__merge17predicate_wrapperIyyNSC_7greaterImEEEEEE10hipError_tPvRmT0_T1_T2_T3_T4_T5_mmT6_P12ihipStream_tbEUlT_E_NS1_11comp_targetILNS1_3genE5ELNS1_11target_archE942ELNS1_3gpuE9ELNS1_3repE0EEENS1_30default_config_static_selectorELNS0_4arch9wavefront6targetE0EEEvS10_,comdat
	.protected	_ZN7rocprim17ROCPRIM_400000_NS6detail17trampoline_kernelINS0_14default_configENS1_21merge_config_selectorINS0_5tupleIJyyEEENS0_10empty_typeEEEZNS1_10merge_implIS3_NS0_12zip_iteratorINS5_IJN6thrust23THRUST_200600_302600_NS6detail15normal_iteratorINSC_10device_ptrIKyEEEESI_EEEEESK_NSA_INS5_IJNSE_INSF_IyEEEESM_EEEEEPS7_SP_SP_NSC_11hip_rocprim7__merge17predicate_wrapperIyyNSC_7greaterImEEEEEE10hipError_tPvRmT0_T1_T2_T3_T4_T5_mmT6_P12ihipStream_tbEUlT_E_NS1_11comp_targetILNS1_3genE5ELNS1_11target_archE942ELNS1_3gpuE9ELNS1_3repE0EEENS1_30default_config_static_selectorELNS0_4arch9wavefront6targetE0EEEvS10_ ; -- Begin function _ZN7rocprim17ROCPRIM_400000_NS6detail17trampoline_kernelINS0_14default_configENS1_21merge_config_selectorINS0_5tupleIJyyEEENS0_10empty_typeEEEZNS1_10merge_implIS3_NS0_12zip_iteratorINS5_IJN6thrust23THRUST_200600_302600_NS6detail15normal_iteratorINSC_10device_ptrIKyEEEESI_EEEEESK_NSA_INS5_IJNSE_INSF_IyEEEESM_EEEEEPS7_SP_SP_NSC_11hip_rocprim7__merge17predicate_wrapperIyyNSC_7greaterImEEEEEE10hipError_tPvRmT0_T1_T2_T3_T4_T5_mmT6_P12ihipStream_tbEUlT_E_NS1_11comp_targetILNS1_3genE5ELNS1_11target_archE942ELNS1_3gpuE9ELNS1_3repE0EEENS1_30default_config_static_selectorELNS0_4arch9wavefront6targetE0EEEvS10_
	.globl	_ZN7rocprim17ROCPRIM_400000_NS6detail17trampoline_kernelINS0_14default_configENS1_21merge_config_selectorINS0_5tupleIJyyEEENS0_10empty_typeEEEZNS1_10merge_implIS3_NS0_12zip_iteratorINS5_IJN6thrust23THRUST_200600_302600_NS6detail15normal_iteratorINSC_10device_ptrIKyEEEESI_EEEEESK_NSA_INS5_IJNSE_INSF_IyEEEESM_EEEEEPS7_SP_SP_NSC_11hip_rocprim7__merge17predicate_wrapperIyyNSC_7greaterImEEEEEE10hipError_tPvRmT0_T1_T2_T3_T4_T5_mmT6_P12ihipStream_tbEUlT_E_NS1_11comp_targetILNS1_3genE5ELNS1_11target_archE942ELNS1_3gpuE9ELNS1_3repE0EEENS1_30default_config_static_selectorELNS0_4arch9wavefront6targetE0EEEvS10_
	.p2align	8
	.type	_ZN7rocprim17ROCPRIM_400000_NS6detail17trampoline_kernelINS0_14default_configENS1_21merge_config_selectorINS0_5tupleIJyyEEENS0_10empty_typeEEEZNS1_10merge_implIS3_NS0_12zip_iteratorINS5_IJN6thrust23THRUST_200600_302600_NS6detail15normal_iteratorINSC_10device_ptrIKyEEEESI_EEEEESK_NSA_INS5_IJNSE_INSF_IyEEEESM_EEEEEPS7_SP_SP_NSC_11hip_rocprim7__merge17predicate_wrapperIyyNSC_7greaterImEEEEEE10hipError_tPvRmT0_T1_T2_T3_T4_T5_mmT6_P12ihipStream_tbEUlT_E_NS1_11comp_targetILNS1_3genE5ELNS1_11target_archE942ELNS1_3gpuE9ELNS1_3repE0EEENS1_30default_config_static_selectorELNS0_4arch9wavefront6targetE0EEEvS10_,@function
_ZN7rocprim17ROCPRIM_400000_NS6detail17trampoline_kernelINS0_14default_configENS1_21merge_config_selectorINS0_5tupleIJyyEEENS0_10empty_typeEEEZNS1_10merge_implIS3_NS0_12zip_iteratorINS5_IJN6thrust23THRUST_200600_302600_NS6detail15normal_iteratorINSC_10device_ptrIKyEEEESI_EEEEESK_NSA_INS5_IJNSE_INSF_IyEEEESM_EEEEEPS7_SP_SP_NSC_11hip_rocprim7__merge17predicate_wrapperIyyNSC_7greaterImEEEEEE10hipError_tPvRmT0_T1_T2_T3_T4_T5_mmT6_P12ihipStream_tbEUlT_E_NS1_11comp_targetILNS1_3genE5ELNS1_11target_archE942ELNS1_3gpuE9ELNS1_3repE0EEENS1_30default_config_static_selectorELNS0_4arch9wavefront6targetE0EEEvS10_: ; @_ZN7rocprim17ROCPRIM_400000_NS6detail17trampoline_kernelINS0_14default_configENS1_21merge_config_selectorINS0_5tupleIJyyEEENS0_10empty_typeEEEZNS1_10merge_implIS3_NS0_12zip_iteratorINS5_IJN6thrust23THRUST_200600_302600_NS6detail15normal_iteratorINSC_10device_ptrIKyEEEESI_EEEEESK_NSA_INS5_IJNSE_INSF_IyEEEESM_EEEEEPS7_SP_SP_NSC_11hip_rocprim7__merge17predicate_wrapperIyyNSC_7greaterImEEEEEE10hipError_tPvRmT0_T1_T2_T3_T4_T5_mmT6_P12ihipStream_tbEUlT_E_NS1_11comp_targetILNS1_3genE5ELNS1_11target_archE942ELNS1_3gpuE9ELNS1_3repE0EEENS1_30default_config_static_selectorELNS0_4arch9wavefront6targetE0EEEvS10_
; %bb.0:
	.section	.rodata,"a",@progbits
	.p2align	6, 0x0
	.amdhsa_kernel _ZN7rocprim17ROCPRIM_400000_NS6detail17trampoline_kernelINS0_14default_configENS1_21merge_config_selectorINS0_5tupleIJyyEEENS0_10empty_typeEEEZNS1_10merge_implIS3_NS0_12zip_iteratorINS5_IJN6thrust23THRUST_200600_302600_NS6detail15normal_iteratorINSC_10device_ptrIKyEEEESI_EEEEESK_NSA_INS5_IJNSE_INSF_IyEEEESM_EEEEEPS7_SP_SP_NSC_11hip_rocprim7__merge17predicate_wrapperIyyNSC_7greaterImEEEEEE10hipError_tPvRmT0_T1_T2_T3_T4_T5_mmT6_P12ihipStream_tbEUlT_E_NS1_11comp_targetILNS1_3genE5ELNS1_11target_archE942ELNS1_3gpuE9ELNS1_3repE0EEENS1_30default_config_static_selectorELNS0_4arch9wavefront6targetE0EEEvS10_
		.amdhsa_group_segment_fixed_size 0
		.amdhsa_private_segment_fixed_size 0
		.amdhsa_kernarg_size 64
		.amdhsa_user_sgpr_count 6
		.amdhsa_user_sgpr_private_segment_buffer 1
		.amdhsa_user_sgpr_dispatch_ptr 0
		.amdhsa_user_sgpr_queue_ptr 0
		.amdhsa_user_sgpr_kernarg_segment_ptr 1
		.amdhsa_user_sgpr_dispatch_id 0
		.amdhsa_user_sgpr_flat_scratch_init 0
		.amdhsa_user_sgpr_private_segment_size 0
		.amdhsa_wavefront_size32 1
		.amdhsa_uses_dynamic_stack 0
		.amdhsa_system_sgpr_private_segment_wavefront_offset 0
		.amdhsa_system_sgpr_workgroup_id_x 1
		.amdhsa_system_sgpr_workgroup_id_y 0
		.amdhsa_system_sgpr_workgroup_id_z 0
		.amdhsa_system_sgpr_workgroup_info 0
		.amdhsa_system_vgpr_workitem_id 0
		.amdhsa_next_free_vgpr 1
		.amdhsa_next_free_sgpr 1
		.amdhsa_reserve_vcc 0
		.amdhsa_reserve_flat_scratch 0
		.amdhsa_float_round_mode_32 0
		.amdhsa_float_round_mode_16_64 0
		.amdhsa_float_denorm_mode_32 3
		.amdhsa_float_denorm_mode_16_64 3
		.amdhsa_dx10_clamp 1
		.amdhsa_ieee_mode 1
		.amdhsa_fp16_overflow 0
		.amdhsa_workgroup_processor_mode 1
		.amdhsa_memory_ordered 1
		.amdhsa_forward_progress 1
		.amdhsa_shared_vgpr_count 0
		.amdhsa_exception_fp_ieee_invalid_op 0
		.amdhsa_exception_fp_denorm_src 0
		.amdhsa_exception_fp_ieee_div_zero 0
		.amdhsa_exception_fp_ieee_overflow 0
		.amdhsa_exception_fp_ieee_underflow 0
		.amdhsa_exception_fp_ieee_inexact 0
		.amdhsa_exception_int_div_zero 0
	.end_amdhsa_kernel
	.section	.text._ZN7rocprim17ROCPRIM_400000_NS6detail17trampoline_kernelINS0_14default_configENS1_21merge_config_selectorINS0_5tupleIJyyEEENS0_10empty_typeEEEZNS1_10merge_implIS3_NS0_12zip_iteratorINS5_IJN6thrust23THRUST_200600_302600_NS6detail15normal_iteratorINSC_10device_ptrIKyEEEESI_EEEEESK_NSA_INS5_IJNSE_INSF_IyEEEESM_EEEEEPS7_SP_SP_NSC_11hip_rocprim7__merge17predicate_wrapperIyyNSC_7greaterImEEEEEE10hipError_tPvRmT0_T1_T2_T3_T4_T5_mmT6_P12ihipStream_tbEUlT_E_NS1_11comp_targetILNS1_3genE5ELNS1_11target_archE942ELNS1_3gpuE9ELNS1_3repE0EEENS1_30default_config_static_selectorELNS0_4arch9wavefront6targetE0EEEvS10_,"axG",@progbits,_ZN7rocprim17ROCPRIM_400000_NS6detail17trampoline_kernelINS0_14default_configENS1_21merge_config_selectorINS0_5tupleIJyyEEENS0_10empty_typeEEEZNS1_10merge_implIS3_NS0_12zip_iteratorINS5_IJN6thrust23THRUST_200600_302600_NS6detail15normal_iteratorINSC_10device_ptrIKyEEEESI_EEEEESK_NSA_INS5_IJNSE_INSF_IyEEEESM_EEEEEPS7_SP_SP_NSC_11hip_rocprim7__merge17predicate_wrapperIyyNSC_7greaterImEEEEEE10hipError_tPvRmT0_T1_T2_T3_T4_T5_mmT6_P12ihipStream_tbEUlT_E_NS1_11comp_targetILNS1_3genE5ELNS1_11target_archE942ELNS1_3gpuE9ELNS1_3repE0EEENS1_30default_config_static_selectorELNS0_4arch9wavefront6targetE0EEEvS10_,comdat
.Lfunc_end354:
	.size	_ZN7rocprim17ROCPRIM_400000_NS6detail17trampoline_kernelINS0_14default_configENS1_21merge_config_selectorINS0_5tupleIJyyEEENS0_10empty_typeEEEZNS1_10merge_implIS3_NS0_12zip_iteratorINS5_IJN6thrust23THRUST_200600_302600_NS6detail15normal_iteratorINSC_10device_ptrIKyEEEESI_EEEEESK_NSA_INS5_IJNSE_INSF_IyEEEESM_EEEEEPS7_SP_SP_NSC_11hip_rocprim7__merge17predicate_wrapperIyyNSC_7greaterImEEEEEE10hipError_tPvRmT0_T1_T2_T3_T4_T5_mmT6_P12ihipStream_tbEUlT_E_NS1_11comp_targetILNS1_3genE5ELNS1_11target_archE942ELNS1_3gpuE9ELNS1_3repE0EEENS1_30default_config_static_selectorELNS0_4arch9wavefront6targetE0EEEvS10_, .Lfunc_end354-_ZN7rocprim17ROCPRIM_400000_NS6detail17trampoline_kernelINS0_14default_configENS1_21merge_config_selectorINS0_5tupleIJyyEEENS0_10empty_typeEEEZNS1_10merge_implIS3_NS0_12zip_iteratorINS5_IJN6thrust23THRUST_200600_302600_NS6detail15normal_iteratorINSC_10device_ptrIKyEEEESI_EEEEESK_NSA_INS5_IJNSE_INSF_IyEEEESM_EEEEEPS7_SP_SP_NSC_11hip_rocprim7__merge17predicate_wrapperIyyNSC_7greaterImEEEEEE10hipError_tPvRmT0_T1_T2_T3_T4_T5_mmT6_P12ihipStream_tbEUlT_E_NS1_11comp_targetILNS1_3genE5ELNS1_11target_archE942ELNS1_3gpuE9ELNS1_3repE0EEENS1_30default_config_static_selectorELNS0_4arch9wavefront6targetE0EEEvS10_
                                        ; -- End function
	.set _ZN7rocprim17ROCPRIM_400000_NS6detail17trampoline_kernelINS0_14default_configENS1_21merge_config_selectorINS0_5tupleIJyyEEENS0_10empty_typeEEEZNS1_10merge_implIS3_NS0_12zip_iteratorINS5_IJN6thrust23THRUST_200600_302600_NS6detail15normal_iteratorINSC_10device_ptrIKyEEEESI_EEEEESK_NSA_INS5_IJNSE_INSF_IyEEEESM_EEEEEPS7_SP_SP_NSC_11hip_rocprim7__merge17predicate_wrapperIyyNSC_7greaterImEEEEEE10hipError_tPvRmT0_T1_T2_T3_T4_T5_mmT6_P12ihipStream_tbEUlT_E_NS1_11comp_targetILNS1_3genE5ELNS1_11target_archE942ELNS1_3gpuE9ELNS1_3repE0EEENS1_30default_config_static_selectorELNS0_4arch9wavefront6targetE0EEEvS10_.num_vgpr, 0
	.set _ZN7rocprim17ROCPRIM_400000_NS6detail17trampoline_kernelINS0_14default_configENS1_21merge_config_selectorINS0_5tupleIJyyEEENS0_10empty_typeEEEZNS1_10merge_implIS3_NS0_12zip_iteratorINS5_IJN6thrust23THRUST_200600_302600_NS6detail15normal_iteratorINSC_10device_ptrIKyEEEESI_EEEEESK_NSA_INS5_IJNSE_INSF_IyEEEESM_EEEEEPS7_SP_SP_NSC_11hip_rocprim7__merge17predicate_wrapperIyyNSC_7greaterImEEEEEE10hipError_tPvRmT0_T1_T2_T3_T4_T5_mmT6_P12ihipStream_tbEUlT_E_NS1_11comp_targetILNS1_3genE5ELNS1_11target_archE942ELNS1_3gpuE9ELNS1_3repE0EEENS1_30default_config_static_selectorELNS0_4arch9wavefront6targetE0EEEvS10_.num_agpr, 0
	.set _ZN7rocprim17ROCPRIM_400000_NS6detail17trampoline_kernelINS0_14default_configENS1_21merge_config_selectorINS0_5tupleIJyyEEENS0_10empty_typeEEEZNS1_10merge_implIS3_NS0_12zip_iteratorINS5_IJN6thrust23THRUST_200600_302600_NS6detail15normal_iteratorINSC_10device_ptrIKyEEEESI_EEEEESK_NSA_INS5_IJNSE_INSF_IyEEEESM_EEEEEPS7_SP_SP_NSC_11hip_rocprim7__merge17predicate_wrapperIyyNSC_7greaterImEEEEEE10hipError_tPvRmT0_T1_T2_T3_T4_T5_mmT6_P12ihipStream_tbEUlT_E_NS1_11comp_targetILNS1_3genE5ELNS1_11target_archE942ELNS1_3gpuE9ELNS1_3repE0EEENS1_30default_config_static_selectorELNS0_4arch9wavefront6targetE0EEEvS10_.numbered_sgpr, 0
	.set _ZN7rocprim17ROCPRIM_400000_NS6detail17trampoline_kernelINS0_14default_configENS1_21merge_config_selectorINS0_5tupleIJyyEEENS0_10empty_typeEEEZNS1_10merge_implIS3_NS0_12zip_iteratorINS5_IJN6thrust23THRUST_200600_302600_NS6detail15normal_iteratorINSC_10device_ptrIKyEEEESI_EEEEESK_NSA_INS5_IJNSE_INSF_IyEEEESM_EEEEEPS7_SP_SP_NSC_11hip_rocprim7__merge17predicate_wrapperIyyNSC_7greaterImEEEEEE10hipError_tPvRmT0_T1_T2_T3_T4_T5_mmT6_P12ihipStream_tbEUlT_E_NS1_11comp_targetILNS1_3genE5ELNS1_11target_archE942ELNS1_3gpuE9ELNS1_3repE0EEENS1_30default_config_static_selectorELNS0_4arch9wavefront6targetE0EEEvS10_.num_named_barrier, 0
	.set _ZN7rocprim17ROCPRIM_400000_NS6detail17trampoline_kernelINS0_14default_configENS1_21merge_config_selectorINS0_5tupleIJyyEEENS0_10empty_typeEEEZNS1_10merge_implIS3_NS0_12zip_iteratorINS5_IJN6thrust23THRUST_200600_302600_NS6detail15normal_iteratorINSC_10device_ptrIKyEEEESI_EEEEESK_NSA_INS5_IJNSE_INSF_IyEEEESM_EEEEEPS7_SP_SP_NSC_11hip_rocprim7__merge17predicate_wrapperIyyNSC_7greaterImEEEEEE10hipError_tPvRmT0_T1_T2_T3_T4_T5_mmT6_P12ihipStream_tbEUlT_E_NS1_11comp_targetILNS1_3genE5ELNS1_11target_archE942ELNS1_3gpuE9ELNS1_3repE0EEENS1_30default_config_static_selectorELNS0_4arch9wavefront6targetE0EEEvS10_.private_seg_size, 0
	.set _ZN7rocprim17ROCPRIM_400000_NS6detail17trampoline_kernelINS0_14default_configENS1_21merge_config_selectorINS0_5tupleIJyyEEENS0_10empty_typeEEEZNS1_10merge_implIS3_NS0_12zip_iteratorINS5_IJN6thrust23THRUST_200600_302600_NS6detail15normal_iteratorINSC_10device_ptrIKyEEEESI_EEEEESK_NSA_INS5_IJNSE_INSF_IyEEEESM_EEEEEPS7_SP_SP_NSC_11hip_rocprim7__merge17predicate_wrapperIyyNSC_7greaterImEEEEEE10hipError_tPvRmT0_T1_T2_T3_T4_T5_mmT6_P12ihipStream_tbEUlT_E_NS1_11comp_targetILNS1_3genE5ELNS1_11target_archE942ELNS1_3gpuE9ELNS1_3repE0EEENS1_30default_config_static_selectorELNS0_4arch9wavefront6targetE0EEEvS10_.uses_vcc, 0
	.set _ZN7rocprim17ROCPRIM_400000_NS6detail17trampoline_kernelINS0_14default_configENS1_21merge_config_selectorINS0_5tupleIJyyEEENS0_10empty_typeEEEZNS1_10merge_implIS3_NS0_12zip_iteratorINS5_IJN6thrust23THRUST_200600_302600_NS6detail15normal_iteratorINSC_10device_ptrIKyEEEESI_EEEEESK_NSA_INS5_IJNSE_INSF_IyEEEESM_EEEEEPS7_SP_SP_NSC_11hip_rocprim7__merge17predicate_wrapperIyyNSC_7greaterImEEEEEE10hipError_tPvRmT0_T1_T2_T3_T4_T5_mmT6_P12ihipStream_tbEUlT_E_NS1_11comp_targetILNS1_3genE5ELNS1_11target_archE942ELNS1_3gpuE9ELNS1_3repE0EEENS1_30default_config_static_selectorELNS0_4arch9wavefront6targetE0EEEvS10_.uses_flat_scratch, 0
	.set _ZN7rocprim17ROCPRIM_400000_NS6detail17trampoline_kernelINS0_14default_configENS1_21merge_config_selectorINS0_5tupleIJyyEEENS0_10empty_typeEEEZNS1_10merge_implIS3_NS0_12zip_iteratorINS5_IJN6thrust23THRUST_200600_302600_NS6detail15normal_iteratorINSC_10device_ptrIKyEEEESI_EEEEESK_NSA_INS5_IJNSE_INSF_IyEEEESM_EEEEEPS7_SP_SP_NSC_11hip_rocprim7__merge17predicate_wrapperIyyNSC_7greaterImEEEEEE10hipError_tPvRmT0_T1_T2_T3_T4_T5_mmT6_P12ihipStream_tbEUlT_E_NS1_11comp_targetILNS1_3genE5ELNS1_11target_archE942ELNS1_3gpuE9ELNS1_3repE0EEENS1_30default_config_static_selectorELNS0_4arch9wavefront6targetE0EEEvS10_.has_dyn_sized_stack, 0
	.set _ZN7rocprim17ROCPRIM_400000_NS6detail17trampoline_kernelINS0_14default_configENS1_21merge_config_selectorINS0_5tupleIJyyEEENS0_10empty_typeEEEZNS1_10merge_implIS3_NS0_12zip_iteratorINS5_IJN6thrust23THRUST_200600_302600_NS6detail15normal_iteratorINSC_10device_ptrIKyEEEESI_EEEEESK_NSA_INS5_IJNSE_INSF_IyEEEESM_EEEEEPS7_SP_SP_NSC_11hip_rocprim7__merge17predicate_wrapperIyyNSC_7greaterImEEEEEE10hipError_tPvRmT0_T1_T2_T3_T4_T5_mmT6_P12ihipStream_tbEUlT_E_NS1_11comp_targetILNS1_3genE5ELNS1_11target_archE942ELNS1_3gpuE9ELNS1_3repE0EEENS1_30default_config_static_selectorELNS0_4arch9wavefront6targetE0EEEvS10_.has_recursion, 0
	.set _ZN7rocprim17ROCPRIM_400000_NS6detail17trampoline_kernelINS0_14default_configENS1_21merge_config_selectorINS0_5tupleIJyyEEENS0_10empty_typeEEEZNS1_10merge_implIS3_NS0_12zip_iteratorINS5_IJN6thrust23THRUST_200600_302600_NS6detail15normal_iteratorINSC_10device_ptrIKyEEEESI_EEEEESK_NSA_INS5_IJNSE_INSF_IyEEEESM_EEEEEPS7_SP_SP_NSC_11hip_rocprim7__merge17predicate_wrapperIyyNSC_7greaterImEEEEEE10hipError_tPvRmT0_T1_T2_T3_T4_T5_mmT6_P12ihipStream_tbEUlT_E_NS1_11comp_targetILNS1_3genE5ELNS1_11target_archE942ELNS1_3gpuE9ELNS1_3repE0EEENS1_30default_config_static_selectorELNS0_4arch9wavefront6targetE0EEEvS10_.has_indirect_call, 0
	.section	.AMDGPU.csdata,"",@progbits
; Kernel info:
; codeLenInByte = 0
; TotalNumSgprs: 0
; NumVgprs: 0
; ScratchSize: 0
; MemoryBound: 0
; FloatMode: 240
; IeeeMode: 1
; LDSByteSize: 0 bytes/workgroup (compile time only)
; SGPRBlocks: 0
; VGPRBlocks: 0
; NumSGPRsForWavesPerEU: 1
; NumVGPRsForWavesPerEU: 1
; Occupancy: 16
; WaveLimiterHint : 0
; COMPUTE_PGM_RSRC2:SCRATCH_EN: 0
; COMPUTE_PGM_RSRC2:USER_SGPR: 6
; COMPUTE_PGM_RSRC2:TRAP_HANDLER: 0
; COMPUTE_PGM_RSRC2:TGID_X_EN: 1
; COMPUTE_PGM_RSRC2:TGID_Y_EN: 0
; COMPUTE_PGM_RSRC2:TGID_Z_EN: 0
; COMPUTE_PGM_RSRC2:TIDIG_COMP_CNT: 0
	.section	.text._ZN7rocprim17ROCPRIM_400000_NS6detail17trampoline_kernelINS0_14default_configENS1_21merge_config_selectorINS0_5tupleIJyyEEENS0_10empty_typeEEEZNS1_10merge_implIS3_NS0_12zip_iteratorINS5_IJN6thrust23THRUST_200600_302600_NS6detail15normal_iteratorINSC_10device_ptrIKyEEEESI_EEEEESK_NSA_INS5_IJNSE_INSF_IyEEEESM_EEEEEPS7_SP_SP_NSC_11hip_rocprim7__merge17predicate_wrapperIyyNSC_7greaterImEEEEEE10hipError_tPvRmT0_T1_T2_T3_T4_T5_mmT6_P12ihipStream_tbEUlT_E_NS1_11comp_targetILNS1_3genE4ELNS1_11target_archE910ELNS1_3gpuE8ELNS1_3repE0EEENS1_30default_config_static_selectorELNS0_4arch9wavefront6targetE0EEEvS10_,"axG",@progbits,_ZN7rocprim17ROCPRIM_400000_NS6detail17trampoline_kernelINS0_14default_configENS1_21merge_config_selectorINS0_5tupleIJyyEEENS0_10empty_typeEEEZNS1_10merge_implIS3_NS0_12zip_iteratorINS5_IJN6thrust23THRUST_200600_302600_NS6detail15normal_iteratorINSC_10device_ptrIKyEEEESI_EEEEESK_NSA_INS5_IJNSE_INSF_IyEEEESM_EEEEEPS7_SP_SP_NSC_11hip_rocprim7__merge17predicate_wrapperIyyNSC_7greaterImEEEEEE10hipError_tPvRmT0_T1_T2_T3_T4_T5_mmT6_P12ihipStream_tbEUlT_E_NS1_11comp_targetILNS1_3genE4ELNS1_11target_archE910ELNS1_3gpuE8ELNS1_3repE0EEENS1_30default_config_static_selectorELNS0_4arch9wavefront6targetE0EEEvS10_,comdat
	.protected	_ZN7rocprim17ROCPRIM_400000_NS6detail17trampoline_kernelINS0_14default_configENS1_21merge_config_selectorINS0_5tupleIJyyEEENS0_10empty_typeEEEZNS1_10merge_implIS3_NS0_12zip_iteratorINS5_IJN6thrust23THRUST_200600_302600_NS6detail15normal_iteratorINSC_10device_ptrIKyEEEESI_EEEEESK_NSA_INS5_IJNSE_INSF_IyEEEESM_EEEEEPS7_SP_SP_NSC_11hip_rocprim7__merge17predicate_wrapperIyyNSC_7greaterImEEEEEE10hipError_tPvRmT0_T1_T2_T3_T4_T5_mmT6_P12ihipStream_tbEUlT_E_NS1_11comp_targetILNS1_3genE4ELNS1_11target_archE910ELNS1_3gpuE8ELNS1_3repE0EEENS1_30default_config_static_selectorELNS0_4arch9wavefront6targetE0EEEvS10_ ; -- Begin function _ZN7rocprim17ROCPRIM_400000_NS6detail17trampoline_kernelINS0_14default_configENS1_21merge_config_selectorINS0_5tupleIJyyEEENS0_10empty_typeEEEZNS1_10merge_implIS3_NS0_12zip_iteratorINS5_IJN6thrust23THRUST_200600_302600_NS6detail15normal_iteratorINSC_10device_ptrIKyEEEESI_EEEEESK_NSA_INS5_IJNSE_INSF_IyEEEESM_EEEEEPS7_SP_SP_NSC_11hip_rocprim7__merge17predicate_wrapperIyyNSC_7greaterImEEEEEE10hipError_tPvRmT0_T1_T2_T3_T4_T5_mmT6_P12ihipStream_tbEUlT_E_NS1_11comp_targetILNS1_3genE4ELNS1_11target_archE910ELNS1_3gpuE8ELNS1_3repE0EEENS1_30default_config_static_selectorELNS0_4arch9wavefront6targetE0EEEvS10_
	.globl	_ZN7rocprim17ROCPRIM_400000_NS6detail17trampoline_kernelINS0_14default_configENS1_21merge_config_selectorINS0_5tupleIJyyEEENS0_10empty_typeEEEZNS1_10merge_implIS3_NS0_12zip_iteratorINS5_IJN6thrust23THRUST_200600_302600_NS6detail15normal_iteratorINSC_10device_ptrIKyEEEESI_EEEEESK_NSA_INS5_IJNSE_INSF_IyEEEESM_EEEEEPS7_SP_SP_NSC_11hip_rocprim7__merge17predicate_wrapperIyyNSC_7greaterImEEEEEE10hipError_tPvRmT0_T1_T2_T3_T4_T5_mmT6_P12ihipStream_tbEUlT_E_NS1_11comp_targetILNS1_3genE4ELNS1_11target_archE910ELNS1_3gpuE8ELNS1_3repE0EEENS1_30default_config_static_selectorELNS0_4arch9wavefront6targetE0EEEvS10_
	.p2align	8
	.type	_ZN7rocprim17ROCPRIM_400000_NS6detail17trampoline_kernelINS0_14default_configENS1_21merge_config_selectorINS0_5tupleIJyyEEENS0_10empty_typeEEEZNS1_10merge_implIS3_NS0_12zip_iteratorINS5_IJN6thrust23THRUST_200600_302600_NS6detail15normal_iteratorINSC_10device_ptrIKyEEEESI_EEEEESK_NSA_INS5_IJNSE_INSF_IyEEEESM_EEEEEPS7_SP_SP_NSC_11hip_rocprim7__merge17predicate_wrapperIyyNSC_7greaterImEEEEEE10hipError_tPvRmT0_T1_T2_T3_T4_T5_mmT6_P12ihipStream_tbEUlT_E_NS1_11comp_targetILNS1_3genE4ELNS1_11target_archE910ELNS1_3gpuE8ELNS1_3repE0EEENS1_30default_config_static_selectorELNS0_4arch9wavefront6targetE0EEEvS10_,@function
_ZN7rocprim17ROCPRIM_400000_NS6detail17trampoline_kernelINS0_14default_configENS1_21merge_config_selectorINS0_5tupleIJyyEEENS0_10empty_typeEEEZNS1_10merge_implIS3_NS0_12zip_iteratorINS5_IJN6thrust23THRUST_200600_302600_NS6detail15normal_iteratorINSC_10device_ptrIKyEEEESI_EEEEESK_NSA_INS5_IJNSE_INSF_IyEEEESM_EEEEEPS7_SP_SP_NSC_11hip_rocprim7__merge17predicate_wrapperIyyNSC_7greaterImEEEEEE10hipError_tPvRmT0_T1_T2_T3_T4_T5_mmT6_P12ihipStream_tbEUlT_E_NS1_11comp_targetILNS1_3genE4ELNS1_11target_archE910ELNS1_3gpuE8ELNS1_3repE0EEENS1_30default_config_static_selectorELNS0_4arch9wavefront6targetE0EEEvS10_: ; @_ZN7rocprim17ROCPRIM_400000_NS6detail17trampoline_kernelINS0_14default_configENS1_21merge_config_selectorINS0_5tupleIJyyEEENS0_10empty_typeEEEZNS1_10merge_implIS3_NS0_12zip_iteratorINS5_IJN6thrust23THRUST_200600_302600_NS6detail15normal_iteratorINSC_10device_ptrIKyEEEESI_EEEEESK_NSA_INS5_IJNSE_INSF_IyEEEESM_EEEEEPS7_SP_SP_NSC_11hip_rocprim7__merge17predicate_wrapperIyyNSC_7greaterImEEEEEE10hipError_tPvRmT0_T1_T2_T3_T4_T5_mmT6_P12ihipStream_tbEUlT_E_NS1_11comp_targetILNS1_3genE4ELNS1_11target_archE910ELNS1_3gpuE8ELNS1_3repE0EEENS1_30default_config_static_selectorELNS0_4arch9wavefront6targetE0EEEvS10_
; %bb.0:
	.section	.rodata,"a",@progbits
	.p2align	6, 0x0
	.amdhsa_kernel _ZN7rocprim17ROCPRIM_400000_NS6detail17trampoline_kernelINS0_14default_configENS1_21merge_config_selectorINS0_5tupleIJyyEEENS0_10empty_typeEEEZNS1_10merge_implIS3_NS0_12zip_iteratorINS5_IJN6thrust23THRUST_200600_302600_NS6detail15normal_iteratorINSC_10device_ptrIKyEEEESI_EEEEESK_NSA_INS5_IJNSE_INSF_IyEEEESM_EEEEEPS7_SP_SP_NSC_11hip_rocprim7__merge17predicate_wrapperIyyNSC_7greaterImEEEEEE10hipError_tPvRmT0_T1_T2_T3_T4_T5_mmT6_P12ihipStream_tbEUlT_E_NS1_11comp_targetILNS1_3genE4ELNS1_11target_archE910ELNS1_3gpuE8ELNS1_3repE0EEENS1_30default_config_static_selectorELNS0_4arch9wavefront6targetE0EEEvS10_
		.amdhsa_group_segment_fixed_size 0
		.amdhsa_private_segment_fixed_size 0
		.amdhsa_kernarg_size 64
		.amdhsa_user_sgpr_count 6
		.amdhsa_user_sgpr_private_segment_buffer 1
		.amdhsa_user_sgpr_dispatch_ptr 0
		.amdhsa_user_sgpr_queue_ptr 0
		.amdhsa_user_sgpr_kernarg_segment_ptr 1
		.amdhsa_user_sgpr_dispatch_id 0
		.amdhsa_user_sgpr_flat_scratch_init 0
		.amdhsa_user_sgpr_private_segment_size 0
		.amdhsa_wavefront_size32 1
		.amdhsa_uses_dynamic_stack 0
		.amdhsa_system_sgpr_private_segment_wavefront_offset 0
		.amdhsa_system_sgpr_workgroup_id_x 1
		.amdhsa_system_sgpr_workgroup_id_y 0
		.amdhsa_system_sgpr_workgroup_id_z 0
		.amdhsa_system_sgpr_workgroup_info 0
		.amdhsa_system_vgpr_workitem_id 0
		.amdhsa_next_free_vgpr 1
		.amdhsa_next_free_sgpr 1
		.amdhsa_reserve_vcc 0
		.amdhsa_reserve_flat_scratch 0
		.amdhsa_float_round_mode_32 0
		.amdhsa_float_round_mode_16_64 0
		.amdhsa_float_denorm_mode_32 3
		.amdhsa_float_denorm_mode_16_64 3
		.amdhsa_dx10_clamp 1
		.amdhsa_ieee_mode 1
		.amdhsa_fp16_overflow 0
		.amdhsa_workgroup_processor_mode 1
		.amdhsa_memory_ordered 1
		.amdhsa_forward_progress 1
		.amdhsa_shared_vgpr_count 0
		.amdhsa_exception_fp_ieee_invalid_op 0
		.amdhsa_exception_fp_denorm_src 0
		.amdhsa_exception_fp_ieee_div_zero 0
		.amdhsa_exception_fp_ieee_overflow 0
		.amdhsa_exception_fp_ieee_underflow 0
		.amdhsa_exception_fp_ieee_inexact 0
		.amdhsa_exception_int_div_zero 0
	.end_amdhsa_kernel
	.section	.text._ZN7rocprim17ROCPRIM_400000_NS6detail17trampoline_kernelINS0_14default_configENS1_21merge_config_selectorINS0_5tupleIJyyEEENS0_10empty_typeEEEZNS1_10merge_implIS3_NS0_12zip_iteratorINS5_IJN6thrust23THRUST_200600_302600_NS6detail15normal_iteratorINSC_10device_ptrIKyEEEESI_EEEEESK_NSA_INS5_IJNSE_INSF_IyEEEESM_EEEEEPS7_SP_SP_NSC_11hip_rocprim7__merge17predicate_wrapperIyyNSC_7greaterImEEEEEE10hipError_tPvRmT0_T1_T2_T3_T4_T5_mmT6_P12ihipStream_tbEUlT_E_NS1_11comp_targetILNS1_3genE4ELNS1_11target_archE910ELNS1_3gpuE8ELNS1_3repE0EEENS1_30default_config_static_selectorELNS0_4arch9wavefront6targetE0EEEvS10_,"axG",@progbits,_ZN7rocprim17ROCPRIM_400000_NS6detail17trampoline_kernelINS0_14default_configENS1_21merge_config_selectorINS0_5tupleIJyyEEENS0_10empty_typeEEEZNS1_10merge_implIS3_NS0_12zip_iteratorINS5_IJN6thrust23THRUST_200600_302600_NS6detail15normal_iteratorINSC_10device_ptrIKyEEEESI_EEEEESK_NSA_INS5_IJNSE_INSF_IyEEEESM_EEEEEPS7_SP_SP_NSC_11hip_rocprim7__merge17predicate_wrapperIyyNSC_7greaterImEEEEEE10hipError_tPvRmT0_T1_T2_T3_T4_T5_mmT6_P12ihipStream_tbEUlT_E_NS1_11comp_targetILNS1_3genE4ELNS1_11target_archE910ELNS1_3gpuE8ELNS1_3repE0EEENS1_30default_config_static_selectorELNS0_4arch9wavefront6targetE0EEEvS10_,comdat
.Lfunc_end355:
	.size	_ZN7rocprim17ROCPRIM_400000_NS6detail17trampoline_kernelINS0_14default_configENS1_21merge_config_selectorINS0_5tupleIJyyEEENS0_10empty_typeEEEZNS1_10merge_implIS3_NS0_12zip_iteratorINS5_IJN6thrust23THRUST_200600_302600_NS6detail15normal_iteratorINSC_10device_ptrIKyEEEESI_EEEEESK_NSA_INS5_IJNSE_INSF_IyEEEESM_EEEEEPS7_SP_SP_NSC_11hip_rocprim7__merge17predicate_wrapperIyyNSC_7greaterImEEEEEE10hipError_tPvRmT0_T1_T2_T3_T4_T5_mmT6_P12ihipStream_tbEUlT_E_NS1_11comp_targetILNS1_3genE4ELNS1_11target_archE910ELNS1_3gpuE8ELNS1_3repE0EEENS1_30default_config_static_selectorELNS0_4arch9wavefront6targetE0EEEvS10_, .Lfunc_end355-_ZN7rocprim17ROCPRIM_400000_NS6detail17trampoline_kernelINS0_14default_configENS1_21merge_config_selectorINS0_5tupleIJyyEEENS0_10empty_typeEEEZNS1_10merge_implIS3_NS0_12zip_iteratorINS5_IJN6thrust23THRUST_200600_302600_NS6detail15normal_iteratorINSC_10device_ptrIKyEEEESI_EEEEESK_NSA_INS5_IJNSE_INSF_IyEEEESM_EEEEEPS7_SP_SP_NSC_11hip_rocprim7__merge17predicate_wrapperIyyNSC_7greaterImEEEEEE10hipError_tPvRmT0_T1_T2_T3_T4_T5_mmT6_P12ihipStream_tbEUlT_E_NS1_11comp_targetILNS1_3genE4ELNS1_11target_archE910ELNS1_3gpuE8ELNS1_3repE0EEENS1_30default_config_static_selectorELNS0_4arch9wavefront6targetE0EEEvS10_
                                        ; -- End function
	.set _ZN7rocprim17ROCPRIM_400000_NS6detail17trampoline_kernelINS0_14default_configENS1_21merge_config_selectorINS0_5tupleIJyyEEENS0_10empty_typeEEEZNS1_10merge_implIS3_NS0_12zip_iteratorINS5_IJN6thrust23THRUST_200600_302600_NS6detail15normal_iteratorINSC_10device_ptrIKyEEEESI_EEEEESK_NSA_INS5_IJNSE_INSF_IyEEEESM_EEEEEPS7_SP_SP_NSC_11hip_rocprim7__merge17predicate_wrapperIyyNSC_7greaterImEEEEEE10hipError_tPvRmT0_T1_T2_T3_T4_T5_mmT6_P12ihipStream_tbEUlT_E_NS1_11comp_targetILNS1_3genE4ELNS1_11target_archE910ELNS1_3gpuE8ELNS1_3repE0EEENS1_30default_config_static_selectorELNS0_4arch9wavefront6targetE0EEEvS10_.num_vgpr, 0
	.set _ZN7rocprim17ROCPRIM_400000_NS6detail17trampoline_kernelINS0_14default_configENS1_21merge_config_selectorINS0_5tupleIJyyEEENS0_10empty_typeEEEZNS1_10merge_implIS3_NS0_12zip_iteratorINS5_IJN6thrust23THRUST_200600_302600_NS6detail15normal_iteratorINSC_10device_ptrIKyEEEESI_EEEEESK_NSA_INS5_IJNSE_INSF_IyEEEESM_EEEEEPS7_SP_SP_NSC_11hip_rocprim7__merge17predicate_wrapperIyyNSC_7greaterImEEEEEE10hipError_tPvRmT0_T1_T2_T3_T4_T5_mmT6_P12ihipStream_tbEUlT_E_NS1_11comp_targetILNS1_3genE4ELNS1_11target_archE910ELNS1_3gpuE8ELNS1_3repE0EEENS1_30default_config_static_selectorELNS0_4arch9wavefront6targetE0EEEvS10_.num_agpr, 0
	.set _ZN7rocprim17ROCPRIM_400000_NS6detail17trampoline_kernelINS0_14default_configENS1_21merge_config_selectorINS0_5tupleIJyyEEENS0_10empty_typeEEEZNS1_10merge_implIS3_NS0_12zip_iteratorINS5_IJN6thrust23THRUST_200600_302600_NS6detail15normal_iteratorINSC_10device_ptrIKyEEEESI_EEEEESK_NSA_INS5_IJNSE_INSF_IyEEEESM_EEEEEPS7_SP_SP_NSC_11hip_rocprim7__merge17predicate_wrapperIyyNSC_7greaterImEEEEEE10hipError_tPvRmT0_T1_T2_T3_T4_T5_mmT6_P12ihipStream_tbEUlT_E_NS1_11comp_targetILNS1_3genE4ELNS1_11target_archE910ELNS1_3gpuE8ELNS1_3repE0EEENS1_30default_config_static_selectorELNS0_4arch9wavefront6targetE0EEEvS10_.numbered_sgpr, 0
	.set _ZN7rocprim17ROCPRIM_400000_NS6detail17trampoline_kernelINS0_14default_configENS1_21merge_config_selectorINS0_5tupleIJyyEEENS0_10empty_typeEEEZNS1_10merge_implIS3_NS0_12zip_iteratorINS5_IJN6thrust23THRUST_200600_302600_NS6detail15normal_iteratorINSC_10device_ptrIKyEEEESI_EEEEESK_NSA_INS5_IJNSE_INSF_IyEEEESM_EEEEEPS7_SP_SP_NSC_11hip_rocprim7__merge17predicate_wrapperIyyNSC_7greaterImEEEEEE10hipError_tPvRmT0_T1_T2_T3_T4_T5_mmT6_P12ihipStream_tbEUlT_E_NS1_11comp_targetILNS1_3genE4ELNS1_11target_archE910ELNS1_3gpuE8ELNS1_3repE0EEENS1_30default_config_static_selectorELNS0_4arch9wavefront6targetE0EEEvS10_.num_named_barrier, 0
	.set _ZN7rocprim17ROCPRIM_400000_NS6detail17trampoline_kernelINS0_14default_configENS1_21merge_config_selectorINS0_5tupleIJyyEEENS0_10empty_typeEEEZNS1_10merge_implIS3_NS0_12zip_iteratorINS5_IJN6thrust23THRUST_200600_302600_NS6detail15normal_iteratorINSC_10device_ptrIKyEEEESI_EEEEESK_NSA_INS5_IJNSE_INSF_IyEEEESM_EEEEEPS7_SP_SP_NSC_11hip_rocprim7__merge17predicate_wrapperIyyNSC_7greaterImEEEEEE10hipError_tPvRmT0_T1_T2_T3_T4_T5_mmT6_P12ihipStream_tbEUlT_E_NS1_11comp_targetILNS1_3genE4ELNS1_11target_archE910ELNS1_3gpuE8ELNS1_3repE0EEENS1_30default_config_static_selectorELNS0_4arch9wavefront6targetE0EEEvS10_.private_seg_size, 0
	.set _ZN7rocprim17ROCPRIM_400000_NS6detail17trampoline_kernelINS0_14default_configENS1_21merge_config_selectorINS0_5tupleIJyyEEENS0_10empty_typeEEEZNS1_10merge_implIS3_NS0_12zip_iteratorINS5_IJN6thrust23THRUST_200600_302600_NS6detail15normal_iteratorINSC_10device_ptrIKyEEEESI_EEEEESK_NSA_INS5_IJNSE_INSF_IyEEEESM_EEEEEPS7_SP_SP_NSC_11hip_rocprim7__merge17predicate_wrapperIyyNSC_7greaterImEEEEEE10hipError_tPvRmT0_T1_T2_T3_T4_T5_mmT6_P12ihipStream_tbEUlT_E_NS1_11comp_targetILNS1_3genE4ELNS1_11target_archE910ELNS1_3gpuE8ELNS1_3repE0EEENS1_30default_config_static_selectorELNS0_4arch9wavefront6targetE0EEEvS10_.uses_vcc, 0
	.set _ZN7rocprim17ROCPRIM_400000_NS6detail17trampoline_kernelINS0_14default_configENS1_21merge_config_selectorINS0_5tupleIJyyEEENS0_10empty_typeEEEZNS1_10merge_implIS3_NS0_12zip_iteratorINS5_IJN6thrust23THRUST_200600_302600_NS6detail15normal_iteratorINSC_10device_ptrIKyEEEESI_EEEEESK_NSA_INS5_IJNSE_INSF_IyEEEESM_EEEEEPS7_SP_SP_NSC_11hip_rocprim7__merge17predicate_wrapperIyyNSC_7greaterImEEEEEE10hipError_tPvRmT0_T1_T2_T3_T4_T5_mmT6_P12ihipStream_tbEUlT_E_NS1_11comp_targetILNS1_3genE4ELNS1_11target_archE910ELNS1_3gpuE8ELNS1_3repE0EEENS1_30default_config_static_selectorELNS0_4arch9wavefront6targetE0EEEvS10_.uses_flat_scratch, 0
	.set _ZN7rocprim17ROCPRIM_400000_NS6detail17trampoline_kernelINS0_14default_configENS1_21merge_config_selectorINS0_5tupleIJyyEEENS0_10empty_typeEEEZNS1_10merge_implIS3_NS0_12zip_iteratorINS5_IJN6thrust23THRUST_200600_302600_NS6detail15normal_iteratorINSC_10device_ptrIKyEEEESI_EEEEESK_NSA_INS5_IJNSE_INSF_IyEEEESM_EEEEEPS7_SP_SP_NSC_11hip_rocprim7__merge17predicate_wrapperIyyNSC_7greaterImEEEEEE10hipError_tPvRmT0_T1_T2_T3_T4_T5_mmT6_P12ihipStream_tbEUlT_E_NS1_11comp_targetILNS1_3genE4ELNS1_11target_archE910ELNS1_3gpuE8ELNS1_3repE0EEENS1_30default_config_static_selectorELNS0_4arch9wavefront6targetE0EEEvS10_.has_dyn_sized_stack, 0
	.set _ZN7rocprim17ROCPRIM_400000_NS6detail17trampoline_kernelINS0_14default_configENS1_21merge_config_selectorINS0_5tupleIJyyEEENS0_10empty_typeEEEZNS1_10merge_implIS3_NS0_12zip_iteratorINS5_IJN6thrust23THRUST_200600_302600_NS6detail15normal_iteratorINSC_10device_ptrIKyEEEESI_EEEEESK_NSA_INS5_IJNSE_INSF_IyEEEESM_EEEEEPS7_SP_SP_NSC_11hip_rocprim7__merge17predicate_wrapperIyyNSC_7greaterImEEEEEE10hipError_tPvRmT0_T1_T2_T3_T4_T5_mmT6_P12ihipStream_tbEUlT_E_NS1_11comp_targetILNS1_3genE4ELNS1_11target_archE910ELNS1_3gpuE8ELNS1_3repE0EEENS1_30default_config_static_selectorELNS0_4arch9wavefront6targetE0EEEvS10_.has_recursion, 0
	.set _ZN7rocprim17ROCPRIM_400000_NS6detail17trampoline_kernelINS0_14default_configENS1_21merge_config_selectorINS0_5tupleIJyyEEENS0_10empty_typeEEEZNS1_10merge_implIS3_NS0_12zip_iteratorINS5_IJN6thrust23THRUST_200600_302600_NS6detail15normal_iteratorINSC_10device_ptrIKyEEEESI_EEEEESK_NSA_INS5_IJNSE_INSF_IyEEEESM_EEEEEPS7_SP_SP_NSC_11hip_rocprim7__merge17predicate_wrapperIyyNSC_7greaterImEEEEEE10hipError_tPvRmT0_T1_T2_T3_T4_T5_mmT6_P12ihipStream_tbEUlT_E_NS1_11comp_targetILNS1_3genE4ELNS1_11target_archE910ELNS1_3gpuE8ELNS1_3repE0EEENS1_30default_config_static_selectorELNS0_4arch9wavefront6targetE0EEEvS10_.has_indirect_call, 0
	.section	.AMDGPU.csdata,"",@progbits
; Kernel info:
; codeLenInByte = 0
; TotalNumSgprs: 0
; NumVgprs: 0
; ScratchSize: 0
; MemoryBound: 0
; FloatMode: 240
; IeeeMode: 1
; LDSByteSize: 0 bytes/workgroup (compile time only)
; SGPRBlocks: 0
; VGPRBlocks: 0
; NumSGPRsForWavesPerEU: 1
; NumVGPRsForWavesPerEU: 1
; Occupancy: 16
; WaveLimiterHint : 0
; COMPUTE_PGM_RSRC2:SCRATCH_EN: 0
; COMPUTE_PGM_RSRC2:USER_SGPR: 6
; COMPUTE_PGM_RSRC2:TRAP_HANDLER: 0
; COMPUTE_PGM_RSRC2:TGID_X_EN: 1
; COMPUTE_PGM_RSRC2:TGID_Y_EN: 0
; COMPUTE_PGM_RSRC2:TGID_Z_EN: 0
; COMPUTE_PGM_RSRC2:TIDIG_COMP_CNT: 0
	.section	.text._ZN7rocprim17ROCPRIM_400000_NS6detail17trampoline_kernelINS0_14default_configENS1_21merge_config_selectorINS0_5tupleIJyyEEENS0_10empty_typeEEEZNS1_10merge_implIS3_NS0_12zip_iteratorINS5_IJN6thrust23THRUST_200600_302600_NS6detail15normal_iteratorINSC_10device_ptrIKyEEEESI_EEEEESK_NSA_INS5_IJNSE_INSF_IyEEEESM_EEEEEPS7_SP_SP_NSC_11hip_rocprim7__merge17predicate_wrapperIyyNSC_7greaterImEEEEEE10hipError_tPvRmT0_T1_T2_T3_T4_T5_mmT6_P12ihipStream_tbEUlT_E_NS1_11comp_targetILNS1_3genE3ELNS1_11target_archE908ELNS1_3gpuE7ELNS1_3repE0EEENS1_30default_config_static_selectorELNS0_4arch9wavefront6targetE0EEEvS10_,"axG",@progbits,_ZN7rocprim17ROCPRIM_400000_NS6detail17trampoline_kernelINS0_14default_configENS1_21merge_config_selectorINS0_5tupleIJyyEEENS0_10empty_typeEEEZNS1_10merge_implIS3_NS0_12zip_iteratorINS5_IJN6thrust23THRUST_200600_302600_NS6detail15normal_iteratorINSC_10device_ptrIKyEEEESI_EEEEESK_NSA_INS5_IJNSE_INSF_IyEEEESM_EEEEEPS7_SP_SP_NSC_11hip_rocprim7__merge17predicate_wrapperIyyNSC_7greaterImEEEEEE10hipError_tPvRmT0_T1_T2_T3_T4_T5_mmT6_P12ihipStream_tbEUlT_E_NS1_11comp_targetILNS1_3genE3ELNS1_11target_archE908ELNS1_3gpuE7ELNS1_3repE0EEENS1_30default_config_static_selectorELNS0_4arch9wavefront6targetE0EEEvS10_,comdat
	.protected	_ZN7rocprim17ROCPRIM_400000_NS6detail17trampoline_kernelINS0_14default_configENS1_21merge_config_selectorINS0_5tupleIJyyEEENS0_10empty_typeEEEZNS1_10merge_implIS3_NS0_12zip_iteratorINS5_IJN6thrust23THRUST_200600_302600_NS6detail15normal_iteratorINSC_10device_ptrIKyEEEESI_EEEEESK_NSA_INS5_IJNSE_INSF_IyEEEESM_EEEEEPS7_SP_SP_NSC_11hip_rocprim7__merge17predicate_wrapperIyyNSC_7greaterImEEEEEE10hipError_tPvRmT0_T1_T2_T3_T4_T5_mmT6_P12ihipStream_tbEUlT_E_NS1_11comp_targetILNS1_3genE3ELNS1_11target_archE908ELNS1_3gpuE7ELNS1_3repE0EEENS1_30default_config_static_selectorELNS0_4arch9wavefront6targetE0EEEvS10_ ; -- Begin function _ZN7rocprim17ROCPRIM_400000_NS6detail17trampoline_kernelINS0_14default_configENS1_21merge_config_selectorINS0_5tupleIJyyEEENS0_10empty_typeEEEZNS1_10merge_implIS3_NS0_12zip_iteratorINS5_IJN6thrust23THRUST_200600_302600_NS6detail15normal_iteratorINSC_10device_ptrIKyEEEESI_EEEEESK_NSA_INS5_IJNSE_INSF_IyEEEESM_EEEEEPS7_SP_SP_NSC_11hip_rocprim7__merge17predicate_wrapperIyyNSC_7greaterImEEEEEE10hipError_tPvRmT0_T1_T2_T3_T4_T5_mmT6_P12ihipStream_tbEUlT_E_NS1_11comp_targetILNS1_3genE3ELNS1_11target_archE908ELNS1_3gpuE7ELNS1_3repE0EEENS1_30default_config_static_selectorELNS0_4arch9wavefront6targetE0EEEvS10_
	.globl	_ZN7rocprim17ROCPRIM_400000_NS6detail17trampoline_kernelINS0_14default_configENS1_21merge_config_selectorINS0_5tupleIJyyEEENS0_10empty_typeEEEZNS1_10merge_implIS3_NS0_12zip_iteratorINS5_IJN6thrust23THRUST_200600_302600_NS6detail15normal_iteratorINSC_10device_ptrIKyEEEESI_EEEEESK_NSA_INS5_IJNSE_INSF_IyEEEESM_EEEEEPS7_SP_SP_NSC_11hip_rocprim7__merge17predicate_wrapperIyyNSC_7greaterImEEEEEE10hipError_tPvRmT0_T1_T2_T3_T4_T5_mmT6_P12ihipStream_tbEUlT_E_NS1_11comp_targetILNS1_3genE3ELNS1_11target_archE908ELNS1_3gpuE7ELNS1_3repE0EEENS1_30default_config_static_selectorELNS0_4arch9wavefront6targetE0EEEvS10_
	.p2align	8
	.type	_ZN7rocprim17ROCPRIM_400000_NS6detail17trampoline_kernelINS0_14default_configENS1_21merge_config_selectorINS0_5tupleIJyyEEENS0_10empty_typeEEEZNS1_10merge_implIS3_NS0_12zip_iteratorINS5_IJN6thrust23THRUST_200600_302600_NS6detail15normal_iteratorINSC_10device_ptrIKyEEEESI_EEEEESK_NSA_INS5_IJNSE_INSF_IyEEEESM_EEEEEPS7_SP_SP_NSC_11hip_rocprim7__merge17predicate_wrapperIyyNSC_7greaterImEEEEEE10hipError_tPvRmT0_T1_T2_T3_T4_T5_mmT6_P12ihipStream_tbEUlT_E_NS1_11comp_targetILNS1_3genE3ELNS1_11target_archE908ELNS1_3gpuE7ELNS1_3repE0EEENS1_30default_config_static_selectorELNS0_4arch9wavefront6targetE0EEEvS10_,@function
_ZN7rocprim17ROCPRIM_400000_NS6detail17trampoline_kernelINS0_14default_configENS1_21merge_config_selectorINS0_5tupleIJyyEEENS0_10empty_typeEEEZNS1_10merge_implIS3_NS0_12zip_iteratorINS5_IJN6thrust23THRUST_200600_302600_NS6detail15normal_iteratorINSC_10device_ptrIKyEEEESI_EEEEESK_NSA_INS5_IJNSE_INSF_IyEEEESM_EEEEEPS7_SP_SP_NSC_11hip_rocprim7__merge17predicate_wrapperIyyNSC_7greaterImEEEEEE10hipError_tPvRmT0_T1_T2_T3_T4_T5_mmT6_P12ihipStream_tbEUlT_E_NS1_11comp_targetILNS1_3genE3ELNS1_11target_archE908ELNS1_3gpuE7ELNS1_3repE0EEENS1_30default_config_static_selectorELNS0_4arch9wavefront6targetE0EEEvS10_: ; @_ZN7rocprim17ROCPRIM_400000_NS6detail17trampoline_kernelINS0_14default_configENS1_21merge_config_selectorINS0_5tupleIJyyEEENS0_10empty_typeEEEZNS1_10merge_implIS3_NS0_12zip_iteratorINS5_IJN6thrust23THRUST_200600_302600_NS6detail15normal_iteratorINSC_10device_ptrIKyEEEESI_EEEEESK_NSA_INS5_IJNSE_INSF_IyEEEESM_EEEEEPS7_SP_SP_NSC_11hip_rocprim7__merge17predicate_wrapperIyyNSC_7greaterImEEEEEE10hipError_tPvRmT0_T1_T2_T3_T4_T5_mmT6_P12ihipStream_tbEUlT_E_NS1_11comp_targetILNS1_3genE3ELNS1_11target_archE908ELNS1_3gpuE7ELNS1_3repE0EEENS1_30default_config_static_selectorELNS0_4arch9wavefront6targetE0EEEvS10_
; %bb.0:
	.section	.rodata,"a",@progbits
	.p2align	6, 0x0
	.amdhsa_kernel _ZN7rocprim17ROCPRIM_400000_NS6detail17trampoline_kernelINS0_14default_configENS1_21merge_config_selectorINS0_5tupleIJyyEEENS0_10empty_typeEEEZNS1_10merge_implIS3_NS0_12zip_iteratorINS5_IJN6thrust23THRUST_200600_302600_NS6detail15normal_iteratorINSC_10device_ptrIKyEEEESI_EEEEESK_NSA_INS5_IJNSE_INSF_IyEEEESM_EEEEEPS7_SP_SP_NSC_11hip_rocprim7__merge17predicate_wrapperIyyNSC_7greaterImEEEEEE10hipError_tPvRmT0_T1_T2_T3_T4_T5_mmT6_P12ihipStream_tbEUlT_E_NS1_11comp_targetILNS1_3genE3ELNS1_11target_archE908ELNS1_3gpuE7ELNS1_3repE0EEENS1_30default_config_static_selectorELNS0_4arch9wavefront6targetE0EEEvS10_
		.amdhsa_group_segment_fixed_size 0
		.amdhsa_private_segment_fixed_size 0
		.amdhsa_kernarg_size 64
		.amdhsa_user_sgpr_count 6
		.amdhsa_user_sgpr_private_segment_buffer 1
		.amdhsa_user_sgpr_dispatch_ptr 0
		.amdhsa_user_sgpr_queue_ptr 0
		.amdhsa_user_sgpr_kernarg_segment_ptr 1
		.amdhsa_user_sgpr_dispatch_id 0
		.amdhsa_user_sgpr_flat_scratch_init 0
		.amdhsa_user_sgpr_private_segment_size 0
		.amdhsa_wavefront_size32 1
		.amdhsa_uses_dynamic_stack 0
		.amdhsa_system_sgpr_private_segment_wavefront_offset 0
		.amdhsa_system_sgpr_workgroup_id_x 1
		.amdhsa_system_sgpr_workgroup_id_y 0
		.amdhsa_system_sgpr_workgroup_id_z 0
		.amdhsa_system_sgpr_workgroup_info 0
		.amdhsa_system_vgpr_workitem_id 0
		.amdhsa_next_free_vgpr 1
		.amdhsa_next_free_sgpr 1
		.amdhsa_reserve_vcc 0
		.amdhsa_reserve_flat_scratch 0
		.amdhsa_float_round_mode_32 0
		.amdhsa_float_round_mode_16_64 0
		.amdhsa_float_denorm_mode_32 3
		.amdhsa_float_denorm_mode_16_64 3
		.amdhsa_dx10_clamp 1
		.amdhsa_ieee_mode 1
		.amdhsa_fp16_overflow 0
		.amdhsa_workgroup_processor_mode 1
		.amdhsa_memory_ordered 1
		.amdhsa_forward_progress 1
		.amdhsa_shared_vgpr_count 0
		.amdhsa_exception_fp_ieee_invalid_op 0
		.amdhsa_exception_fp_denorm_src 0
		.amdhsa_exception_fp_ieee_div_zero 0
		.amdhsa_exception_fp_ieee_overflow 0
		.amdhsa_exception_fp_ieee_underflow 0
		.amdhsa_exception_fp_ieee_inexact 0
		.amdhsa_exception_int_div_zero 0
	.end_amdhsa_kernel
	.section	.text._ZN7rocprim17ROCPRIM_400000_NS6detail17trampoline_kernelINS0_14default_configENS1_21merge_config_selectorINS0_5tupleIJyyEEENS0_10empty_typeEEEZNS1_10merge_implIS3_NS0_12zip_iteratorINS5_IJN6thrust23THRUST_200600_302600_NS6detail15normal_iteratorINSC_10device_ptrIKyEEEESI_EEEEESK_NSA_INS5_IJNSE_INSF_IyEEEESM_EEEEEPS7_SP_SP_NSC_11hip_rocprim7__merge17predicate_wrapperIyyNSC_7greaterImEEEEEE10hipError_tPvRmT0_T1_T2_T3_T4_T5_mmT6_P12ihipStream_tbEUlT_E_NS1_11comp_targetILNS1_3genE3ELNS1_11target_archE908ELNS1_3gpuE7ELNS1_3repE0EEENS1_30default_config_static_selectorELNS0_4arch9wavefront6targetE0EEEvS10_,"axG",@progbits,_ZN7rocprim17ROCPRIM_400000_NS6detail17trampoline_kernelINS0_14default_configENS1_21merge_config_selectorINS0_5tupleIJyyEEENS0_10empty_typeEEEZNS1_10merge_implIS3_NS0_12zip_iteratorINS5_IJN6thrust23THRUST_200600_302600_NS6detail15normal_iteratorINSC_10device_ptrIKyEEEESI_EEEEESK_NSA_INS5_IJNSE_INSF_IyEEEESM_EEEEEPS7_SP_SP_NSC_11hip_rocprim7__merge17predicate_wrapperIyyNSC_7greaterImEEEEEE10hipError_tPvRmT0_T1_T2_T3_T4_T5_mmT6_P12ihipStream_tbEUlT_E_NS1_11comp_targetILNS1_3genE3ELNS1_11target_archE908ELNS1_3gpuE7ELNS1_3repE0EEENS1_30default_config_static_selectorELNS0_4arch9wavefront6targetE0EEEvS10_,comdat
.Lfunc_end356:
	.size	_ZN7rocprim17ROCPRIM_400000_NS6detail17trampoline_kernelINS0_14default_configENS1_21merge_config_selectorINS0_5tupleIJyyEEENS0_10empty_typeEEEZNS1_10merge_implIS3_NS0_12zip_iteratorINS5_IJN6thrust23THRUST_200600_302600_NS6detail15normal_iteratorINSC_10device_ptrIKyEEEESI_EEEEESK_NSA_INS5_IJNSE_INSF_IyEEEESM_EEEEEPS7_SP_SP_NSC_11hip_rocprim7__merge17predicate_wrapperIyyNSC_7greaterImEEEEEE10hipError_tPvRmT0_T1_T2_T3_T4_T5_mmT6_P12ihipStream_tbEUlT_E_NS1_11comp_targetILNS1_3genE3ELNS1_11target_archE908ELNS1_3gpuE7ELNS1_3repE0EEENS1_30default_config_static_selectorELNS0_4arch9wavefront6targetE0EEEvS10_, .Lfunc_end356-_ZN7rocprim17ROCPRIM_400000_NS6detail17trampoline_kernelINS0_14default_configENS1_21merge_config_selectorINS0_5tupleIJyyEEENS0_10empty_typeEEEZNS1_10merge_implIS3_NS0_12zip_iteratorINS5_IJN6thrust23THRUST_200600_302600_NS6detail15normal_iteratorINSC_10device_ptrIKyEEEESI_EEEEESK_NSA_INS5_IJNSE_INSF_IyEEEESM_EEEEEPS7_SP_SP_NSC_11hip_rocprim7__merge17predicate_wrapperIyyNSC_7greaterImEEEEEE10hipError_tPvRmT0_T1_T2_T3_T4_T5_mmT6_P12ihipStream_tbEUlT_E_NS1_11comp_targetILNS1_3genE3ELNS1_11target_archE908ELNS1_3gpuE7ELNS1_3repE0EEENS1_30default_config_static_selectorELNS0_4arch9wavefront6targetE0EEEvS10_
                                        ; -- End function
	.set _ZN7rocprim17ROCPRIM_400000_NS6detail17trampoline_kernelINS0_14default_configENS1_21merge_config_selectorINS0_5tupleIJyyEEENS0_10empty_typeEEEZNS1_10merge_implIS3_NS0_12zip_iteratorINS5_IJN6thrust23THRUST_200600_302600_NS6detail15normal_iteratorINSC_10device_ptrIKyEEEESI_EEEEESK_NSA_INS5_IJNSE_INSF_IyEEEESM_EEEEEPS7_SP_SP_NSC_11hip_rocprim7__merge17predicate_wrapperIyyNSC_7greaterImEEEEEE10hipError_tPvRmT0_T1_T2_T3_T4_T5_mmT6_P12ihipStream_tbEUlT_E_NS1_11comp_targetILNS1_3genE3ELNS1_11target_archE908ELNS1_3gpuE7ELNS1_3repE0EEENS1_30default_config_static_selectorELNS0_4arch9wavefront6targetE0EEEvS10_.num_vgpr, 0
	.set _ZN7rocprim17ROCPRIM_400000_NS6detail17trampoline_kernelINS0_14default_configENS1_21merge_config_selectorINS0_5tupleIJyyEEENS0_10empty_typeEEEZNS1_10merge_implIS3_NS0_12zip_iteratorINS5_IJN6thrust23THRUST_200600_302600_NS6detail15normal_iteratorINSC_10device_ptrIKyEEEESI_EEEEESK_NSA_INS5_IJNSE_INSF_IyEEEESM_EEEEEPS7_SP_SP_NSC_11hip_rocprim7__merge17predicate_wrapperIyyNSC_7greaterImEEEEEE10hipError_tPvRmT0_T1_T2_T3_T4_T5_mmT6_P12ihipStream_tbEUlT_E_NS1_11comp_targetILNS1_3genE3ELNS1_11target_archE908ELNS1_3gpuE7ELNS1_3repE0EEENS1_30default_config_static_selectorELNS0_4arch9wavefront6targetE0EEEvS10_.num_agpr, 0
	.set _ZN7rocprim17ROCPRIM_400000_NS6detail17trampoline_kernelINS0_14default_configENS1_21merge_config_selectorINS0_5tupleIJyyEEENS0_10empty_typeEEEZNS1_10merge_implIS3_NS0_12zip_iteratorINS5_IJN6thrust23THRUST_200600_302600_NS6detail15normal_iteratorINSC_10device_ptrIKyEEEESI_EEEEESK_NSA_INS5_IJNSE_INSF_IyEEEESM_EEEEEPS7_SP_SP_NSC_11hip_rocprim7__merge17predicate_wrapperIyyNSC_7greaterImEEEEEE10hipError_tPvRmT0_T1_T2_T3_T4_T5_mmT6_P12ihipStream_tbEUlT_E_NS1_11comp_targetILNS1_3genE3ELNS1_11target_archE908ELNS1_3gpuE7ELNS1_3repE0EEENS1_30default_config_static_selectorELNS0_4arch9wavefront6targetE0EEEvS10_.numbered_sgpr, 0
	.set _ZN7rocprim17ROCPRIM_400000_NS6detail17trampoline_kernelINS0_14default_configENS1_21merge_config_selectorINS0_5tupleIJyyEEENS0_10empty_typeEEEZNS1_10merge_implIS3_NS0_12zip_iteratorINS5_IJN6thrust23THRUST_200600_302600_NS6detail15normal_iteratorINSC_10device_ptrIKyEEEESI_EEEEESK_NSA_INS5_IJNSE_INSF_IyEEEESM_EEEEEPS7_SP_SP_NSC_11hip_rocprim7__merge17predicate_wrapperIyyNSC_7greaterImEEEEEE10hipError_tPvRmT0_T1_T2_T3_T4_T5_mmT6_P12ihipStream_tbEUlT_E_NS1_11comp_targetILNS1_3genE3ELNS1_11target_archE908ELNS1_3gpuE7ELNS1_3repE0EEENS1_30default_config_static_selectorELNS0_4arch9wavefront6targetE0EEEvS10_.num_named_barrier, 0
	.set _ZN7rocprim17ROCPRIM_400000_NS6detail17trampoline_kernelINS0_14default_configENS1_21merge_config_selectorINS0_5tupleIJyyEEENS0_10empty_typeEEEZNS1_10merge_implIS3_NS0_12zip_iteratorINS5_IJN6thrust23THRUST_200600_302600_NS6detail15normal_iteratorINSC_10device_ptrIKyEEEESI_EEEEESK_NSA_INS5_IJNSE_INSF_IyEEEESM_EEEEEPS7_SP_SP_NSC_11hip_rocprim7__merge17predicate_wrapperIyyNSC_7greaterImEEEEEE10hipError_tPvRmT0_T1_T2_T3_T4_T5_mmT6_P12ihipStream_tbEUlT_E_NS1_11comp_targetILNS1_3genE3ELNS1_11target_archE908ELNS1_3gpuE7ELNS1_3repE0EEENS1_30default_config_static_selectorELNS0_4arch9wavefront6targetE0EEEvS10_.private_seg_size, 0
	.set _ZN7rocprim17ROCPRIM_400000_NS6detail17trampoline_kernelINS0_14default_configENS1_21merge_config_selectorINS0_5tupleIJyyEEENS0_10empty_typeEEEZNS1_10merge_implIS3_NS0_12zip_iteratorINS5_IJN6thrust23THRUST_200600_302600_NS6detail15normal_iteratorINSC_10device_ptrIKyEEEESI_EEEEESK_NSA_INS5_IJNSE_INSF_IyEEEESM_EEEEEPS7_SP_SP_NSC_11hip_rocprim7__merge17predicate_wrapperIyyNSC_7greaterImEEEEEE10hipError_tPvRmT0_T1_T2_T3_T4_T5_mmT6_P12ihipStream_tbEUlT_E_NS1_11comp_targetILNS1_3genE3ELNS1_11target_archE908ELNS1_3gpuE7ELNS1_3repE0EEENS1_30default_config_static_selectorELNS0_4arch9wavefront6targetE0EEEvS10_.uses_vcc, 0
	.set _ZN7rocprim17ROCPRIM_400000_NS6detail17trampoline_kernelINS0_14default_configENS1_21merge_config_selectorINS0_5tupleIJyyEEENS0_10empty_typeEEEZNS1_10merge_implIS3_NS0_12zip_iteratorINS5_IJN6thrust23THRUST_200600_302600_NS6detail15normal_iteratorINSC_10device_ptrIKyEEEESI_EEEEESK_NSA_INS5_IJNSE_INSF_IyEEEESM_EEEEEPS7_SP_SP_NSC_11hip_rocprim7__merge17predicate_wrapperIyyNSC_7greaterImEEEEEE10hipError_tPvRmT0_T1_T2_T3_T4_T5_mmT6_P12ihipStream_tbEUlT_E_NS1_11comp_targetILNS1_3genE3ELNS1_11target_archE908ELNS1_3gpuE7ELNS1_3repE0EEENS1_30default_config_static_selectorELNS0_4arch9wavefront6targetE0EEEvS10_.uses_flat_scratch, 0
	.set _ZN7rocprim17ROCPRIM_400000_NS6detail17trampoline_kernelINS0_14default_configENS1_21merge_config_selectorINS0_5tupleIJyyEEENS0_10empty_typeEEEZNS1_10merge_implIS3_NS0_12zip_iteratorINS5_IJN6thrust23THRUST_200600_302600_NS6detail15normal_iteratorINSC_10device_ptrIKyEEEESI_EEEEESK_NSA_INS5_IJNSE_INSF_IyEEEESM_EEEEEPS7_SP_SP_NSC_11hip_rocprim7__merge17predicate_wrapperIyyNSC_7greaterImEEEEEE10hipError_tPvRmT0_T1_T2_T3_T4_T5_mmT6_P12ihipStream_tbEUlT_E_NS1_11comp_targetILNS1_3genE3ELNS1_11target_archE908ELNS1_3gpuE7ELNS1_3repE0EEENS1_30default_config_static_selectorELNS0_4arch9wavefront6targetE0EEEvS10_.has_dyn_sized_stack, 0
	.set _ZN7rocprim17ROCPRIM_400000_NS6detail17trampoline_kernelINS0_14default_configENS1_21merge_config_selectorINS0_5tupleIJyyEEENS0_10empty_typeEEEZNS1_10merge_implIS3_NS0_12zip_iteratorINS5_IJN6thrust23THRUST_200600_302600_NS6detail15normal_iteratorINSC_10device_ptrIKyEEEESI_EEEEESK_NSA_INS5_IJNSE_INSF_IyEEEESM_EEEEEPS7_SP_SP_NSC_11hip_rocprim7__merge17predicate_wrapperIyyNSC_7greaterImEEEEEE10hipError_tPvRmT0_T1_T2_T3_T4_T5_mmT6_P12ihipStream_tbEUlT_E_NS1_11comp_targetILNS1_3genE3ELNS1_11target_archE908ELNS1_3gpuE7ELNS1_3repE0EEENS1_30default_config_static_selectorELNS0_4arch9wavefront6targetE0EEEvS10_.has_recursion, 0
	.set _ZN7rocprim17ROCPRIM_400000_NS6detail17trampoline_kernelINS0_14default_configENS1_21merge_config_selectorINS0_5tupleIJyyEEENS0_10empty_typeEEEZNS1_10merge_implIS3_NS0_12zip_iteratorINS5_IJN6thrust23THRUST_200600_302600_NS6detail15normal_iteratorINSC_10device_ptrIKyEEEESI_EEEEESK_NSA_INS5_IJNSE_INSF_IyEEEESM_EEEEEPS7_SP_SP_NSC_11hip_rocprim7__merge17predicate_wrapperIyyNSC_7greaterImEEEEEE10hipError_tPvRmT0_T1_T2_T3_T4_T5_mmT6_P12ihipStream_tbEUlT_E_NS1_11comp_targetILNS1_3genE3ELNS1_11target_archE908ELNS1_3gpuE7ELNS1_3repE0EEENS1_30default_config_static_selectorELNS0_4arch9wavefront6targetE0EEEvS10_.has_indirect_call, 0
	.section	.AMDGPU.csdata,"",@progbits
; Kernel info:
; codeLenInByte = 0
; TotalNumSgprs: 0
; NumVgprs: 0
; ScratchSize: 0
; MemoryBound: 0
; FloatMode: 240
; IeeeMode: 1
; LDSByteSize: 0 bytes/workgroup (compile time only)
; SGPRBlocks: 0
; VGPRBlocks: 0
; NumSGPRsForWavesPerEU: 1
; NumVGPRsForWavesPerEU: 1
; Occupancy: 16
; WaveLimiterHint : 0
; COMPUTE_PGM_RSRC2:SCRATCH_EN: 0
; COMPUTE_PGM_RSRC2:USER_SGPR: 6
; COMPUTE_PGM_RSRC2:TRAP_HANDLER: 0
; COMPUTE_PGM_RSRC2:TGID_X_EN: 1
; COMPUTE_PGM_RSRC2:TGID_Y_EN: 0
; COMPUTE_PGM_RSRC2:TGID_Z_EN: 0
; COMPUTE_PGM_RSRC2:TIDIG_COMP_CNT: 0
	.section	.text._ZN7rocprim17ROCPRIM_400000_NS6detail17trampoline_kernelINS0_14default_configENS1_21merge_config_selectorINS0_5tupleIJyyEEENS0_10empty_typeEEEZNS1_10merge_implIS3_NS0_12zip_iteratorINS5_IJN6thrust23THRUST_200600_302600_NS6detail15normal_iteratorINSC_10device_ptrIKyEEEESI_EEEEESK_NSA_INS5_IJNSE_INSF_IyEEEESM_EEEEEPS7_SP_SP_NSC_11hip_rocprim7__merge17predicate_wrapperIyyNSC_7greaterImEEEEEE10hipError_tPvRmT0_T1_T2_T3_T4_T5_mmT6_P12ihipStream_tbEUlT_E_NS1_11comp_targetILNS1_3genE2ELNS1_11target_archE906ELNS1_3gpuE6ELNS1_3repE0EEENS1_30default_config_static_selectorELNS0_4arch9wavefront6targetE0EEEvS10_,"axG",@progbits,_ZN7rocprim17ROCPRIM_400000_NS6detail17trampoline_kernelINS0_14default_configENS1_21merge_config_selectorINS0_5tupleIJyyEEENS0_10empty_typeEEEZNS1_10merge_implIS3_NS0_12zip_iteratorINS5_IJN6thrust23THRUST_200600_302600_NS6detail15normal_iteratorINSC_10device_ptrIKyEEEESI_EEEEESK_NSA_INS5_IJNSE_INSF_IyEEEESM_EEEEEPS7_SP_SP_NSC_11hip_rocprim7__merge17predicate_wrapperIyyNSC_7greaterImEEEEEE10hipError_tPvRmT0_T1_T2_T3_T4_T5_mmT6_P12ihipStream_tbEUlT_E_NS1_11comp_targetILNS1_3genE2ELNS1_11target_archE906ELNS1_3gpuE6ELNS1_3repE0EEENS1_30default_config_static_selectorELNS0_4arch9wavefront6targetE0EEEvS10_,comdat
	.protected	_ZN7rocprim17ROCPRIM_400000_NS6detail17trampoline_kernelINS0_14default_configENS1_21merge_config_selectorINS0_5tupleIJyyEEENS0_10empty_typeEEEZNS1_10merge_implIS3_NS0_12zip_iteratorINS5_IJN6thrust23THRUST_200600_302600_NS6detail15normal_iteratorINSC_10device_ptrIKyEEEESI_EEEEESK_NSA_INS5_IJNSE_INSF_IyEEEESM_EEEEEPS7_SP_SP_NSC_11hip_rocprim7__merge17predicate_wrapperIyyNSC_7greaterImEEEEEE10hipError_tPvRmT0_T1_T2_T3_T4_T5_mmT6_P12ihipStream_tbEUlT_E_NS1_11comp_targetILNS1_3genE2ELNS1_11target_archE906ELNS1_3gpuE6ELNS1_3repE0EEENS1_30default_config_static_selectorELNS0_4arch9wavefront6targetE0EEEvS10_ ; -- Begin function _ZN7rocprim17ROCPRIM_400000_NS6detail17trampoline_kernelINS0_14default_configENS1_21merge_config_selectorINS0_5tupleIJyyEEENS0_10empty_typeEEEZNS1_10merge_implIS3_NS0_12zip_iteratorINS5_IJN6thrust23THRUST_200600_302600_NS6detail15normal_iteratorINSC_10device_ptrIKyEEEESI_EEEEESK_NSA_INS5_IJNSE_INSF_IyEEEESM_EEEEEPS7_SP_SP_NSC_11hip_rocprim7__merge17predicate_wrapperIyyNSC_7greaterImEEEEEE10hipError_tPvRmT0_T1_T2_T3_T4_T5_mmT6_P12ihipStream_tbEUlT_E_NS1_11comp_targetILNS1_3genE2ELNS1_11target_archE906ELNS1_3gpuE6ELNS1_3repE0EEENS1_30default_config_static_selectorELNS0_4arch9wavefront6targetE0EEEvS10_
	.globl	_ZN7rocprim17ROCPRIM_400000_NS6detail17trampoline_kernelINS0_14default_configENS1_21merge_config_selectorINS0_5tupleIJyyEEENS0_10empty_typeEEEZNS1_10merge_implIS3_NS0_12zip_iteratorINS5_IJN6thrust23THRUST_200600_302600_NS6detail15normal_iteratorINSC_10device_ptrIKyEEEESI_EEEEESK_NSA_INS5_IJNSE_INSF_IyEEEESM_EEEEEPS7_SP_SP_NSC_11hip_rocprim7__merge17predicate_wrapperIyyNSC_7greaterImEEEEEE10hipError_tPvRmT0_T1_T2_T3_T4_T5_mmT6_P12ihipStream_tbEUlT_E_NS1_11comp_targetILNS1_3genE2ELNS1_11target_archE906ELNS1_3gpuE6ELNS1_3repE0EEENS1_30default_config_static_selectorELNS0_4arch9wavefront6targetE0EEEvS10_
	.p2align	8
	.type	_ZN7rocprim17ROCPRIM_400000_NS6detail17trampoline_kernelINS0_14default_configENS1_21merge_config_selectorINS0_5tupleIJyyEEENS0_10empty_typeEEEZNS1_10merge_implIS3_NS0_12zip_iteratorINS5_IJN6thrust23THRUST_200600_302600_NS6detail15normal_iteratorINSC_10device_ptrIKyEEEESI_EEEEESK_NSA_INS5_IJNSE_INSF_IyEEEESM_EEEEEPS7_SP_SP_NSC_11hip_rocprim7__merge17predicate_wrapperIyyNSC_7greaterImEEEEEE10hipError_tPvRmT0_T1_T2_T3_T4_T5_mmT6_P12ihipStream_tbEUlT_E_NS1_11comp_targetILNS1_3genE2ELNS1_11target_archE906ELNS1_3gpuE6ELNS1_3repE0EEENS1_30default_config_static_selectorELNS0_4arch9wavefront6targetE0EEEvS10_,@function
_ZN7rocprim17ROCPRIM_400000_NS6detail17trampoline_kernelINS0_14default_configENS1_21merge_config_selectorINS0_5tupleIJyyEEENS0_10empty_typeEEEZNS1_10merge_implIS3_NS0_12zip_iteratorINS5_IJN6thrust23THRUST_200600_302600_NS6detail15normal_iteratorINSC_10device_ptrIKyEEEESI_EEEEESK_NSA_INS5_IJNSE_INSF_IyEEEESM_EEEEEPS7_SP_SP_NSC_11hip_rocprim7__merge17predicate_wrapperIyyNSC_7greaterImEEEEEE10hipError_tPvRmT0_T1_T2_T3_T4_T5_mmT6_P12ihipStream_tbEUlT_E_NS1_11comp_targetILNS1_3genE2ELNS1_11target_archE906ELNS1_3gpuE6ELNS1_3repE0EEENS1_30default_config_static_selectorELNS0_4arch9wavefront6targetE0EEEvS10_: ; @_ZN7rocprim17ROCPRIM_400000_NS6detail17trampoline_kernelINS0_14default_configENS1_21merge_config_selectorINS0_5tupleIJyyEEENS0_10empty_typeEEEZNS1_10merge_implIS3_NS0_12zip_iteratorINS5_IJN6thrust23THRUST_200600_302600_NS6detail15normal_iteratorINSC_10device_ptrIKyEEEESI_EEEEESK_NSA_INS5_IJNSE_INSF_IyEEEESM_EEEEEPS7_SP_SP_NSC_11hip_rocprim7__merge17predicate_wrapperIyyNSC_7greaterImEEEEEE10hipError_tPvRmT0_T1_T2_T3_T4_T5_mmT6_P12ihipStream_tbEUlT_E_NS1_11comp_targetILNS1_3genE2ELNS1_11target_archE906ELNS1_3gpuE6ELNS1_3repE0EEENS1_30default_config_static_selectorELNS0_4arch9wavefront6targetE0EEEvS10_
; %bb.0:
	.section	.rodata,"a",@progbits
	.p2align	6, 0x0
	.amdhsa_kernel _ZN7rocprim17ROCPRIM_400000_NS6detail17trampoline_kernelINS0_14default_configENS1_21merge_config_selectorINS0_5tupleIJyyEEENS0_10empty_typeEEEZNS1_10merge_implIS3_NS0_12zip_iteratorINS5_IJN6thrust23THRUST_200600_302600_NS6detail15normal_iteratorINSC_10device_ptrIKyEEEESI_EEEEESK_NSA_INS5_IJNSE_INSF_IyEEEESM_EEEEEPS7_SP_SP_NSC_11hip_rocprim7__merge17predicate_wrapperIyyNSC_7greaterImEEEEEE10hipError_tPvRmT0_T1_T2_T3_T4_T5_mmT6_P12ihipStream_tbEUlT_E_NS1_11comp_targetILNS1_3genE2ELNS1_11target_archE906ELNS1_3gpuE6ELNS1_3repE0EEENS1_30default_config_static_selectorELNS0_4arch9wavefront6targetE0EEEvS10_
		.amdhsa_group_segment_fixed_size 0
		.amdhsa_private_segment_fixed_size 0
		.amdhsa_kernarg_size 64
		.amdhsa_user_sgpr_count 6
		.amdhsa_user_sgpr_private_segment_buffer 1
		.amdhsa_user_sgpr_dispatch_ptr 0
		.amdhsa_user_sgpr_queue_ptr 0
		.amdhsa_user_sgpr_kernarg_segment_ptr 1
		.amdhsa_user_sgpr_dispatch_id 0
		.amdhsa_user_sgpr_flat_scratch_init 0
		.amdhsa_user_sgpr_private_segment_size 0
		.amdhsa_wavefront_size32 1
		.amdhsa_uses_dynamic_stack 0
		.amdhsa_system_sgpr_private_segment_wavefront_offset 0
		.amdhsa_system_sgpr_workgroup_id_x 1
		.amdhsa_system_sgpr_workgroup_id_y 0
		.amdhsa_system_sgpr_workgroup_id_z 0
		.amdhsa_system_sgpr_workgroup_info 0
		.amdhsa_system_vgpr_workitem_id 0
		.amdhsa_next_free_vgpr 1
		.amdhsa_next_free_sgpr 1
		.amdhsa_reserve_vcc 0
		.amdhsa_reserve_flat_scratch 0
		.amdhsa_float_round_mode_32 0
		.amdhsa_float_round_mode_16_64 0
		.amdhsa_float_denorm_mode_32 3
		.amdhsa_float_denorm_mode_16_64 3
		.amdhsa_dx10_clamp 1
		.amdhsa_ieee_mode 1
		.amdhsa_fp16_overflow 0
		.amdhsa_workgroup_processor_mode 1
		.amdhsa_memory_ordered 1
		.amdhsa_forward_progress 1
		.amdhsa_shared_vgpr_count 0
		.amdhsa_exception_fp_ieee_invalid_op 0
		.amdhsa_exception_fp_denorm_src 0
		.amdhsa_exception_fp_ieee_div_zero 0
		.amdhsa_exception_fp_ieee_overflow 0
		.amdhsa_exception_fp_ieee_underflow 0
		.amdhsa_exception_fp_ieee_inexact 0
		.amdhsa_exception_int_div_zero 0
	.end_amdhsa_kernel
	.section	.text._ZN7rocprim17ROCPRIM_400000_NS6detail17trampoline_kernelINS0_14default_configENS1_21merge_config_selectorINS0_5tupleIJyyEEENS0_10empty_typeEEEZNS1_10merge_implIS3_NS0_12zip_iteratorINS5_IJN6thrust23THRUST_200600_302600_NS6detail15normal_iteratorINSC_10device_ptrIKyEEEESI_EEEEESK_NSA_INS5_IJNSE_INSF_IyEEEESM_EEEEEPS7_SP_SP_NSC_11hip_rocprim7__merge17predicate_wrapperIyyNSC_7greaterImEEEEEE10hipError_tPvRmT0_T1_T2_T3_T4_T5_mmT6_P12ihipStream_tbEUlT_E_NS1_11comp_targetILNS1_3genE2ELNS1_11target_archE906ELNS1_3gpuE6ELNS1_3repE0EEENS1_30default_config_static_selectorELNS0_4arch9wavefront6targetE0EEEvS10_,"axG",@progbits,_ZN7rocprim17ROCPRIM_400000_NS6detail17trampoline_kernelINS0_14default_configENS1_21merge_config_selectorINS0_5tupleIJyyEEENS0_10empty_typeEEEZNS1_10merge_implIS3_NS0_12zip_iteratorINS5_IJN6thrust23THRUST_200600_302600_NS6detail15normal_iteratorINSC_10device_ptrIKyEEEESI_EEEEESK_NSA_INS5_IJNSE_INSF_IyEEEESM_EEEEEPS7_SP_SP_NSC_11hip_rocprim7__merge17predicate_wrapperIyyNSC_7greaterImEEEEEE10hipError_tPvRmT0_T1_T2_T3_T4_T5_mmT6_P12ihipStream_tbEUlT_E_NS1_11comp_targetILNS1_3genE2ELNS1_11target_archE906ELNS1_3gpuE6ELNS1_3repE0EEENS1_30default_config_static_selectorELNS0_4arch9wavefront6targetE0EEEvS10_,comdat
.Lfunc_end357:
	.size	_ZN7rocprim17ROCPRIM_400000_NS6detail17trampoline_kernelINS0_14default_configENS1_21merge_config_selectorINS0_5tupleIJyyEEENS0_10empty_typeEEEZNS1_10merge_implIS3_NS0_12zip_iteratorINS5_IJN6thrust23THRUST_200600_302600_NS6detail15normal_iteratorINSC_10device_ptrIKyEEEESI_EEEEESK_NSA_INS5_IJNSE_INSF_IyEEEESM_EEEEEPS7_SP_SP_NSC_11hip_rocprim7__merge17predicate_wrapperIyyNSC_7greaterImEEEEEE10hipError_tPvRmT0_T1_T2_T3_T4_T5_mmT6_P12ihipStream_tbEUlT_E_NS1_11comp_targetILNS1_3genE2ELNS1_11target_archE906ELNS1_3gpuE6ELNS1_3repE0EEENS1_30default_config_static_selectorELNS0_4arch9wavefront6targetE0EEEvS10_, .Lfunc_end357-_ZN7rocprim17ROCPRIM_400000_NS6detail17trampoline_kernelINS0_14default_configENS1_21merge_config_selectorINS0_5tupleIJyyEEENS0_10empty_typeEEEZNS1_10merge_implIS3_NS0_12zip_iteratorINS5_IJN6thrust23THRUST_200600_302600_NS6detail15normal_iteratorINSC_10device_ptrIKyEEEESI_EEEEESK_NSA_INS5_IJNSE_INSF_IyEEEESM_EEEEEPS7_SP_SP_NSC_11hip_rocprim7__merge17predicate_wrapperIyyNSC_7greaterImEEEEEE10hipError_tPvRmT0_T1_T2_T3_T4_T5_mmT6_P12ihipStream_tbEUlT_E_NS1_11comp_targetILNS1_3genE2ELNS1_11target_archE906ELNS1_3gpuE6ELNS1_3repE0EEENS1_30default_config_static_selectorELNS0_4arch9wavefront6targetE0EEEvS10_
                                        ; -- End function
	.set _ZN7rocprim17ROCPRIM_400000_NS6detail17trampoline_kernelINS0_14default_configENS1_21merge_config_selectorINS0_5tupleIJyyEEENS0_10empty_typeEEEZNS1_10merge_implIS3_NS0_12zip_iteratorINS5_IJN6thrust23THRUST_200600_302600_NS6detail15normal_iteratorINSC_10device_ptrIKyEEEESI_EEEEESK_NSA_INS5_IJNSE_INSF_IyEEEESM_EEEEEPS7_SP_SP_NSC_11hip_rocprim7__merge17predicate_wrapperIyyNSC_7greaterImEEEEEE10hipError_tPvRmT0_T1_T2_T3_T4_T5_mmT6_P12ihipStream_tbEUlT_E_NS1_11comp_targetILNS1_3genE2ELNS1_11target_archE906ELNS1_3gpuE6ELNS1_3repE0EEENS1_30default_config_static_selectorELNS0_4arch9wavefront6targetE0EEEvS10_.num_vgpr, 0
	.set _ZN7rocprim17ROCPRIM_400000_NS6detail17trampoline_kernelINS0_14default_configENS1_21merge_config_selectorINS0_5tupleIJyyEEENS0_10empty_typeEEEZNS1_10merge_implIS3_NS0_12zip_iteratorINS5_IJN6thrust23THRUST_200600_302600_NS6detail15normal_iteratorINSC_10device_ptrIKyEEEESI_EEEEESK_NSA_INS5_IJNSE_INSF_IyEEEESM_EEEEEPS7_SP_SP_NSC_11hip_rocprim7__merge17predicate_wrapperIyyNSC_7greaterImEEEEEE10hipError_tPvRmT0_T1_T2_T3_T4_T5_mmT6_P12ihipStream_tbEUlT_E_NS1_11comp_targetILNS1_3genE2ELNS1_11target_archE906ELNS1_3gpuE6ELNS1_3repE0EEENS1_30default_config_static_selectorELNS0_4arch9wavefront6targetE0EEEvS10_.num_agpr, 0
	.set _ZN7rocprim17ROCPRIM_400000_NS6detail17trampoline_kernelINS0_14default_configENS1_21merge_config_selectorINS0_5tupleIJyyEEENS0_10empty_typeEEEZNS1_10merge_implIS3_NS0_12zip_iteratorINS5_IJN6thrust23THRUST_200600_302600_NS6detail15normal_iteratorINSC_10device_ptrIKyEEEESI_EEEEESK_NSA_INS5_IJNSE_INSF_IyEEEESM_EEEEEPS7_SP_SP_NSC_11hip_rocprim7__merge17predicate_wrapperIyyNSC_7greaterImEEEEEE10hipError_tPvRmT0_T1_T2_T3_T4_T5_mmT6_P12ihipStream_tbEUlT_E_NS1_11comp_targetILNS1_3genE2ELNS1_11target_archE906ELNS1_3gpuE6ELNS1_3repE0EEENS1_30default_config_static_selectorELNS0_4arch9wavefront6targetE0EEEvS10_.numbered_sgpr, 0
	.set _ZN7rocprim17ROCPRIM_400000_NS6detail17trampoline_kernelINS0_14default_configENS1_21merge_config_selectorINS0_5tupleIJyyEEENS0_10empty_typeEEEZNS1_10merge_implIS3_NS0_12zip_iteratorINS5_IJN6thrust23THRUST_200600_302600_NS6detail15normal_iteratorINSC_10device_ptrIKyEEEESI_EEEEESK_NSA_INS5_IJNSE_INSF_IyEEEESM_EEEEEPS7_SP_SP_NSC_11hip_rocprim7__merge17predicate_wrapperIyyNSC_7greaterImEEEEEE10hipError_tPvRmT0_T1_T2_T3_T4_T5_mmT6_P12ihipStream_tbEUlT_E_NS1_11comp_targetILNS1_3genE2ELNS1_11target_archE906ELNS1_3gpuE6ELNS1_3repE0EEENS1_30default_config_static_selectorELNS0_4arch9wavefront6targetE0EEEvS10_.num_named_barrier, 0
	.set _ZN7rocprim17ROCPRIM_400000_NS6detail17trampoline_kernelINS0_14default_configENS1_21merge_config_selectorINS0_5tupleIJyyEEENS0_10empty_typeEEEZNS1_10merge_implIS3_NS0_12zip_iteratorINS5_IJN6thrust23THRUST_200600_302600_NS6detail15normal_iteratorINSC_10device_ptrIKyEEEESI_EEEEESK_NSA_INS5_IJNSE_INSF_IyEEEESM_EEEEEPS7_SP_SP_NSC_11hip_rocprim7__merge17predicate_wrapperIyyNSC_7greaterImEEEEEE10hipError_tPvRmT0_T1_T2_T3_T4_T5_mmT6_P12ihipStream_tbEUlT_E_NS1_11comp_targetILNS1_3genE2ELNS1_11target_archE906ELNS1_3gpuE6ELNS1_3repE0EEENS1_30default_config_static_selectorELNS0_4arch9wavefront6targetE0EEEvS10_.private_seg_size, 0
	.set _ZN7rocprim17ROCPRIM_400000_NS6detail17trampoline_kernelINS0_14default_configENS1_21merge_config_selectorINS0_5tupleIJyyEEENS0_10empty_typeEEEZNS1_10merge_implIS3_NS0_12zip_iteratorINS5_IJN6thrust23THRUST_200600_302600_NS6detail15normal_iteratorINSC_10device_ptrIKyEEEESI_EEEEESK_NSA_INS5_IJNSE_INSF_IyEEEESM_EEEEEPS7_SP_SP_NSC_11hip_rocprim7__merge17predicate_wrapperIyyNSC_7greaterImEEEEEE10hipError_tPvRmT0_T1_T2_T3_T4_T5_mmT6_P12ihipStream_tbEUlT_E_NS1_11comp_targetILNS1_3genE2ELNS1_11target_archE906ELNS1_3gpuE6ELNS1_3repE0EEENS1_30default_config_static_selectorELNS0_4arch9wavefront6targetE0EEEvS10_.uses_vcc, 0
	.set _ZN7rocprim17ROCPRIM_400000_NS6detail17trampoline_kernelINS0_14default_configENS1_21merge_config_selectorINS0_5tupleIJyyEEENS0_10empty_typeEEEZNS1_10merge_implIS3_NS0_12zip_iteratorINS5_IJN6thrust23THRUST_200600_302600_NS6detail15normal_iteratorINSC_10device_ptrIKyEEEESI_EEEEESK_NSA_INS5_IJNSE_INSF_IyEEEESM_EEEEEPS7_SP_SP_NSC_11hip_rocprim7__merge17predicate_wrapperIyyNSC_7greaterImEEEEEE10hipError_tPvRmT0_T1_T2_T3_T4_T5_mmT6_P12ihipStream_tbEUlT_E_NS1_11comp_targetILNS1_3genE2ELNS1_11target_archE906ELNS1_3gpuE6ELNS1_3repE0EEENS1_30default_config_static_selectorELNS0_4arch9wavefront6targetE0EEEvS10_.uses_flat_scratch, 0
	.set _ZN7rocprim17ROCPRIM_400000_NS6detail17trampoline_kernelINS0_14default_configENS1_21merge_config_selectorINS0_5tupleIJyyEEENS0_10empty_typeEEEZNS1_10merge_implIS3_NS0_12zip_iteratorINS5_IJN6thrust23THRUST_200600_302600_NS6detail15normal_iteratorINSC_10device_ptrIKyEEEESI_EEEEESK_NSA_INS5_IJNSE_INSF_IyEEEESM_EEEEEPS7_SP_SP_NSC_11hip_rocprim7__merge17predicate_wrapperIyyNSC_7greaterImEEEEEE10hipError_tPvRmT0_T1_T2_T3_T4_T5_mmT6_P12ihipStream_tbEUlT_E_NS1_11comp_targetILNS1_3genE2ELNS1_11target_archE906ELNS1_3gpuE6ELNS1_3repE0EEENS1_30default_config_static_selectorELNS0_4arch9wavefront6targetE0EEEvS10_.has_dyn_sized_stack, 0
	.set _ZN7rocprim17ROCPRIM_400000_NS6detail17trampoline_kernelINS0_14default_configENS1_21merge_config_selectorINS0_5tupleIJyyEEENS0_10empty_typeEEEZNS1_10merge_implIS3_NS0_12zip_iteratorINS5_IJN6thrust23THRUST_200600_302600_NS6detail15normal_iteratorINSC_10device_ptrIKyEEEESI_EEEEESK_NSA_INS5_IJNSE_INSF_IyEEEESM_EEEEEPS7_SP_SP_NSC_11hip_rocprim7__merge17predicate_wrapperIyyNSC_7greaterImEEEEEE10hipError_tPvRmT0_T1_T2_T3_T4_T5_mmT6_P12ihipStream_tbEUlT_E_NS1_11comp_targetILNS1_3genE2ELNS1_11target_archE906ELNS1_3gpuE6ELNS1_3repE0EEENS1_30default_config_static_selectorELNS0_4arch9wavefront6targetE0EEEvS10_.has_recursion, 0
	.set _ZN7rocprim17ROCPRIM_400000_NS6detail17trampoline_kernelINS0_14default_configENS1_21merge_config_selectorINS0_5tupleIJyyEEENS0_10empty_typeEEEZNS1_10merge_implIS3_NS0_12zip_iteratorINS5_IJN6thrust23THRUST_200600_302600_NS6detail15normal_iteratorINSC_10device_ptrIKyEEEESI_EEEEESK_NSA_INS5_IJNSE_INSF_IyEEEESM_EEEEEPS7_SP_SP_NSC_11hip_rocprim7__merge17predicate_wrapperIyyNSC_7greaterImEEEEEE10hipError_tPvRmT0_T1_T2_T3_T4_T5_mmT6_P12ihipStream_tbEUlT_E_NS1_11comp_targetILNS1_3genE2ELNS1_11target_archE906ELNS1_3gpuE6ELNS1_3repE0EEENS1_30default_config_static_selectorELNS0_4arch9wavefront6targetE0EEEvS10_.has_indirect_call, 0
	.section	.AMDGPU.csdata,"",@progbits
; Kernel info:
; codeLenInByte = 0
; TotalNumSgprs: 0
; NumVgprs: 0
; ScratchSize: 0
; MemoryBound: 0
; FloatMode: 240
; IeeeMode: 1
; LDSByteSize: 0 bytes/workgroup (compile time only)
; SGPRBlocks: 0
; VGPRBlocks: 0
; NumSGPRsForWavesPerEU: 1
; NumVGPRsForWavesPerEU: 1
; Occupancy: 16
; WaveLimiterHint : 0
; COMPUTE_PGM_RSRC2:SCRATCH_EN: 0
; COMPUTE_PGM_RSRC2:USER_SGPR: 6
; COMPUTE_PGM_RSRC2:TRAP_HANDLER: 0
; COMPUTE_PGM_RSRC2:TGID_X_EN: 1
; COMPUTE_PGM_RSRC2:TGID_Y_EN: 0
; COMPUTE_PGM_RSRC2:TGID_Z_EN: 0
; COMPUTE_PGM_RSRC2:TIDIG_COMP_CNT: 0
	.section	.text._ZN7rocprim17ROCPRIM_400000_NS6detail17trampoline_kernelINS0_14default_configENS1_21merge_config_selectorINS0_5tupleIJyyEEENS0_10empty_typeEEEZNS1_10merge_implIS3_NS0_12zip_iteratorINS5_IJN6thrust23THRUST_200600_302600_NS6detail15normal_iteratorINSC_10device_ptrIKyEEEESI_EEEEESK_NSA_INS5_IJNSE_INSF_IyEEEESM_EEEEEPS7_SP_SP_NSC_11hip_rocprim7__merge17predicate_wrapperIyyNSC_7greaterImEEEEEE10hipError_tPvRmT0_T1_T2_T3_T4_T5_mmT6_P12ihipStream_tbEUlT_E_NS1_11comp_targetILNS1_3genE10ELNS1_11target_archE1201ELNS1_3gpuE5ELNS1_3repE0EEENS1_30default_config_static_selectorELNS0_4arch9wavefront6targetE0EEEvS10_,"axG",@progbits,_ZN7rocprim17ROCPRIM_400000_NS6detail17trampoline_kernelINS0_14default_configENS1_21merge_config_selectorINS0_5tupleIJyyEEENS0_10empty_typeEEEZNS1_10merge_implIS3_NS0_12zip_iteratorINS5_IJN6thrust23THRUST_200600_302600_NS6detail15normal_iteratorINSC_10device_ptrIKyEEEESI_EEEEESK_NSA_INS5_IJNSE_INSF_IyEEEESM_EEEEEPS7_SP_SP_NSC_11hip_rocprim7__merge17predicate_wrapperIyyNSC_7greaterImEEEEEE10hipError_tPvRmT0_T1_T2_T3_T4_T5_mmT6_P12ihipStream_tbEUlT_E_NS1_11comp_targetILNS1_3genE10ELNS1_11target_archE1201ELNS1_3gpuE5ELNS1_3repE0EEENS1_30default_config_static_selectorELNS0_4arch9wavefront6targetE0EEEvS10_,comdat
	.protected	_ZN7rocprim17ROCPRIM_400000_NS6detail17trampoline_kernelINS0_14default_configENS1_21merge_config_selectorINS0_5tupleIJyyEEENS0_10empty_typeEEEZNS1_10merge_implIS3_NS0_12zip_iteratorINS5_IJN6thrust23THRUST_200600_302600_NS6detail15normal_iteratorINSC_10device_ptrIKyEEEESI_EEEEESK_NSA_INS5_IJNSE_INSF_IyEEEESM_EEEEEPS7_SP_SP_NSC_11hip_rocprim7__merge17predicate_wrapperIyyNSC_7greaterImEEEEEE10hipError_tPvRmT0_T1_T2_T3_T4_T5_mmT6_P12ihipStream_tbEUlT_E_NS1_11comp_targetILNS1_3genE10ELNS1_11target_archE1201ELNS1_3gpuE5ELNS1_3repE0EEENS1_30default_config_static_selectorELNS0_4arch9wavefront6targetE0EEEvS10_ ; -- Begin function _ZN7rocprim17ROCPRIM_400000_NS6detail17trampoline_kernelINS0_14default_configENS1_21merge_config_selectorINS0_5tupleIJyyEEENS0_10empty_typeEEEZNS1_10merge_implIS3_NS0_12zip_iteratorINS5_IJN6thrust23THRUST_200600_302600_NS6detail15normal_iteratorINSC_10device_ptrIKyEEEESI_EEEEESK_NSA_INS5_IJNSE_INSF_IyEEEESM_EEEEEPS7_SP_SP_NSC_11hip_rocprim7__merge17predicate_wrapperIyyNSC_7greaterImEEEEEE10hipError_tPvRmT0_T1_T2_T3_T4_T5_mmT6_P12ihipStream_tbEUlT_E_NS1_11comp_targetILNS1_3genE10ELNS1_11target_archE1201ELNS1_3gpuE5ELNS1_3repE0EEENS1_30default_config_static_selectorELNS0_4arch9wavefront6targetE0EEEvS10_
	.globl	_ZN7rocprim17ROCPRIM_400000_NS6detail17trampoline_kernelINS0_14default_configENS1_21merge_config_selectorINS0_5tupleIJyyEEENS0_10empty_typeEEEZNS1_10merge_implIS3_NS0_12zip_iteratorINS5_IJN6thrust23THRUST_200600_302600_NS6detail15normal_iteratorINSC_10device_ptrIKyEEEESI_EEEEESK_NSA_INS5_IJNSE_INSF_IyEEEESM_EEEEEPS7_SP_SP_NSC_11hip_rocprim7__merge17predicate_wrapperIyyNSC_7greaterImEEEEEE10hipError_tPvRmT0_T1_T2_T3_T4_T5_mmT6_P12ihipStream_tbEUlT_E_NS1_11comp_targetILNS1_3genE10ELNS1_11target_archE1201ELNS1_3gpuE5ELNS1_3repE0EEENS1_30default_config_static_selectorELNS0_4arch9wavefront6targetE0EEEvS10_
	.p2align	8
	.type	_ZN7rocprim17ROCPRIM_400000_NS6detail17trampoline_kernelINS0_14default_configENS1_21merge_config_selectorINS0_5tupleIJyyEEENS0_10empty_typeEEEZNS1_10merge_implIS3_NS0_12zip_iteratorINS5_IJN6thrust23THRUST_200600_302600_NS6detail15normal_iteratorINSC_10device_ptrIKyEEEESI_EEEEESK_NSA_INS5_IJNSE_INSF_IyEEEESM_EEEEEPS7_SP_SP_NSC_11hip_rocprim7__merge17predicate_wrapperIyyNSC_7greaterImEEEEEE10hipError_tPvRmT0_T1_T2_T3_T4_T5_mmT6_P12ihipStream_tbEUlT_E_NS1_11comp_targetILNS1_3genE10ELNS1_11target_archE1201ELNS1_3gpuE5ELNS1_3repE0EEENS1_30default_config_static_selectorELNS0_4arch9wavefront6targetE0EEEvS10_,@function
_ZN7rocprim17ROCPRIM_400000_NS6detail17trampoline_kernelINS0_14default_configENS1_21merge_config_selectorINS0_5tupleIJyyEEENS0_10empty_typeEEEZNS1_10merge_implIS3_NS0_12zip_iteratorINS5_IJN6thrust23THRUST_200600_302600_NS6detail15normal_iteratorINSC_10device_ptrIKyEEEESI_EEEEESK_NSA_INS5_IJNSE_INSF_IyEEEESM_EEEEEPS7_SP_SP_NSC_11hip_rocprim7__merge17predicate_wrapperIyyNSC_7greaterImEEEEEE10hipError_tPvRmT0_T1_T2_T3_T4_T5_mmT6_P12ihipStream_tbEUlT_E_NS1_11comp_targetILNS1_3genE10ELNS1_11target_archE1201ELNS1_3gpuE5ELNS1_3repE0EEENS1_30default_config_static_selectorELNS0_4arch9wavefront6targetE0EEEvS10_: ; @_ZN7rocprim17ROCPRIM_400000_NS6detail17trampoline_kernelINS0_14default_configENS1_21merge_config_selectorINS0_5tupleIJyyEEENS0_10empty_typeEEEZNS1_10merge_implIS3_NS0_12zip_iteratorINS5_IJN6thrust23THRUST_200600_302600_NS6detail15normal_iteratorINSC_10device_ptrIKyEEEESI_EEEEESK_NSA_INS5_IJNSE_INSF_IyEEEESM_EEEEEPS7_SP_SP_NSC_11hip_rocprim7__merge17predicate_wrapperIyyNSC_7greaterImEEEEEE10hipError_tPvRmT0_T1_T2_T3_T4_T5_mmT6_P12ihipStream_tbEUlT_E_NS1_11comp_targetILNS1_3genE10ELNS1_11target_archE1201ELNS1_3gpuE5ELNS1_3repE0EEENS1_30default_config_static_selectorELNS0_4arch9wavefront6targetE0EEEvS10_
; %bb.0:
	.section	.rodata,"a",@progbits
	.p2align	6, 0x0
	.amdhsa_kernel _ZN7rocprim17ROCPRIM_400000_NS6detail17trampoline_kernelINS0_14default_configENS1_21merge_config_selectorINS0_5tupleIJyyEEENS0_10empty_typeEEEZNS1_10merge_implIS3_NS0_12zip_iteratorINS5_IJN6thrust23THRUST_200600_302600_NS6detail15normal_iteratorINSC_10device_ptrIKyEEEESI_EEEEESK_NSA_INS5_IJNSE_INSF_IyEEEESM_EEEEEPS7_SP_SP_NSC_11hip_rocprim7__merge17predicate_wrapperIyyNSC_7greaterImEEEEEE10hipError_tPvRmT0_T1_T2_T3_T4_T5_mmT6_P12ihipStream_tbEUlT_E_NS1_11comp_targetILNS1_3genE10ELNS1_11target_archE1201ELNS1_3gpuE5ELNS1_3repE0EEENS1_30default_config_static_selectorELNS0_4arch9wavefront6targetE0EEEvS10_
		.amdhsa_group_segment_fixed_size 0
		.amdhsa_private_segment_fixed_size 0
		.amdhsa_kernarg_size 64
		.amdhsa_user_sgpr_count 6
		.amdhsa_user_sgpr_private_segment_buffer 1
		.amdhsa_user_sgpr_dispatch_ptr 0
		.amdhsa_user_sgpr_queue_ptr 0
		.amdhsa_user_sgpr_kernarg_segment_ptr 1
		.amdhsa_user_sgpr_dispatch_id 0
		.amdhsa_user_sgpr_flat_scratch_init 0
		.amdhsa_user_sgpr_private_segment_size 0
		.amdhsa_wavefront_size32 1
		.amdhsa_uses_dynamic_stack 0
		.amdhsa_system_sgpr_private_segment_wavefront_offset 0
		.amdhsa_system_sgpr_workgroup_id_x 1
		.amdhsa_system_sgpr_workgroup_id_y 0
		.amdhsa_system_sgpr_workgroup_id_z 0
		.amdhsa_system_sgpr_workgroup_info 0
		.amdhsa_system_vgpr_workitem_id 0
		.amdhsa_next_free_vgpr 1
		.amdhsa_next_free_sgpr 1
		.amdhsa_reserve_vcc 0
		.amdhsa_reserve_flat_scratch 0
		.amdhsa_float_round_mode_32 0
		.amdhsa_float_round_mode_16_64 0
		.amdhsa_float_denorm_mode_32 3
		.amdhsa_float_denorm_mode_16_64 3
		.amdhsa_dx10_clamp 1
		.amdhsa_ieee_mode 1
		.amdhsa_fp16_overflow 0
		.amdhsa_workgroup_processor_mode 1
		.amdhsa_memory_ordered 1
		.amdhsa_forward_progress 1
		.amdhsa_shared_vgpr_count 0
		.amdhsa_exception_fp_ieee_invalid_op 0
		.amdhsa_exception_fp_denorm_src 0
		.amdhsa_exception_fp_ieee_div_zero 0
		.amdhsa_exception_fp_ieee_overflow 0
		.amdhsa_exception_fp_ieee_underflow 0
		.amdhsa_exception_fp_ieee_inexact 0
		.amdhsa_exception_int_div_zero 0
	.end_amdhsa_kernel
	.section	.text._ZN7rocprim17ROCPRIM_400000_NS6detail17trampoline_kernelINS0_14default_configENS1_21merge_config_selectorINS0_5tupleIJyyEEENS0_10empty_typeEEEZNS1_10merge_implIS3_NS0_12zip_iteratorINS5_IJN6thrust23THRUST_200600_302600_NS6detail15normal_iteratorINSC_10device_ptrIKyEEEESI_EEEEESK_NSA_INS5_IJNSE_INSF_IyEEEESM_EEEEEPS7_SP_SP_NSC_11hip_rocprim7__merge17predicate_wrapperIyyNSC_7greaterImEEEEEE10hipError_tPvRmT0_T1_T2_T3_T4_T5_mmT6_P12ihipStream_tbEUlT_E_NS1_11comp_targetILNS1_3genE10ELNS1_11target_archE1201ELNS1_3gpuE5ELNS1_3repE0EEENS1_30default_config_static_selectorELNS0_4arch9wavefront6targetE0EEEvS10_,"axG",@progbits,_ZN7rocprim17ROCPRIM_400000_NS6detail17trampoline_kernelINS0_14default_configENS1_21merge_config_selectorINS0_5tupleIJyyEEENS0_10empty_typeEEEZNS1_10merge_implIS3_NS0_12zip_iteratorINS5_IJN6thrust23THRUST_200600_302600_NS6detail15normal_iteratorINSC_10device_ptrIKyEEEESI_EEEEESK_NSA_INS5_IJNSE_INSF_IyEEEESM_EEEEEPS7_SP_SP_NSC_11hip_rocprim7__merge17predicate_wrapperIyyNSC_7greaterImEEEEEE10hipError_tPvRmT0_T1_T2_T3_T4_T5_mmT6_P12ihipStream_tbEUlT_E_NS1_11comp_targetILNS1_3genE10ELNS1_11target_archE1201ELNS1_3gpuE5ELNS1_3repE0EEENS1_30default_config_static_selectorELNS0_4arch9wavefront6targetE0EEEvS10_,comdat
.Lfunc_end358:
	.size	_ZN7rocprim17ROCPRIM_400000_NS6detail17trampoline_kernelINS0_14default_configENS1_21merge_config_selectorINS0_5tupleIJyyEEENS0_10empty_typeEEEZNS1_10merge_implIS3_NS0_12zip_iteratorINS5_IJN6thrust23THRUST_200600_302600_NS6detail15normal_iteratorINSC_10device_ptrIKyEEEESI_EEEEESK_NSA_INS5_IJNSE_INSF_IyEEEESM_EEEEEPS7_SP_SP_NSC_11hip_rocprim7__merge17predicate_wrapperIyyNSC_7greaterImEEEEEE10hipError_tPvRmT0_T1_T2_T3_T4_T5_mmT6_P12ihipStream_tbEUlT_E_NS1_11comp_targetILNS1_3genE10ELNS1_11target_archE1201ELNS1_3gpuE5ELNS1_3repE0EEENS1_30default_config_static_selectorELNS0_4arch9wavefront6targetE0EEEvS10_, .Lfunc_end358-_ZN7rocprim17ROCPRIM_400000_NS6detail17trampoline_kernelINS0_14default_configENS1_21merge_config_selectorINS0_5tupleIJyyEEENS0_10empty_typeEEEZNS1_10merge_implIS3_NS0_12zip_iteratorINS5_IJN6thrust23THRUST_200600_302600_NS6detail15normal_iteratorINSC_10device_ptrIKyEEEESI_EEEEESK_NSA_INS5_IJNSE_INSF_IyEEEESM_EEEEEPS7_SP_SP_NSC_11hip_rocprim7__merge17predicate_wrapperIyyNSC_7greaterImEEEEEE10hipError_tPvRmT0_T1_T2_T3_T4_T5_mmT6_P12ihipStream_tbEUlT_E_NS1_11comp_targetILNS1_3genE10ELNS1_11target_archE1201ELNS1_3gpuE5ELNS1_3repE0EEENS1_30default_config_static_selectorELNS0_4arch9wavefront6targetE0EEEvS10_
                                        ; -- End function
	.set _ZN7rocprim17ROCPRIM_400000_NS6detail17trampoline_kernelINS0_14default_configENS1_21merge_config_selectorINS0_5tupleIJyyEEENS0_10empty_typeEEEZNS1_10merge_implIS3_NS0_12zip_iteratorINS5_IJN6thrust23THRUST_200600_302600_NS6detail15normal_iteratorINSC_10device_ptrIKyEEEESI_EEEEESK_NSA_INS5_IJNSE_INSF_IyEEEESM_EEEEEPS7_SP_SP_NSC_11hip_rocprim7__merge17predicate_wrapperIyyNSC_7greaterImEEEEEE10hipError_tPvRmT0_T1_T2_T3_T4_T5_mmT6_P12ihipStream_tbEUlT_E_NS1_11comp_targetILNS1_3genE10ELNS1_11target_archE1201ELNS1_3gpuE5ELNS1_3repE0EEENS1_30default_config_static_selectorELNS0_4arch9wavefront6targetE0EEEvS10_.num_vgpr, 0
	.set _ZN7rocprim17ROCPRIM_400000_NS6detail17trampoline_kernelINS0_14default_configENS1_21merge_config_selectorINS0_5tupleIJyyEEENS0_10empty_typeEEEZNS1_10merge_implIS3_NS0_12zip_iteratorINS5_IJN6thrust23THRUST_200600_302600_NS6detail15normal_iteratorINSC_10device_ptrIKyEEEESI_EEEEESK_NSA_INS5_IJNSE_INSF_IyEEEESM_EEEEEPS7_SP_SP_NSC_11hip_rocprim7__merge17predicate_wrapperIyyNSC_7greaterImEEEEEE10hipError_tPvRmT0_T1_T2_T3_T4_T5_mmT6_P12ihipStream_tbEUlT_E_NS1_11comp_targetILNS1_3genE10ELNS1_11target_archE1201ELNS1_3gpuE5ELNS1_3repE0EEENS1_30default_config_static_selectorELNS0_4arch9wavefront6targetE0EEEvS10_.num_agpr, 0
	.set _ZN7rocprim17ROCPRIM_400000_NS6detail17trampoline_kernelINS0_14default_configENS1_21merge_config_selectorINS0_5tupleIJyyEEENS0_10empty_typeEEEZNS1_10merge_implIS3_NS0_12zip_iteratorINS5_IJN6thrust23THRUST_200600_302600_NS6detail15normal_iteratorINSC_10device_ptrIKyEEEESI_EEEEESK_NSA_INS5_IJNSE_INSF_IyEEEESM_EEEEEPS7_SP_SP_NSC_11hip_rocprim7__merge17predicate_wrapperIyyNSC_7greaterImEEEEEE10hipError_tPvRmT0_T1_T2_T3_T4_T5_mmT6_P12ihipStream_tbEUlT_E_NS1_11comp_targetILNS1_3genE10ELNS1_11target_archE1201ELNS1_3gpuE5ELNS1_3repE0EEENS1_30default_config_static_selectorELNS0_4arch9wavefront6targetE0EEEvS10_.numbered_sgpr, 0
	.set _ZN7rocprim17ROCPRIM_400000_NS6detail17trampoline_kernelINS0_14default_configENS1_21merge_config_selectorINS0_5tupleIJyyEEENS0_10empty_typeEEEZNS1_10merge_implIS3_NS0_12zip_iteratorINS5_IJN6thrust23THRUST_200600_302600_NS6detail15normal_iteratorINSC_10device_ptrIKyEEEESI_EEEEESK_NSA_INS5_IJNSE_INSF_IyEEEESM_EEEEEPS7_SP_SP_NSC_11hip_rocprim7__merge17predicate_wrapperIyyNSC_7greaterImEEEEEE10hipError_tPvRmT0_T1_T2_T3_T4_T5_mmT6_P12ihipStream_tbEUlT_E_NS1_11comp_targetILNS1_3genE10ELNS1_11target_archE1201ELNS1_3gpuE5ELNS1_3repE0EEENS1_30default_config_static_selectorELNS0_4arch9wavefront6targetE0EEEvS10_.num_named_barrier, 0
	.set _ZN7rocprim17ROCPRIM_400000_NS6detail17trampoline_kernelINS0_14default_configENS1_21merge_config_selectorINS0_5tupleIJyyEEENS0_10empty_typeEEEZNS1_10merge_implIS3_NS0_12zip_iteratorINS5_IJN6thrust23THRUST_200600_302600_NS6detail15normal_iteratorINSC_10device_ptrIKyEEEESI_EEEEESK_NSA_INS5_IJNSE_INSF_IyEEEESM_EEEEEPS7_SP_SP_NSC_11hip_rocprim7__merge17predicate_wrapperIyyNSC_7greaterImEEEEEE10hipError_tPvRmT0_T1_T2_T3_T4_T5_mmT6_P12ihipStream_tbEUlT_E_NS1_11comp_targetILNS1_3genE10ELNS1_11target_archE1201ELNS1_3gpuE5ELNS1_3repE0EEENS1_30default_config_static_selectorELNS0_4arch9wavefront6targetE0EEEvS10_.private_seg_size, 0
	.set _ZN7rocprim17ROCPRIM_400000_NS6detail17trampoline_kernelINS0_14default_configENS1_21merge_config_selectorINS0_5tupleIJyyEEENS0_10empty_typeEEEZNS1_10merge_implIS3_NS0_12zip_iteratorINS5_IJN6thrust23THRUST_200600_302600_NS6detail15normal_iteratorINSC_10device_ptrIKyEEEESI_EEEEESK_NSA_INS5_IJNSE_INSF_IyEEEESM_EEEEEPS7_SP_SP_NSC_11hip_rocprim7__merge17predicate_wrapperIyyNSC_7greaterImEEEEEE10hipError_tPvRmT0_T1_T2_T3_T4_T5_mmT6_P12ihipStream_tbEUlT_E_NS1_11comp_targetILNS1_3genE10ELNS1_11target_archE1201ELNS1_3gpuE5ELNS1_3repE0EEENS1_30default_config_static_selectorELNS0_4arch9wavefront6targetE0EEEvS10_.uses_vcc, 0
	.set _ZN7rocprim17ROCPRIM_400000_NS6detail17trampoline_kernelINS0_14default_configENS1_21merge_config_selectorINS0_5tupleIJyyEEENS0_10empty_typeEEEZNS1_10merge_implIS3_NS0_12zip_iteratorINS5_IJN6thrust23THRUST_200600_302600_NS6detail15normal_iteratorINSC_10device_ptrIKyEEEESI_EEEEESK_NSA_INS5_IJNSE_INSF_IyEEEESM_EEEEEPS7_SP_SP_NSC_11hip_rocprim7__merge17predicate_wrapperIyyNSC_7greaterImEEEEEE10hipError_tPvRmT0_T1_T2_T3_T4_T5_mmT6_P12ihipStream_tbEUlT_E_NS1_11comp_targetILNS1_3genE10ELNS1_11target_archE1201ELNS1_3gpuE5ELNS1_3repE0EEENS1_30default_config_static_selectorELNS0_4arch9wavefront6targetE0EEEvS10_.uses_flat_scratch, 0
	.set _ZN7rocprim17ROCPRIM_400000_NS6detail17trampoline_kernelINS0_14default_configENS1_21merge_config_selectorINS0_5tupleIJyyEEENS0_10empty_typeEEEZNS1_10merge_implIS3_NS0_12zip_iteratorINS5_IJN6thrust23THRUST_200600_302600_NS6detail15normal_iteratorINSC_10device_ptrIKyEEEESI_EEEEESK_NSA_INS5_IJNSE_INSF_IyEEEESM_EEEEEPS7_SP_SP_NSC_11hip_rocprim7__merge17predicate_wrapperIyyNSC_7greaterImEEEEEE10hipError_tPvRmT0_T1_T2_T3_T4_T5_mmT6_P12ihipStream_tbEUlT_E_NS1_11comp_targetILNS1_3genE10ELNS1_11target_archE1201ELNS1_3gpuE5ELNS1_3repE0EEENS1_30default_config_static_selectorELNS0_4arch9wavefront6targetE0EEEvS10_.has_dyn_sized_stack, 0
	.set _ZN7rocprim17ROCPRIM_400000_NS6detail17trampoline_kernelINS0_14default_configENS1_21merge_config_selectorINS0_5tupleIJyyEEENS0_10empty_typeEEEZNS1_10merge_implIS3_NS0_12zip_iteratorINS5_IJN6thrust23THRUST_200600_302600_NS6detail15normal_iteratorINSC_10device_ptrIKyEEEESI_EEEEESK_NSA_INS5_IJNSE_INSF_IyEEEESM_EEEEEPS7_SP_SP_NSC_11hip_rocprim7__merge17predicate_wrapperIyyNSC_7greaterImEEEEEE10hipError_tPvRmT0_T1_T2_T3_T4_T5_mmT6_P12ihipStream_tbEUlT_E_NS1_11comp_targetILNS1_3genE10ELNS1_11target_archE1201ELNS1_3gpuE5ELNS1_3repE0EEENS1_30default_config_static_selectorELNS0_4arch9wavefront6targetE0EEEvS10_.has_recursion, 0
	.set _ZN7rocprim17ROCPRIM_400000_NS6detail17trampoline_kernelINS0_14default_configENS1_21merge_config_selectorINS0_5tupleIJyyEEENS0_10empty_typeEEEZNS1_10merge_implIS3_NS0_12zip_iteratorINS5_IJN6thrust23THRUST_200600_302600_NS6detail15normal_iteratorINSC_10device_ptrIKyEEEESI_EEEEESK_NSA_INS5_IJNSE_INSF_IyEEEESM_EEEEEPS7_SP_SP_NSC_11hip_rocprim7__merge17predicate_wrapperIyyNSC_7greaterImEEEEEE10hipError_tPvRmT0_T1_T2_T3_T4_T5_mmT6_P12ihipStream_tbEUlT_E_NS1_11comp_targetILNS1_3genE10ELNS1_11target_archE1201ELNS1_3gpuE5ELNS1_3repE0EEENS1_30default_config_static_selectorELNS0_4arch9wavefront6targetE0EEEvS10_.has_indirect_call, 0
	.section	.AMDGPU.csdata,"",@progbits
; Kernel info:
; codeLenInByte = 0
; TotalNumSgprs: 0
; NumVgprs: 0
; ScratchSize: 0
; MemoryBound: 0
; FloatMode: 240
; IeeeMode: 1
; LDSByteSize: 0 bytes/workgroup (compile time only)
; SGPRBlocks: 0
; VGPRBlocks: 0
; NumSGPRsForWavesPerEU: 1
; NumVGPRsForWavesPerEU: 1
; Occupancy: 16
; WaveLimiterHint : 0
; COMPUTE_PGM_RSRC2:SCRATCH_EN: 0
; COMPUTE_PGM_RSRC2:USER_SGPR: 6
; COMPUTE_PGM_RSRC2:TRAP_HANDLER: 0
; COMPUTE_PGM_RSRC2:TGID_X_EN: 1
; COMPUTE_PGM_RSRC2:TGID_Y_EN: 0
; COMPUTE_PGM_RSRC2:TGID_Z_EN: 0
; COMPUTE_PGM_RSRC2:TIDIG_COMP_CNT: 0
	.section	.text._ZN7rocprim17ROCPRIM_400000_NS6detail17trampoline_kernelINS0_14default_configENS1_21merge_config_selectorINS0_5tupleIJyyEEENS0_10empty_typeEEEZNS1_10merge_implIS3_NS0_12zip_iteratorINS5_IJN6thrust23THRUST_200600_302600_NS6detail15normal_iteratorINSC_10device_ptrIKyEEEESI_EEEEESK_NSA_INS5_IJNSE_INSF_IyEEEESM_EEEEEPS7_SP_SP_NSC_11hip_rocprim7__merge17predicate_wrapperIyyNSC_7greaterImEEEEEE10hipError_tPvRmT0_T1_T2_T3_T4_T5_mmT6_P12ihipStream_tbEUlT_E_NS1_11comp_targetILNS1_3genE10ELNS1_11target_archE1200ELNS1_3gpuE4ELNS1_3repE0EEENS1_30default_config_static_selectorELNS0_4arch9wavefront6targetE0EEEvS10_,"axG",@progbits,_ZN7rocprim17ROCPRIM_400000_NS6detail17trampoline_kernelINS0_14default_configENS1_21merge_config_selectorINS0_5tupleIJyyEEENS0_10empty_typeEEEZNS1_10merge_implIS3_NS0_12zip_iteratorINS5_IJN6thrust23THRUST_200600_302600_NS6detail15normal_iteratorINSC_10device_ptrIKyEEEESI_EEEEESK_NSA_INS5_IJNSE_INSF_IyEEEESM_EEEEEPS7_SP_SP_NSC_11hip_rocprim7__merge17predicate_wrapperIyyNSC_7greaterImEEEEEE10hipError_tPvRmT0_T1_T2_T3_T4_T5_mmT6_P12ihipStream_tbEUlT_E_NS1_11comp_targetILNS1_3genE10ELNS1_11target_archE1200ELNS1_3gpuE4ELNS1_3repE0EEENS1_30default_config_static_selectorELNS0_4arch9wavefront6targetE0EEEvS10_,comdat
	.protected	_ZN7rocprim17ROCPRIM_400000_NS6detail17trampoline_kernelINS0_14default_configENS1_21merge_config_selectorINS0_5tupleIJyyEEENS0_10empty_typeEEEZNS1_10merge_implIS3_NS0_12zip_iteratorINS5_IJN6thrust23THRUST_200600_302600_NS6detail15normal_iteratorINSC_10device_ptrIKyEEEESI_EEEEESK_NSA_INS5_IJNSE_INSF_IyEEEESM_EEEEEPS7_SP_SP_NSC_11hip_rocprim7__merge17predicate_wrapperIyyNSC_7greaterImEEEEEE10hipError_tPvRmT0_T1_T2_T3_T4_T5_mmT6_P12ihipStream_tbEUlT_E_NS1_11comp_targetILNS1_3genE10ELNS1_11target_archE1200ELNS1_3gpuE4ELNS1_3repE0EEENS1_30default_config_static_selectorELNS0_4arch9wavefront6targetE0EEEvS10_ ; -- Begin function _ZN7rocprim17ROCPRIM_400000_NS6detail17trampoline_kernelINS0_14default_configENS1_21merge_config_selectorINS0_5tupleIJyyEEENS0_10empty_typeEEEZNS1_10merge_implIS3_NS0_12zip_iteratorINS5_IJN6thrust23THRUST_200600_302600_NS6detail15normal_iteratorINSC_10device_ptrIKyEEEESI_EEEEESK_NSA_INS5_IJNSE_INSF_IyEEEESM_EEEEEPS7_SP_SP_NSC_11hip_rocprim7__merge17predicate_wrapperIyyNSC_7greaterImEEEEEE10hipError_tPvRmT0_T1_T2_T3_T4_T5_mmT6_P12ihipStream_tbEUlT_E_NS1_11comp_targetILNS1_3genE10ELNS1_11target_archE1200ELNS1_3gpuE4ELNS1_3repE0EEENS1_30default_config_static_selectorELNS0_4arch9wavefront6targetE0EEEvS10_
	.globl	_ZN7rocprim17ROCPRIM_400000_NS6detail17trampoline_kernelINS0_14default_configENS1_21merge_config_selectorINS0_5tupleIJyyEEENS0_10empty_typeEEEZNS1_10merge_implIS3_NS0_12zip_iteratorINS5_IJN6thrust23THRUST_200600_302600_NS6detail15normal_iteratorINSC_10device_ptrIKyEEEESI_EEEEESK_NSA_INS5_IJNSE_INSF_IyEEEESM_EEEEEPS7_SP_SP_NSC_11hip_rocprim7__merge17predicate_wrapperIyyNSC_7greaterImEEEEEE10hipError_tPvRmT0_T1_T2_T3_T4_T5_mmT6_P12ihipStream_tbEUlT_E_NS1_11comp_targetILNS1_3genE10ELNS1_11target_archE1200ELNS1_3gpuE4ELNS1_3repE0EEENS1_30default_config_static_selectorELNS0_4arch9wavefront6targetE0EEEvS10_
	.p2align	8
	.type	_ZN7rocprim17ROCPRIM_400000_NS6detail17trampoline_kernelINS0_14default_configENS1_21merge_config_selectorINS0_5tupleIJyyEEENS0_10empty_typeEEEZNS1_10merge_implIS3_NS0_12zip_iteratorINS5_IJN6thrust23THRUST_200600_302600_NS6detail15normal_iteratorINSC_10device_ptrIKyEEEESI_EEEEESK_NSA_INS5_IJNSE_INSF_IyEEEESM_EEEEEPS7_SP_SP_NSC_11hip_rocprim7__merge17predicate_wrapperIyyNSC_7greaterImEEEEEE10hipError_tPvRmT0_T1_T2_T3_T4_T5_mmT6_P12ihipStream_tbEUlT_E_NS1_11comp_targetILNS1_3genE10ELNS1_11target_archE1200ELNS1_3gpuE4ELNS1_3repE0EEENS1_30default_config_static_selectorELNS0_4arch9wavefront6targetE0EEEvS10_,@function
_ZN7rocprim17ROCPRIM_400000_NS6detail17trampoline_kernelINS0_14default_configENS1_21merge_config_selectorINS0_5tupleIJyyEEENS0_10empty_typeEEEZNS1_10merge_implIS3_NS0_12zip_iteratorINS5_IJN6thrust23THRUST_200600_302600_NS6detail15normal_iteratorINSC_10device_ptrIKyEEEESI_EEEEESK_NSA_INS5_IJNSE_INSF_IyEEEESM_EEEEEPS7_SP_SP_NSC_11hip_rocprim7__merge17predicate_wrapperIyyNSC_7greaterImEEEEEE10hipError_tPvRmT0_T1_T2_T3_T4_T5_mmT6_P12ihipStream_tbEUlT_E_NS1_11comp_targetILNS1_3genE10ELNS1_11target_archE1200ELNS1_3gpuE4ELNS1_3repE0EEENS1_30default_config_static_selectorELNS0_4arch9wavefront6targetE0EEEvS10_: ; @_ZN7rocprim17ROCPRIM_400000_NS6detail17trampoline_kernelINS0_14default_configENS1_21merge_config_selectorINS0_5tupleIJyyEEENS0_10empty_typeEEEZNS1_10merge_implIS3_NS0_12zip_iteratorINS5_IJN6thrust23THRUST_200600_302600_NS6detail15normal_iteratorINSC_10device_ptrIKyEEEESI_EEEEESK_NSA_INS5_IJNSE_INSF_IyEEEESM_EEEEEPS7_SP_SP_NSC_11hip_rocprim7__merge17predicate_wrapperIyyNSC_7greaterImEEEEEE10hipError_tPvRmT0_T1_T2_T3_T4_T5_mmT6_P12ihipStream_tbEUlT_E_NS1_11comp_targetILNS1_3genE10ELNS1_11target_archE1200ELNS1_3gpuE4ELNS1_3repE0EEENS1_30default_config_static_selectorELNS0_4arch9wavefront6targetE0EEEvS10_
; %bb.0:
	.section	.rodata,"a",@progbits
	.p2align	6, 0x0
	.amdhsa_kernel _ZN7rocprim17ROCPRIM_400000_NS6detail17trampoline_kernelINS0_14default_configENS1_21merge_config_selectorINS0_5tupleIJyyEEENS0_10empty_typeEEEZNS1_10merge_implIS3_NS0_12zip_iteratorINS5_IJN6thrust23THRUST_200600_302600_NS6detail15normal_iteratorINSC_10device_ptrIKyEEEESI_EEEEESK_NSA_INS5_IJNSE_INSF_IyEEEESM_EEEEEPS7_SP_SP_NSC_11hip_rocprim7__merge17predicate_wrapperIyyNSC_7greaterImEEEEEE10hipError_tPvRmT0_T1_T2_T3_T4_T5_mmT6_P12ihipStream_tbEUlT_E_NS1_11comp_targetILNS1_3genE10ELNS1_11target_archE1200ELNS1_3gpuE4ELNS1_3repE0EEENS1_30default_config_static_selectorELNS0_4arch9wavefront6targetE0EEEvS10_
		.amdhsa_group_segment_fixed_size 0
		.amdhsa_private_segment_fixed_size 0
		.amdhsa_kernarg_size 64
		.amdhsa_user_sgpr_count 6
		.amdhsa_user_sgpr_private_segment_buffer 1
		.amdhsa_user_sgpr_dispatch_ptr 0
		.amdhsa_user_sgpr_queue_ptr 0
		.amdhsa_user_sgpr_kernarg_segment_ptr 1
		.amdhsa_user_sgpr_dispatch_id 0
		.amdhsa_user_sgpr_flat_scratch_init 0
		.amdhsa_user_sgpr_private_segment_size 0
		.amdhsa_wavefront_size32 1
		.amdhsa_uses_dynamic_stack 0
		.amdhsa_system_sgpr_private_segment_wavefront_offset 0
		.amdhsa_system_sgpr_workgroup_id_x 1
		.amdhsa_system_sgpr_workgroup_id_y 0
		.amdhsa_system_sgpr_workgroup_id_z 0
		.amdhsa_system_sgpr_workgroup_info 0
		.amdhsa_system_vgpr_workitem_id 0
		.amdhsa_next_free_vgpr 1
		.amdhsa_next_free_sgpr 1
		.amdhsa_reserve_vcc 0
		.amdhsa_reserve_flat_scratch 0
		.amdhsa_float_round_mode_32 0
		.amdhsa_float_round_mode_16_64 0
		.amdhsa_float_denorm_mode_32 3
		.amdhsa_float_denorm_mode_16_64 3
		.amdhsa_dx10_clamp 1
		.amdhsa_ieee_mode 1
		.amdhsa_fp16_overflow 0
		.amdhsa_workgroup_processor_mode 1
		.amdhsa_memory_ordered 1
		.amdhsa_forward_progress 1
		.amdhsa_shared_vgpr_count 0
		.amdhsa_exception_fp_ieee_invalid_op 0
		.amdhsa_exception_fp_denorm_src 0
		.amdhsa_exception_fp_ieee_div_zero 0
		.amdhsa_exception_fp_ieee_overflow 0
		.amdhsa_exception_fp_ieee_underflow 0
		.amdhsa_exception_fp_ieee_inexact 0
		.amdhsa_exception_int_div_zero 0
	.end_amdhsa_kernel
	.section	.text._ZN7rocprim17ROCPRIM_400000_NS6detail17trampoline_kernelINS0_14default_configENS1_21merge_config_selectorINS0_5tupleIJyyEEENS0_10empty_typeEEEZNS1_10merge_implIS3_NS0_12zip_iteratorINS5_IJN6thrust23THRUST_200600_302600_NS6detail15normal_iteratorINSC_10device_ptrIKyEEEESI_EEEEESK_NSA_INS5_IJNSE_INSF_IyEEEESM_EEEEEPS7_SP_SP_NSC_11hip_rocprim7__merge17predicate_wrapperIyyNSC_7greaterImEEEEEE10hipError_tPvRmT0_T1_T2_T3_T4_T5_mmT6_P12ihipStream_tbEUlT_E_NS1_11comp_targetILNS1_3genE10ELNS1_11target_archE1200ELNS1_3gpuE4ELNS1_3repE0EEENS1_30default_config_static_selectorELNS0_4arch9wavefront6targetE0EEEvS10_,"axG",@progbits,_ZN7rocprim17ROCPRIM_400000_NS6detail17trampoline_kernelINS0_14default_configENS1_21merge_config_selectorINS0_5tupleIJyyEEENS0_10empty_typeEEEZNS1_10merge_implIS3_NS0_12zip_iteratorINS5_IJN6thrust23THRUST_200600_302600_NS6detail15normal_iteratorINSC_10device_ptrIKyEEEESI_EEEEESK_NSA_INS5_IJNSE_INSF_IyEEEESM_EEEEEPS7_SP_SP_NSC_11hip_rocprim7__merge17predicate_wrapperIyyNSC_7greaterImEEEEEE10hipError_tPvRmT0_T1_T2_T3_T4_T5_mmT6_P12ihipStream_tbEUlT_E_NS1_11comp_targetILNS1_3genE10ELNS1_11target_archE1200ELNS1_3gpuE4ELNS1_3repE0EEENS1_30default_config_static_selectorELNS0_4arch9wavefront6targetE0EEEvS10_,comdat
.Lfunc_end359:
	.size	_ZN7rocprim17ROCPRIM_400000_NS6detail17trampoline_kernelINS0_14default_configENS1_21merge_config_selectorINS0_5tupleIJyyEEENS0_10empty_typeEEEZNS1_10merge_implIS3_NS0_12zip_iteratorINS5_IJN6thrust23THRUST_200600_302600_NS6detail15normal_iteratorINSC_10device_ptrIKyEEEESI_EEEEESK_NSA_INS5_IJNSE_INSF_IyEEEESM_EEEEEPS7_SP_SP_NSC_11hip_rocprim7__merge17predicate_wrapperIyyNSC_7greaterImEEEEEE10hipError_tPvRmT0_T1_T2_T3_T4_T5_mmT6_P12ihipStream_tbEUlT_E_NS1_11comp_targetILNS1_3genE10ELNS1_11target_archE1200ELNS1_3gpuE4ELNS1_3repE0EEENS1_30default_config_static_selectorELNS0_4arch9wavefront6targetE0EEEvS10_, .Lfunc_end359-_ZN7rocprim17ROCPRIM_400000_NS6detail17trampoline_kernelINS0_14default_configENS1_21merge_config_selectorINS0_5tupleIJyyEEENS0_10empty_typeEEEZNS1_10merge_implIS3_NS0_12zip_iteratorINS5_IJN6thrust23THRUST_200600_302600_NS6detail15normal_iteratorINSC_10device_ptrIKyEEEESI_EEEEESK_NSA_INS5_IJNSE_INSF_IyEEEESM_EEEEEPS7_SP_SP_NSC_11hip_rocprim7__merge17predicate_wrapperIyyNSC_7greaterImEEEEEE10hipError_tPvRmT0_T1_T2_T3_T4_T5_mmT6_P12ihipStream_tbEUlT_E_NS1_11comp_targetILNS1_3genE10ELNS1_11target_archE1200ELNS1_3gpuE4ELNS1_3repE0EEENS1_30default_config_static_selectorELNS0_4arch9wavefront6targetE0EEEvS10_
                                        ; -- End function
	.set _ZN7rocprim17ROCPRIM_400000_NS6detail17trampoline_kernelINS0_14default_configENS1_21merge_config_selectorINS0_5tupleIJyyEEENS0_10empty_typeEEEZNS1_10merge_implIS3_NS0_12zip_iteratorINS5_IJN6thrust23THRUST_200600_302600_NS6detail15normal_iteratorINSC_10device_ptrIKyEEEESI_EEEEESK_NSA_INS5_IJNSE_INSF_IyEEEESM_EEEEEPS7_SP_SP_NSC_11hip_rocprim7__merge17predicate_wrapperIyyNSC_7greaterImEEEEEE10hipError_tPvRmT0_T1_T2_T3_T4_T5_mmT6_P12ihipStream_tbEUlT_E_NS1_11comp_targetILNS1_3genE10ELNS1_11target_archE1200ELNS1_3gpuE4ELNS1_3repE0EEENS1_30default_config_static_selectorELNS0_4arch9wavefront6targetE0EEEvS10_.num_vgpr, 0
	.set _ZN7rocprim17ROCPRIM_400000_NS6detail17trampoline_kernelINS0_14default_configENS1_21merge_config_selectorINS0_5tupleIJyyEEENS0_10empty_typeEEEZNS1_10merge_implIS3_NS0_12zip_iteratorINS5_IJN6thrust23THRUST_200600_302600_NS6detail15normal_iteratorINSC_10device_ptrIKyEEEESI_EEEEESK_NSA_INS5_IJNSE_INSF_IyEEEESM_EEEEEPS7_SP_SP_NSC_11hip_rocprim7__merge17predicate_wrapperIyyNSC_7greaterImEEEEEE10hipError_tPvRmT0_T1_T2_T3_T4_T5_mmT6_P12ihipStream_tbEUlT_E_NS1_11comp_targetILNS1_3genE10ELNS1_11target_archE1200ELNS1_3gpuE4ELNS1_3repE0EEENS1_30default_config_static_selectorELNS0_4arch9wavefront6targetE0EEEvS10_.num_agpr, 0
	.set _ZN7rocprim17ROCPRIM_400000_NS6detail17trampoline_kernelINS0_14default_configENS1_21merge_config_selectorINS0_5tupleIJyyEEENS0_10empty_typeEEEZNS1_10merge_implIS3_NS0_12zip_iteratorINS5_IJN6thrust23THRUST_200600_302600_NS6detail15normal_iteratorINSC_10device_ptrIKyEEEESI_EEEEESK_NSA_INS5_IJNSE_INSF_IyEEEESM_EEEEEPS7_SP_SP_NSC_11hip_rocprim7__merge17predicate_wrapperIyyNSC_7greaterImEEEEEE10hipError_tPvRmT0_T1_T2_T3_T4_T5_mmT6_P12ihipStream_tbEUlT_E_NS1_11comp_targetILNS1_3genE10ELNS1_11target_archE1200ELNS1_3gpuE4ELNS1_3repE0EEENS1_30default_config_static_selectorELNS0_4arch9wavefront6targetE0EEEvS10_.numbered_sgpr, 0
	.set _ZN7rocprim17ROCPRIM_400000_NS6detail17trampoline_kernelINS0_14default_configENS1_21merge_config_selectorINS0_5tupleIJyyEEENS0_10empty_typeEEEZNS1_10merge_implIS3_NS0_12zip_iteratorINS5_IJN6thrust23THRUST_200600_302600_NS6detail15normal_iteratorINSC_10device_ptrIKyEEEESI_EEEEESK_NSA_INS5_IJNSE_INSF_IyEEEESM_EEEEEPS7_SP_SP_NSC_11hip_rocprim7__merge17predicate_wrapperIyyNSC_7greaterImEEEEEE10hipError_tPvRmT0_T1_T2_T3_T4_T5_mmT6_P12ihipStream_tbEUlT_E_NS1_11comp_targetILNS1_3genE10ELNS1_11target_archE1200ELNS1_3gpuE4ELNS1_3repE0EEENS1_30default_config_static_selectorELNS0_4arch9wavefront6targetE0EEEvS10_.num_named_barrier, 0
	.set _ZN7rocprim17ROCPRIM_400000_NS6detail17trampoline_kernelINS0_14default_configENS1_21merge_config_selectorINS0_5tupleIJyyEEENS0_10empty_typeEEEZNS1_10merge_implIS3_NS0_12zip_iteratorINS5_IJN6thrust23THRUST_200600_302600_NS6detail15normal_iteratorINSC_10device_ptrIKyEEEESI_EEEEESK_NSA_INS5_IJNSE_INSF_IyEEEESM_EEEEEPS7_SP_SP_NSC_11hip_rocprim7__merge17predicate_wrapperIyyNSC_7greaterImEEEEEE10hipError_tPvRmT0_T1_T2_T3_T4_T5_mmT6_P12ihipStream_tbEUlT_E_NS1_11comp_targetILNS1_3genE10ELNS1_11target_archE1200ELNS1_3gpuE4ELNS1_3repE0EEENS1_30default_config_static_selectorELNS0_4arch9wavefront6targetE0EEEvS10_.private_seg_size, 0
	.set _ZN7rocprim17ROCPRIM_400000_NS6detail17trampoline_kernelINS0_14default_configENS1_21merge_config_selectorINS0_5tupleIJyyEEENS0_10empty_typeEEEZNS1_10merge_implIS3_NS0_12zip_iteratorINS5_IJN6thrust23THRUST_200600_302600_NS6detail15normal_iteratorINSC_10device_ptrIKyEEEESI_EEEEESK_NSA_INS5_IJNSE_INSF_IyEEEESM_EEEEEPS7_SP_SP_NSC_11hip_rocprim7__merge17predicate_wrapperIyyNSC_7greaterImEEEEEE10hipError_tPvRmT0_T1_T2_T3_T4_T5_mmT6_P12ihipStream_tbEUlT_E_NS1_11comp_targetILNS1_3genE10ELNS1_11target_archE1200ELNS1_3gpuE4ELNS1_3repE0EEENS1_30default_config_static_selectorELNS0_4arch9wavefront6targetE0EEEvS10_.uses_vcc, 0
	.set _ZN7rocprim17ROCPRIM_400000_NS6detail17trampoline_kernelINS0_14default_configENS1_21merge_config_selectorINS0_5tupleIJyyEEENS0_10empty_typeEEEZNS1_10merge_implIS3_NS0_12zip_iteratorINS5_IJN6thrust23THRUST_200600_302600_NS6detail15normal_iteratorINSC_10device_ptrIKyEEEESI_EEEEESK_NSA_INS5_IJNSE_INSF_IyEEEESM_EEEEEPS7_SP_SP_NSC_11hip_rocprim7__merge17predicate_wrapperIyyNSC_7greaterImEEEEEE10hipError_tPvRmT0_T1_T2_T3_T4_T5_mmT6_P12ihipStream_tbEUlT_E_NS1_11comp_targetILNS1_3genE10ELNS1_11target_archE1200ELNS1_3gpuE4ELNS1_3repE0EEENS1_30default_config_static_selectorELNS0_4arch9wavefront6targetE0EEEvS10_.uses_flat_scratch, 0
	.set _ZN7rocprim17ROCPRIM_400000_NS6detail17trampoline_kernelINS0_14default_configENS1_21merge_config_selectorINS0_5tupleIJyyEEENS0_10empty_typeEEEZNS1_10merge_implIS3_NS0_12zip_iteratorINS5_IJN6thrust23THRUST_200600_302600_NS6detail15normal_iteratorINSC_10device_ptrIKyEEEESI_EEEEESK_NSA_INS5_IJNSE_INSF_IyEEEESM_EEEEEPS7_SP_SP_NSC_11hip_rocprim7__merge17predicate_wrapperIyyNSC_7greaterImEEEEEE10hipError_tPvRmT0_T1_T2_T3_T4_T5_mmT6_P12ihipStream_tbEUlT_E_NS1_11comp_targetILNS1_3genE10ELNS1_11target_archE1200ELNS1_3gpuE4ELNS1_3repE0EEENS1_30default_config_static_selectorELNS0_4arch9wavefront6targetE0EEEvS10_.has_dyn_sized_stack, 0
	.set _ZN7rocprim17ROCPRIM_400000_NS6detail17trampoline_kernelINS0_14default_configENS1_21merge_config_selectorINS0_5tupleIJyyEEENS0_10empty_typeEEEZNS1_10merge_implIS3_NS0_12zip_iteratorINS5_IJN6thrust23THRUST_200600_302600_NS6detail15normal_iteratorINSC_10device_ptrIKyEEEESI_EEEEESK_NSA_INS5_IJNSE_INSF_IyEEEESM_EEEEEPS7_SP_SP_NSC_11hip_rocprim7__merge17predicate_wrapperIyyNSC_7greaterImEEEEEE10hipError_tPvRmT0_T1_T2_T3_T4_T5_mmT6_P12ihipStream_tbEUlT_E_NS1_11comp_targetILNS1_3genE10ELNS1_11target_archE1200ELNS1_3gpuE4ELNS1_3repE0EEENS1_30default_config_static_selectorELNS0_4arch9wavefront6targetE0EEEvS10_.has_recursion, 0
	.set _ZN7rocprim17ROCPRIM_400000_NS6detail17trampoline_kernelINS0_14default_configENS1_21merge_config_selectorINS0_5tupleIJyyEEENS0_10empty_typeEEEZNS1_10merge_implIS3_NS0_12zip_iteratorINS5_IJN6thrust23THRUST_200600_302600_NS6detail15normal_iteratorINSC_10device_ptrIKyEEEESI_EEEEESK_NSA_INS5_IJNSE_INSF_IyEEEESM_EEEEEPS7_SP_SP_NSC_11hip_rocprim7__merge17predicate_wrapperIyyNSC_7greaterImEEEEEE10hipError_tPvRmT0_T1_T2_T3_T4_T5_mmT6_P12ihipStream_tbEUlT_E_NS1_11comp_targetILNS1_3genE10ELNS1_11target_archE1200ELNS1_3gpuE4ELNS1_3repE0EEENS1_30default_config_static_selectorELNS0_4arch9wavefront6targetE0EEEvS10_.has_indirect_call, 0
	.section	.AMDGPU.csdata,"",@progbits
; Kernel info:
; codeLenInByte = 0
; TotalNumSgprs: 0
; NumVgprs: 0
; ScratchSize: 0
; MemoryBound: 0
; FloatMode: 240
; IeeeMode: 1
; LDSByteSize: 0 bytes/workgroup (compile time only)
; SGPRBlocks: 0
; VGPRBlocks: 0
; NumSGPRsForWavesPerEU: 1
; NumVGPRsForWavesPerEU: 1
; Occupancy: 16
; WaveLimiterHint : 0
; COMPUTE_PGM_RSRC2:SCRATCH_EN: 0
; COMPUTE_PGM_RSRC2:USER_SGPR: 6
; COMPUTE_PGM_RSRC2:TRAP_HANDLER: 0
; COMPUTE_PGM_RSRC2:TGID_X_EN: 1
; COMPUTE_PGM_RSRC2:TGID_Y_EN: 0
; COMPUTE_PGM_RSRC2:TGID_Z_EN: 0
; COMPUTE_PGM_RSRC2:TIDIG_COMP_CNT: 0
	.section	.text._ZN7rocprim17ROCPRIM_400000_NS6detail17trampoline_kernelINS0_14default_configENS1_21merge_config_selectorINS0_5tupleIJyyEEENS0_10empty_typeEEEZNS1_10merge_implIS3_NS0_12zip_iteratorINS5_IJN6thrust23THRUST_200600_302600_NS6detail15normal_iteratorINSC_10device_ptrIKyEEEESI_EEEEESK_NSA_INS5_IJNSE_INSF_IyEEEESM_EEEEEPS7_SP_SP_NSC_11hip_rocprim7__merge17predicate_wrapperIyyNSC_7greaterImEEEEEE10hipError_tPvRmT0_T1_T2_T3_T4_T5_mmT6_P12ihipStream_tbEUlT_E_NS1_11comp_targetILNS1_3genE9ELNS1_11target_archE1100ELNS1_3gpuE3ELNS1_3repE0EEENS1_30default_config_static_selectorELNS0_4arch9wavefront6targetE0EEEvS10_,"axG",@progbits,_ZN7rocprim17ROCPRIM_400000_NS6detail17trampoline_kernelINS0_14default_configENS1_21merge_config_selectorINS0_5tupleIJyyEEENS0_10empty_typeEEEZNS1_10merge_implIS3_NS0_12zip_iteratorINS5_IJN6thrust23THRUST_200600_302600_NS6detail15normal_iteratorINSC_10device_ptrIKyEEEESI_EEEEESK_NSA_INS5_IJNSE_INSF_IyEEEESM_EEEEEPS7_SP_SP_NSC_11hip_rocprim7__merge17predicate_wrapperIyyNSC_7greaterImEEEEEE10hipError_tPvRmT0_T1_T2_T3_T4_T5_mmT6_P12ihipStream_tbEUlT_E_NS1_11comp_targetILNS1_3genE9ELNS1_11target_archE1100ELNS1_3gpuE3ELNS1_3repE0EEENS1_30default_config_static_selectorELNS0_4arch9wavefront6targetE0EEEvS10_,comdat
	.protected	_ZN7rocprim17ROCPRIM_400000_NS6detail17trampoline_kernelINS0_14default_configENS1_21merge_config_selectorINS0_5tupleIJyyEEENS0_10empty_typeEEEZNS1_10merge_implIS3_NS0_12zip_iteratorINS5_IJN6thrust23THRUST_200600_302600_NS6detail15normal_iteratorINSC_10device_ptrIKyEEEESI_EEEEESK_NSA_INS5_IJNSE_INSF_IyEEEESM_EEEEEPS7_SP_SP_NSC_11hip_rocprim7__merge17predicate_wrapperIyyNSC_7greaterImEEEEEE10hipError_tPvRmT0_T1_T2_T3_T4_T5_mmT6_P12ihipStream_tbEUlT_E_NS1_11comp_targetILNS1_3genE9ELNS1_11target_archE1100ELNS1_3gpuE3ELNS1_3repE0EEENS1_30default_config_static_selectorELNS0_4arch9wavefront6targetE0EEEvS10_ ; -- Begin function _ZN7rocprim17ROCPRIM_400000_NS6detail17trampoline_kernelINS0_14default_configENS1_21merge_config_selectorINS0_5tupleIJyyEEENS0_10empty_typeEEEZNS1_10merge_implIS3_NS0_12zip_iteratorINS5_IJN6thrust23THRUST_200600_302600_NS6detail15normal_iteratorINSC_10device_ptrIKyEEEESI_EEEEESK_NSA_INS5_IJNSE_INSF_IyEEEESM_EEEEEPS7_SP_SP_NSC_11hip_rocprim7__merge17predicate_wrapperIyyNSC_7greaterImEEEEEE10hipError_tPvRmT0_T1_T2_T3_T4_T5_mmT6_P12ihipStream_tbEUlT_E_NS1_11comp_targetILNS1_3genE9ELNS1_11target_archE1100ELNS1_3gpuE3ELNS1_3repE0EEENS1_30default_config_static_selectorELNS0_4arch9wavefront6targetE0EEEvS10_
	.globl	_ZN7rocprim17ROCPRIM_400000_NS6detail17trampoline_kernelINS0_14default_configENS1_21merge_config_selectorINS0_5tupleIJyyEEENS0_10empty_typeEEEZNS1_10merge_implIS3_NS0_12zip_iteratorINS5_IJN6thrust23THRUST_200600_302600_NS6detail15normal_iteratorINSC_10device_ptrIKyEEEESI_EEEEESK_NSA_INS5_IJNSE_INSF_IyEEEESM_EEEEEPS7_SP_SP_NSC_11hip_rocprim7__merge17predicate_wrapperIyyNSC_7greaterImEEEEEE10hipError_tPvRmT0_T1_T2_T3_T4_T5_mmT6_P12ihipStream_tbEUlT_E_NS1_11comp_targetILNS1_3genE9ELNS1_11target_archE1100ELNS1_3gpuE3ELNS1_3repE0EEENS1_30default_config_static_selectorELNS0_4arch9wavefront6targetE0EEEvS10_
	.p2align	8
	.type	_ZN7rocprim17ROCPRIM_400000_NS6detail17trampoline_kernelINS0_14default_configENS1_21merge_config_selectorINS0_5tupleIJyyEEENS0_10empty_typeEEEZNS1_10merge_implIS3_NS0_12zip_iteratorINS5_IJN6thrust23THRUST_200600_302600_NS6detail15normal_iteratorINSC_10device_ptrIKyEEEESI_EEEEESK_NSA_INS5_IJNSE_INSF_IyEEEESM_EEEEEPS7_SP_SP_NSC_11hip_rocprim7__merge17predicate_wrapperIyyNSC_7greaterImEEEEEE10hipError_tPvRmT0_T1_T2_T3_T4_T5_mmT6_P12ihipStream_tbEUlT_E_NS1_11comp_targetILNS1_3genE9ELNS1_11target_archE1100ELNS1_3gpuE3ELNS1_3repE0EEENS1_30default_config_static_selectorELNS0_4arch9wavefront6targetE0EEEvS10_,@function
_ZN7rocprim17ROCPRIM_400000_NS6detail17trampoline_kernelINS0_14default_configENS1_21merge_config_selectorINS0_5tupleIJyyEEENS0_10empty_typeEEEZNS1_10merge_implIS3_NS0_12zip_iteratorINS5_IJN6thrust23THRUST_200600_302600_NS6detail15normal_iteratorINSC_10device_ptrIKyEEEESI_EEEEESK_NSA_INS5_IJNSE_INSF_IyEEEESM_EEEEEPS7_SP_SP_NSC_11hip_rocprim7__merge17predicate_wrapperIyyNSC_7greaterImEEEEEE10hipError_tPvRmT0_T1_T2_T3_T4_T5_mmT6_P12ihipStream_tbEUlT_E_NS1_11comp_targetILNS1_3genE9ELNS1_11target_archE1100ELNS1_3gpuE3ELNS1_3repE0EEENS1_30default_config_static_selectorELNS0_4arch9wavefront6targetE0EEEvS10_: ; @_ZN7rocprim17ROCPRIM_400000_NS6detail17trampoline_kernelINS0_14default_configENS1_21merge_config_selectorINS0_5tupleIJyyEEENS0_10empty_typeEEEZNS1_10merge_implIS3_NS0_12zip_iteratorINS5_IJN6thrust23THRUST_200600_302600_NS6detail15normal_iteratorINSC_10device_ptrIKyEEEESI_EEEEESK_NSA_INS5_IJNSE_INSF_IyEEEESM_EEEEEPS7_SP_SP_NSC_11hip_rocprim7__merge17predicate_wrapperIyyNSC_7greaterImEEEEEE10hipError_tPvRmT0_T1_T2_T3_T4_T5_mmT6_P12ihipStream_tbEUlT_E_NS1_11comp_targetILNS1_3genE9ELNS1_11target_archE1100ELNS1_3gpuE3ELNS1_3repE0EEENS1_30default_config_static_selectorELNS0_4arch9wavefront6targetE0EEEvS10_
; %bb.0:
	.section	.rodata,"a",@progbits
	.p2align	6, 0x0
	.amdhsa_kernel _ZN7rocprim17ROCPRIM_400000_NS6detail17trampoline_kernelINS0_14default_configENS1_21merge_config_selectorINS0_5tupleIJyyEEENS0_10empty_typeEEEZNS1_10merge_implIS3_NS0_12zip_iteratorINS5_IJN6thrust23THRUST_200600_302600_NS6detail15normal_iteratorINSC_10device_ptrIKyEEEESI_EEEEESK_NSA_INS5_IJNSE_INSF_IyEEEESM_EEEEEPS7_SP_SP_NSC_11hip_rocprim7__merge17predicate_wrapperIyyNSC_7greaterImEEEEEE10hipError_tPvRmT0_T1_T2_T3_T4_T5_mmT6_P12ihipStream_tbEUlT_E_NS1_11comp_targetILNS1_3genE9ELNS1_11target_archE1100ELNS1_3gpuE3ELNS1_3repE0EEENS1_30default_config_static_selectorELNS0_4arch9wavefront6targetE0EEEvS10_
		.amdhsa_group_segment_fixed_size 0
		.amdhsa_private_segment_fixed_size 0
		.amdhsa_kernarg_size 64
		.amdhsa_user_sgpr_count 6
		.amdhsa_user_sgpr_private_segment_buffer 1
		.amdhsa_user_sgpr_dispatch_ptr 0
		.amdhsa_user_sgpr_queue_ptr 0
		.amdhsa_user_sgpr_kernarg_segment_ptr 1
		.amdhsa_user_sgpr_dispatch_id 0
		.amdhsa_user_sgpr_flat_scratch_init 0
		.amdhsa_user_sgpr_private_segment_size 0
		.amdhsa_wavefront_size32 1
		.amdhsa_uses_dynamic_stack 0
		.amdhsa_system_sgpr_private_segment_wavefront_offset 0
		.amdhsa_system_sgpr_workgroup_id_x 1
		.amdhsa_system_sgpr_workgroup_id_y 0
		.amdhsa_system_sgpr_workgroup_id_z 0
		.amdhsa_system_sgpr_workgroup_info 0
		.amdhsa_system_vgpr_workitem_id 0
		.amdhsa_next_free_vgpr 1
		.amdhsa_next_free_sgpr 1
		.amdhsa_reserve_vcc 0
		.amdhsa_reserve_flat_scratch 0
		.amdhsa_float_round_mode_32 0
		.amdhsa_float_round_mode_16_64 0
		.amdhsa_float_denorm_mode_32 3
		.amdhsa_float_denorm_mode_16_64 3
		.amdhsa_dx10_clamp 1
		.amdhsa_ieee_mode 1
		.amdhsa_fp16_overflow 0
		.amdhsa_workgroup_processor_mode 1
		.amdhsa_memory_ordered 1
		.amdhsa_forward_progress 1
		.amdhsa_shared_vgpr_count 0
		.amdhsa_exception_fp_ieee_invalid_op 0
		.amdhsa_exception_fp_denorm_src 0
		.amdhsa_exception_fp_ieee_div_zero 0
		.amdhsa_exception_fp_ieee_overflow 0
		.amdhsa_exception_fp_ieee_underflow 0
		.amdhsa_exception_fp_ieee_inexact 0
		.amdhsa_exception_int_div_zero 0
	.end_amdhsa_kernel
	.section	.text._ZN7rocprim17ROCPRIM_400000_NS6detail17trampoline_kernelINS0_14default_configENS1_21merge_config_selectorINS0_5tupleIJyyEEENS0_10empty_typeEEEZNS1_10merge_implIS3_NS0_12zip_iteratorINS5_IJN6thrust23THRUST_200600_302600_NS6detail15normal_iteratorINSC_10device_ptrIKyEEEESI_EEEEESK_NSA_INS5_IJNSE_INSF_IyEEEESM_EEEEEPS7_SP_SP_NSC_11hip_rocprim7__merge17predicate_wrapperIyyNSC_7greaterImEEEEEE10hipError_tPvRmT0_T1_T2_T3_T4_T5_mmT6_P12ihipStream_tbEUlT_E_NS1_11comp_targetILNS1_3genE9ELNS1_11target_archE1100ELNS1_3gpuE3ELNS1_3repE0EEENS1_30default_config_static_selectorELNS0_4arch9wavefront6targetE0EEEvS10_,"axG",@progbits,_ZN7rocprim17ROCPRIM_400000_NS6detail17trampoline_kernelINS0_14default_configENS1_21merge_config_selectorINS0_5tupleIJyyEEENS0_10empty_typeEEEZNS1_10merge_implIS3_NS0_12zip_iteratorINS5_IJN6thrust23THRUST_200600_302600_NS6detail15normal_iteratorINSC_10device_ptrIKyEEEESI_EEEEESK_NSA_INS5_IJNSE_INSF_IyEEEESM_EEEEEPS7_SP_SP_NSC_11hip_rocprim7__merge17predicate_wrapperIyyNSC_7greaterImEEEEEE10hipError_tPvRmT0_T1_T2_T3_T4_T5_mmT6_P12ihipStream_tbEUlT_E_NS1_11comp_targetILNS1_3genE9ELNS1_11target_archE1100ELNS1_3gpuE3ELNS1_3repE0EEENS1_30default_config_static_selectorELNS0_4arch9wavefront6targetE0EEEvS10_,comdat
.Lfunc_end360:
	.size	_ZN7rocprim17ROCPRIM_400000_NS6detail17trampoline_kernelINS0_14default_configENS1_21merge_config_selectorINS0_5tupleIJyyEEENS0_10empty_typeEEEZNS1_10merge_implIS3_NS0_12zip_iteratorINS5_IJN6thrust23THRUST_200600_302600_NS6detail15normal_iteratorINSC_10device_ptrIKyEEEESI_EEEEESK_NSA_INS5_IJNSE_INSF_IyEEEESM_EEEEEPS7_SP_SP_NSC_11hip_rocprim7__merge17predicate_wrapperIyyNSC_7greaterImEEEEEE10hipError_tPvRmT0_T1_T2_T3_T4_T5_mmT6_P12ihipStream_tbEUlT_E_NS1_11comp_targetILNS1_3genE9ELNS1_11target_archE1100ELNS1_3gpuE3ELNS1_3repE0EEENS1_30default_config_static_selectorELNS0_4arch9wavefront6targetE0EEEvS10_, .Lfunc_end360-_ZN7rocprim17ROCPRIM_400000_NS6detail17trampoline_kernelINS0_14default_configENS1_21merge_config_selectorINS0_5tupleIJyyEEENS0_10empty_typeEEEZNS1_10merge_implIS3_NS0_12zip_iteratorINS5_IJN6thrust23THRUST_200600_302600_NS6detail15normal_iteratorINSC_10device_ptrIKyEEEESI_EEEEESK_NSA_INS5_IJNSE_INSF_IyEEEESM_EEEEEPS7_SP_SP_NSC_11hip_rocprim7__merge17predicate_wrapperIyyNSC_7greaterImEEEEEE10hipError_tPvRmT0_T1_T2_T3_T4_T5_mmT6_P12ihipStream_tbEUlT_E_NS1_11comp_targetILNS1_3genE9ELNS1_11target_archE1100ELNS1_3gpuE3ELNS1_3repE0EEENS1_30default_config_static_selectorELNS0_4arch9wavefront6targetE0EEEvS10_
                                        ; -- End function
	.set _ZN7rocprim17ROCPRIM_400000_NS6detail17trampoline_kernelINS0_14default_configENS1_21merge_config_selectorINS0_5tupleIJyyEEENS0_10empty_typeEEEZNS1_10merge_implIS3_NS0_12zip_iteratorINS5_IJN6thrust23THRUST_200600_302600_NS6detail15normal_iteratorINSC_10device_ptrIKyEEEESI_EEEEESK_NSA_INS5_IJNSE_INSF_IyEEEESM_EEEEEPS7_SP_SP_NSC_11hip_rocprim7__merge17predicate_wrapperIyyNSC_7greaterImEEEEEE10hipError_tPvRmT0_T1_T2_T3_T4_T5_mmT6_P12ihipStream_tbEUlT_E_NS1_11comp_targetILNS1_3genE9ELNS1_11target_archE1100ELNS1_3gpuE3ELNS1_3repE0EEENS1_30default_config_static_selectorELNS0_4arch9wavefront6targetE0EEEvS10_.num_vgpr, 0
	.set _ZN7rocprim17ROCPRIM_400000_NS6detail17trampoline_kernelINS0_14default_configENS1_21merge_config_selectorINS0_5tupleIJyyEEENS0_10empty_typeEEEZNS1_10merge_implIS3_NS0_12zip_iteratorINS5_IJN6thrust23THRUST_200600_302600_NS6detail15normal_iteratorINSC_10device_ptrIKyEEEESI_EEEEESK_NSA_INS5_IJNSE_INSF_IyEEEESM_EEEEEPS7_SP_SP_NSC_11hip_rocprim7__merge17predicate_wrapperIyyNSC_7greaterImEEEEEE10hipError_tPvRmT0_T1_T2_T3_T4_T5_mmT6_P12ihipStream_tbEUlT_E_NS1_11comp_targetILNS1_3genE9ELNS1_11target_archE1100ELNS1_3gpuE3ELNS1_3repE0EEENS1_30default_config_static_selectorELNS0_4arch9wavefront6targetE0EEEvS10_.num_agpr, 0
	.set _ZN7rocprim17ROCPRIM_400000_NS6detail17trampoline_kernelINS0_14default_configENS1_21merge_config_selectorINS0_5tupleIJyyEEENS0_10empty_typeEEEZNS1_10merge_implIS3_NS0_12zip_iteratorINS5_IJN6thrust23THRUST_200600_302600_NS6detail15normal_iteratorINSC_10device_ptrIKyEEEESI_EEEEESK_NSA_INS5_IJNSE_INSF_IyEEEESM_EEEEEPS7_SP_SP_NSC_11hip_rocprim7__merge17predicate_wrapperIyyNSC_7greaterImEEEEEE10hipError_tPvRmT0_T1_T2_T3_T4_T5_mmT6_P12ihipStream_tbEUlT_E_NS1_11comp_targetILNS1_3genE9ELNS1_11target_archE1100ELNS1_3gpuE3ELNS1_3repE0EEENS1_30default_config_static_selectorELNS0_4arch9wavefront6targetE0EEEvS10_.numbered_sgpr, 0
	.set _ZN7rocprim17ROCPRIM_400000_NS6detail17trampoline_kernelINS0_14default_configENS1_21merge_config_selectorINS0_5tupleIJyyEEENS0_10empty_typeEEEZNS1_10merge_implIS3_NS0_12zip_iteratorINS5_IJN6thrust23THRUST_200600_302600_NS6detail15normal_iteratorINSC_10device_ptrIKyEEEESI_EEEEESK_NSA_INS5_IJNSE_INSF_IyEEEESM_EEEEEPS7_SP_SP_NSC_11hip_rocprim7__merge17predicate_wrapperIyyNSC_7greaterImEEEEEE10hipError_tPvRmT0_T1_T2_T3_T4_T5_mmT6_P12ihipStream_tbEUlT_E_NS1_11comp_targetILNS1_3genE9ELNS1_11target_archE1100ELNS1_3gpuE3ELNS1_3repE0EEENS1_30default_config_static_selectorELNS0_4arch9wavefront6targetE0EEEvS10_.num_named_barrier, 0
	.set _ZN7rocprim17ROCPRIM_400000_NS6detail17trampoline_kernelINS0_14default_configENS1_21merge_config_selectorINS0_5tupleIJyyEEENS0_10empty_typeEEEZNS1_10merge_implIS3_NS0_12zip_iteratorINS5_IJN6thrust23THRUST_200600_302600_NS6detail15normal_iteratorINSC_10device_ptrIKyEEEESI_EEEEESK_NSA_INS5_IJNSE_INSF_IyEEEESM_EEEEEPS7_SP_SP_NSC_11hip_rocprim7__merge17predicate_wrapperIyyNSC_7greaterImEEEEEE10hipError_tPvRmT0_T1_T2_T3_T4_T5_mmT6_P12ihipStream_tbEUlT_E_NS1_11comp_targetILNS1_3genE9ELNS1_11target_archE1100ELNS1_3gpuE3ELNS1_3repE0EEENS1_30default_config_static_selectorELNS0_4arch9wavefront6targetE0EEEvS10_.private_seg_size, 0
	.set _ZN7rocprim17ROCPRIM_400000_NS6detail17trampoline_kernelINS0_14default_configENS1_21merge_config_selectorINS0_5tupleIJyyEEENS0_10empty_typeEEEZNS1_10merge_implIS3_NS0_12zip_iteratorINS5_IJN6thrust23THRUST_200600_302600_NS6detail15normal_iteratorINSC_10device_ptrIKyEEEESI_EEEEESK_NSA_INS5_IJNSE_INSF_IyEEEESM_EEEEEPS7_SP_SP_NSC_11hip_rocprim7__merge17predicate_wrapperIyyNSC_7greaterImEEEEEE10hipError_tPvRmT0_T1_T2_T3_T4_T5_mmT6_P12ihipStream_tbEUlT_E_NS1_11comp_targetILNS1_3genE9ELNS1_11target_archE1100ELNS1_3gpuE3ELNS1_3repE0EEENS1_30default_config_static_selectorELNS0_4arch9wavefront6targetE0EEEvS10_.uses_vcc, 0
	.set _ZN7rocprim17ROCPRIM_400000_NS6detail17trampoline_kernelINS0_14default_configENS1_21merge_config_selectorINS0_5tupleIJyyEEENS0_10empty_typeEEEZNS1_10merge_implIS3_NS0_12zip_iteratorINS5_IJN6thrust23THRUST_200600_302600_NS6detail15normal_iteratorINSC_10device_ptrIKyEEEESI_EEEEESK_NSA_INS5_IJNSE_INSF_IyEEEESM_EEEEEPS7_SP_SP_NSC_11hip_rocprim7__merge17predicate_wrapperIyyNSC_7greaterImEEEEEE10hipError_tPvRmT0_T1_T2_T3_T4_T5_mmT6_P12ihipStream_tbEUlT_E_NS1_11comp_targetILNS1_3genE9ELNS1_11target_archE1100ELNS1_3gpuE3ELNS1_3repE0EEENS1_30default_config_static_selectorELNS0_4arch9wavefront6targetE0EEEvS10_.uses_flat_scratch, 0
	.set _ZN7rocprim17ROCPRIM_400000_NS6detail17trampoline_kernelINS0_14default_configENS1_21merge_config_selectorINS0_5tupleIJyyEEENS0_10empty_typeEEEZNS1_10merge_implIS3_NS0_12zip_iteratorINS5_IJN6thrust23THRUST_200600_302600_NS6detail15normal_iteratorINSC_10device_ptrIKyEEEESI_EEEEESK_NSA_INS5_IJNSE_INSF_IyEEEESM_EEEEEPS7_SP_SP_NSC_11hip_rocprim7__merge17predicate_wrapperIyyNSC_7greaterImEEEEEE10hipError_tPvRmT0_T1_T2_T3_T4_T5_mmT6_P12ihipStream_tbEUlT_E_NS1_11comp_targetILNS1_3genE9ELNS1_11target_archE1100ELNS1_3gpuE3ELNS1_3repE0EEENS1_30default_config_static_selectorELNS0_4arch9wavefront6targetE0EEEvS10_.has_dyn_sized_stack, 0
	.set _ZN7rocprim17ROCPRIM_400000_NS6detail17trampoline_kernelINS0_14default_configENS1_21merge_config_selectorINS0_5tupleIJyyEEENS0_10empty_typeEEEZNS1_10merge_implIS3_NS0_12zip_iteratorINS5_IJN6thrust23THRUST_200600_302600_NS6detail15normal_iteratorINSC_10device_ptrIKyEEEESI_EEEEESK_NSA_INS5_IJNSE_INSF_IyEEEESM_EEEEEPS7_SP_SP_NSC_11hip_rocprim7__merge17predicate_wrapperIyyNSC_7greaterImEEEEEE10hipError_tPvRmT0_T1_T2_T3_T4_T5_mmT6_P12ihipStream_tbEUlT_E_NS1_11comp_targetILNS1_3genE9ELNS1_11target_archE1100ELNS1_3gpuE3ELNS1_3repE0EEENS1_30default_config_static_selectorELNS0_4arch9wavefront6targetE0EEEvS10_.has_recursion, 0
	.set _ZN7rocprim17ROCPRIM_400000_NS6detail17trampoline_kernelINS0_14default_configENS1_21merge_config_selectorINS0_5tupleIJyyEEENS0_10empty_typeEEEZNS1_10merge_implIS3_NS0_12zip_iteratorINS5_IJN6thrust23THRUST_200600_302600_NS6detail15normal_iteratorINSC_10device_ptrIKyEEEESI_EEEEESK_NSA_INS5_IJNSE_INSF_IyEEEESM_EEEEEPS7_SP_SP_NSC_11hip_rocprim7__merge17predicate_wrapperIyyNSC_7greaterImEEEEEE10hipError_tPvRmT0_T1_T2_T3_T4_T5_mmT6_P12ihipStream_tbEUlT_E_NS1_11comp_targetILNS1_3genE9ELNS1_11target_archE1100ELNS1_3gpuE3ELNS1_3repE0EEENS1_30default_config_static_selectorELNS0_4arch9wavefront6targetE0EEEvS10_.has_indirect_call, 0
	.section	.AMDGPU.csdata,"",@progbits
; Kernel info:
; codeLenInByte = 0
; TotalNumSgprs: 0
; NumVgprs: 0
; ScratchSize: 0
; MemoryBound: 0
; FloatMode: 240
; IeeeMode: 1
; LDSByteSize: 0 bytes/workgroup (compile time only)
; SGPRBlocks: 0
; VGPRBlocks: 0
; NumSGPRsForWavesPerEU: 1
; NumVGPRsForWavesPerEU: 1
; Occupancy: 16
; WaveLimiterHint : 0
; COMPUTE_PGM_RSRC2:SCRATCH_EN: 0
; COMPUTE_PGM_RSRC2:USER_SGPR: 6
; COMPUTE_PGM_RSRC2:TRAP_HANDLER: 0
; COMPUTE_PGM_RSRC2:TGID_X_EN: 1
; COMPUTE_PGM_RSRC2:TGID_Y_EN: 0
; COMPUTE_PGM_RSRC2:TGID_Z_EN: 0
; COMPUTE_PGM_RSRC2:TIDIG_COMP_CNT: 0
	.section	.text._ZN7rocprim17ROCPRIM_400000_NS6detail17trampoline_kernelINS0_14default_configENS1_21merge_config_selectorINS0_5tupleIJyyEEENS0_10empty_typeEEEZNS1_10merge_implIS3_NS0_12zip_iteratorINS5_IJN6thrust23THRUST_200600_302600_NS6detail15normal_iteratorINSC_10device_ptrIKyEEEESI_EEEEESK_NSA_INS5_IJNSE_INSF_IyEEEESM_EEEEEPS7_SP_SP_NSC_11hip_rocprim7__merge17predicate_wrapperIyyNSC_7greaterImEEEEEE10hipError_tPvRmT0_T1_T2_T3_T4_T5_mmT6_P12ihipStream_tbEUlT_E_NS1_11comp_targetILNS1_3genE8ELNS1_11target_archE1030ELNS1_3gpuE2ELNS1_3repE0EEENS1_30default_config_static_selectorELNS0_4arch9wavefront6targetE0EEEvS10_,"axG",@progbits,_ZN7rocprim17ROCPRIM_400000_NS6detail17trampoline_kernelINS0_14default_configENS1_21merge_config_selectorINS0_5tupleIJyyEEENS0_10empty_typeEEEZNS1_10merge_implIS3_NS0_12zip_iteratorINS5_IJN6thrust23THRUST_200600_302600_NS6detail15normal_iteratorINSC_10device_ptrIKyEEEESI_EEEEESK_NSA_INS5_IJNSE_INSF_IyEEEESM_EEEEEPS7_SP_SP_NSC_11hip_rocprim7__merge17predicate_wrapperIyyNSC_7greaterImEEEEEE10hipError_tPvRmT0_T1_T2_T3_T4_T5_mmT6_P12ihipStream_tbEUlT_E_NS1_11comp_targetILNS1_3genE8ELNS1_11target_archE1030ELNS1_3gpuE2ELNS1_3repE0EEENS1_30default_config_static_selectorELNS0_4arch9wavefront6targetE0EEEvS10_,comdat
	.protected	_ZN7rocprim17ROCPRIM_400000_NS6detail17trampoline_kernelINS0_14default_configENS1_21merge_config_selectorINS0_5tupleIJyyEEENS0_10empty_typeEEEZNS1_10merge_implIS3_NS0_12zip_iteratorINS5_IJN6thrust23THRUST_200600_302600_NS6detail15normal_iteratorINSC_10device_ptrIKyEEEESI_EEEEESK_NSA_INS5_IJNSE_INSF_IyEEEESM_EEEEEPS7_SP_SP_NSC_11hip_rocprim7__merge17predicate_wrapperIyyNSC_7greaterImEEEEEE10hipError_tPvRmT0_T1_T2_T3_T4_T5_mmT6_P12ihipStream_tbEUlT_E_NS1_11comp_targetILNS1_3genE8ELNS1_11target_archE1030ELNS1_3gpuE2ELNS1_3repE0EEENS1_30default_config_static_selectorELNS0_4arch9wavefront6targetE0EEEvS10_ ; -- Begin function _ZN7rocprim17ROCPRIM_400000_NS6detail17trampoline_kernelINS0_14default_configENS1_21merge_config_selectorINS0_5tupleIJyyEEENS0_10empty_typeEEEZNS1_10merge_implIS3_NS0_12zip_iteratorINS5_IJN6thrust23THRUST_200600_302600_NS6detail15normal_iteratorINSC_10device_ptrIKyEEEESI_EEEEESK_NSA_INS5_IJNSE_INSF_IyEEEESM_EEEEEPS7_SP_SP_NSC_11hip_rocprim7__merge17predicate_wrapperIyyNSC_7greaterImEEEEEE10hipError_tPvRmT0_T1_T2_T3_T4_T5_mmT6_P12ihipStream_tbEUlT_E_NS1_11comp_targetILNS1_3genE8ELNS1_11target_archE1030ELNS1_3gpuE2ELNS1_3repE0EEENS1_30default_config_static_selectorELNS0_4arch9wavefront6targetE0EEEvS10_
	.globl	_ZN7rocprim17ROCPRIM_400000_NS6detail17trampoline_kernelINS0_14default_configENS1_21merge_config_selectorINS0_5tupleIJyyEEENS0_10empty_typeEEEZNS1_10merge_implIS3_NS0_12zip_iteratorINS5_IJN6thrust23THRUST_200600_302600_NS6detail15normal_iteratorINSC_10device_ptrIKyEEEESI_EEEEESK_NSA_INS5_IJNSE_INSF_IyEEEESM_EEEEEPS7_SP_SP_NSC_11hip_rocprim7__merge17predicate_wrapperIyyNSC_7greaterImEEEEEE10hipError_tPvRmT0_T1_T2_T3_T4_T5_mmT6_P12ihipStream_tbEUlT_E_NS1_11comp_targetILNS1_3genE8ELNS1_11target_archE1030ELNS1_3gpuE2ELNS1_3repE0EEENS1_30default_config_static_selectorELNS0_4arch9wavefront6targetE0EEEvS10_
	.p2align	8
	.type	_ZN7rocprim17ROCPRIM_400000_NS6detail17trampoline_kernelINS0_14default_configENS1_21merge_config_selectorINS0_5tupleIJyyEEENS0_10empty_typeEEEZNS1_10merge_implIS3_NS0_12zip_iteratorINS5_IJN6thrust23THRUST_200600_302600_NS6detail15normal_iteratorINSC_10device_ptrIKyEEEESI_EEEEESK_NSA_INS5_IJNSE_INSF_IyEEEESM_EEEEEPS7_SP_SP_NSC_11hip_rocprim7__merge17predicate_wrapperIyyNSC_7greaterImEEEEEE10hipError_tPvRmT0_T1_T2_T3_T4_T5_mmT6_P12ihipStream_tbEUlT_E_NS1_11comp_targetILNS1_3genE8ELNS1_11target_archE1030ELNS1_3gpuE2ELNS1_3repE0EEENS1_30default_config_static_selectorELNS0_4arch9wavefront6targetE0EEEvS10_,@function
_ZN7rocprim17ROCPRIM_400000_NS6detail17trampoline_kernelINS0_14default_configENS1_21merge_config_selectorINS0_5tupleIJyyEEENS0_10empty_typeEEEZNS1_10merge_implIS3_NS0_12zip_iteratorINS5_IJN6thrust23THRUST_200600_302600_NS6detail15normal_iteratorINSC_10device_ptrIKyEEEESI_EEEEESK_NSA_INS5_IJNSE_INSF_IyEEEESM_EEEEEPS7_SP_SP_NSC_11hip_rocprim7__merge17predicate_wrapperIyyNSC_7greaterImEEEEEE10hipError_tPvRmT0_T1_T2_T3_T4_T5_mmT6_P12ihipStream_tbEUlT_E_NS1_11comp_targetILNS1_3genE8ELNS1_11target_archE1030ELNS1_3gpuE2ELNS1_3repE0EEENS1_30default_config_static_selectorELNS0_4arch9wavefront6targetE0EEEvS10_: ; @_ZN7rocprim17ROCPRIM_400000_NS6detail17trampoline_kernelINS0_14default_configENS1_21merge_config_selectorINS0_5tupleIJyyEEENS0_10empty_typeEEEZNS1_10merge_implIS3_NS0_12zip_iteratorINS5_IJN6thrust23THRUST_200600_302600_NS6detail15normal_iteratorINSC_10device_ptrIKyEEEESI_EEEEESK_NSA_INS5_IJNSE_INSF_IyEEEESM_EEEEEPS7_SP_SP_NSC_11hip_rocprim7__merge17predicate_wrapperIyyNSC_7greaterImEEEEEE10hipError_tPvRmT0_T1_T2_T3_T4_T5_mmT6_P12ihipStream_tbEUlT_E_NS1_11comp_targetILNS1_3genE8ELNS1_11target_archE1030ELNS1_3gpuE2ELNS1_3repE0EEENS1_30default_config_static_selectorELNS0_4arch9wavefront6targetE0EEEvS10_
; %bb.0:
	s_clause 0x2
	s_load_dword s2, s[4:5], 0x38
	s_load_dword s0, s[4:5], 0x4c
	s_load_dwordx4 s[12:15], s[4:5], 0x28
	s_waitcnt lgkmcnt(0)
	v_cvt_f32_u32_e32 v1, s2
	s_and_b32 s3, s0, 0xffff
	s_add_u32 s0, s14, s12
	s_addc_u32 s1, s15, s13
	s_sub_i32 s8, 0, s2
	v_rcp_iflag_f32_e32 v1, v1
	s_add_i32 s9, s2, s0
	s_add_i32 s9, s9, -1
	v_mul_f32_e32 v1, 0x4f7ffffe, v1
	v_cvt_u32_f32_e32 v1, v1
	v_readfirstlane_b32 s7, v1
	v_mad_u64_u32 v[0:1], null, s6, s3, v[0:1]
	s_mul_i32 s8, s8, s7
	s_mul_hi_u32 s8, s7, s8
	s_add_i32 s7, s7, s8
	s_mul_hi_u32 s7, s9, s7
	s_mul_i32 s8, s7, s2
	s_sub_i32 s8, s9, s8
	s_add_i32 s9, s7, 1
	s_sub_i32 s10, s8, s2
	s_cmp_ge_u32 s8, s2
	s_cselect_b32 s3, s9, s7
	s_cselect_b32 s6, s10, s8
	s_add_i32 s7, s3, 1
	s_cmp_ge_u32 s6, s2
	s_cselect_b32 s3, s7, s3
	v_cmp_ge_u32_e32 vcc_lo, s3, v0
	s_and_saveexec_b32 s3, vcc_lo
	s_cbranch_execz .LBB361_6
; %bb.1:
	v_mul_lo_u32 v1, v0, s2
	v_mov_b32_e32 v2, 0
	s_load_dwordx4 s[8:11], s[4:5], 0x0
	v_cmp_gt_u64_e32 vcc_lo, s[0:1], v[1:2]
	v_cndmask_b32_e32 v6, s0, v1, vcc_lo
	v_cndmask_b32_e64 v7, s1, 0, vcc_lo
	s_mov_b32 s1, exec_lo
	v_sub_co_u32 v1, vcc_lo, v6, s14
	v_subrev_co_ci_u32_e64 v2, null, s15, v7, vcc_lo
	v_cmp_gt_u64_e64 s0, s[12:13], v[6:7]
	v_cmp_gt_u64_e32 vcc_lo, v[1:2], v[6:7]
	v_cndmask_b32_e64 v5, s13, v7, s0
	v_cndmask_b32_e64 v4, s12, v6, s0
	v_cndmask_b32_e64 v3, v2, 0, vcc_lo
	v_cndmask_b32_e64 v2, v1, 0, vcc_lo
	v_cmpx_lt_u64_e64 v[2:3], v[4:5]
	s_cbranch_execz .LBB361_5
; %bb.2:
	s_load_dwordx2 s[2:3], s[4:5], 0x18
	v_lshlrev_b64 v[6:7], 3, v[6:7]
	s_waitcnt lgkmcnt(0)
	v_add_co_u32 v1, vcc_lo, s2, v6
	v_add_co_ci_u32_e64 v6, null, s3, v7, vcc_lo
	s_mov_b32 s2, 0
	s_inst_prefetch 0x1
	.p2align	6
.LBB361_3:                              ; =>This Inner Loop Header: Depth=1
	v_add_co_u32 v7, vcc_lo, v4, v2
	v_add_co_ci_u32_e64 v8, null, v5, v3, vcc_lo
	v_lshrrev_b64 v[7:8], 1, v[7:8]
	v_lshlrev_b64 v[9:10], 3, v[7:8]
	v_xor_b32_e32 v11, -8, v9
	v_xor_b32_e32 v12, -1, v10
	v_add_co_u32 v9, vcc_lo, s10, v9
	v_add_co_ci_u32_e64 v10, null, s11, v10, vcc_lo
	v_add_co_u32 v11, vcc_lo, v1, v11
	v_add_co_ci_u32_e64 v12, null, v6, v12, vcc_lo
	v_add_co_u32 v13, vcc_lo, v7, 1
	global_load_dwordx2 v[9:10], v[9:10], off
	global_load_dwordx2 v[11:12], v[11:12], off
	s_waitcnt vmcnt(0)
	v_cmp_gt_u64_e64 s0, v[11:12], v[9:10]
	v_add_co_ci_u32_e64 v9, null, 0, v8, vcc_lo
	v_cndmask_b32_e64 v5, v5, v8, s0
	v_cndmask_b32_e64 v4, v4, v7, s0
	;; [unrolled: 1-line block ×4, first 2 shown]
	v_cmp_ge_u64_e32 vcc_lo, v[2:3], v[4:5]
	s_or_b32 s2, vcc_lo, s2
	s_andn2_b32 exec_lo, exec_lo, s2
	s_cbranch_execnz .LBB361_3
; %bb.4:
	s_inst_prefetch 0x2
	s_or_b32 exec_lo, exec_lo, s2
.LBB361_5:
	s_or_b32 exec_lo, exec_lo, s1
	v_mov_b32_e32 v1, 0
	v_lshlrev_b64 v[0:1], 2, v[0:1]
	s_waitcnt lgkmcnt(0)
	v_add_co_u32 v0, vcc_lo, s8, v0
	v_add_co_ci_u32_e64 v1, null, s9, v1, vcc_lo
	global_store_dword v[0:1], v2, off
.LBB361_6:
	s_endpgm
	.section	.rodata,"a",@progbits
	.p2align	6, 0x0
	.amdhsa_kernel _ZN7rocprim17ROCPRIM_400000_NS6detail17trampoline_kernelINS0_14default_configENS1_21merge_config_selectorINS0_5tupleIJyyEEENS0_10empty_typeEEEZNS1_10merge_implIS3_NS0_12zip_iteratorINS5_IJN6thrust23THRUST_200600_302600_NS6detail15normal_iteratorINSC_10device_ptrIKyEEEESI_EEEEESK_NSA_INS5_IJNSE_INSF_IyEEEESM_EEEEEPS7_SP_SP_NSC_11hip_rocprim7__merge17predicate_wrapperIyyNSC_7greaterImEEEEEE10hipError_tPvRmT0_T1_T2_T3_T4_T5_mmT6_P12ihipStream_tbEUlT_E_NS1_11comp_targetILNS1_3genE8ELNS1_11target_archE1030ELNS1_3gpuE2ELNS1_3repE0EEENS1_30default_config_static_selectorELNS0_4arch9wavefront6targetE0EEEvS10_
		.amdhsa_group_segment_fixed_size 0
		.amdhsa_private_segment_fixed_size 0
		.amdhsa_kernarg_size 320
		.amdhsa_user_sgpr_count 6
		.amdhsa_user_sgpr_private_segment_buffer 1
		.amdhsa_user_sgpr_dispatch_ptr 0
		.amdhsa_user_sgpr_queue_ptr 0
		.amdhsa_user_sgpr_kernarg_segment_ptr 1
		.amdhsa_user_sgpr_dispatch_id 0
		.amdhsa_user_sgpr_flat_scratch_init 0
		.amdhsa_user_sgpr_private_segment_size 0
		.amdhsa_wavefront_size32 1
		.amdhsa_uses_dynamic_stack 0
		.amdhsa_system_sgpr_private_segment_wavefront_offset 0
		.amdhsa_system_sgpr_workgroup_id_x 1
		.amdhsa_system_sgpr_workgroup_id_y 0
		.amdhsa_system_sgpr_workgroup_id_z 0
		.amdhsa_system_sgpr_workgroup_info 0
		.amdhsa_system_vgpr_workitem_id 0
		.amdhsa_next_free_vgpr 14
		.amdhsa_next_free_sgpr 16
		.amdhsa_reserve_vcc 1
		.amdhsa_reserve_flat_scratch 0
		.amdhsa_float_round_mode_32 0
		.amdhsa_float_round_mode_16_64 0
		.amdhsa_float_denorm_mode_32 3
		.amdhsa_float_denorm_mode_16_64 3
		.amdhsa_dx10_clamp 1
		.amdhsa_ieee_mode 1
		.amdhsa_fp16_overflow 0
		.amdhsa_workgroup_processor_mode 1
		.amdhsa_memory_ordered 1
		.amdhsa_forward_progress 1
		.amdhsa_shared_vgpr_count 0
		.amdhsa_exception_fp_ieee_invalid_op 0
		.amdhsa_exception_fp_denorm_src 0
		.amdhsa_exception_fp_ieee_div_zero 0
		.amdhsa_exception_fp_ieee_overflow 0
		.amdhsa_exception_fp_ieee_underflow 0
		.amdhsa_exception_fp_ieee_inexact 0
		.amdhsa_exception_int_div_zero 0
	.end_amdhsa_kernel
	.section	.text._ZN7rocprim17ROCPRIM_400000_NS6detail17trampoline_kernelINS0_14default_configENS1_21merge_config_selectorINS0_5tupleIJyyEEENS0_10empty_typeEEEZNS1_10merge_implIS3_NS0_12zip_iteratorINS5_IJN6thrust23THRUST_200600_302600_NS6detail15normal_iteratorINSC_10device_ptrIKyEEEESI_EEEEESK_NSA_INS5_IJNSE_INSF_IyEEEESM_EEEEEPS7_SP_SP_NSC_11hip_rocprim7__merge17predicate_wrapperIyyNSC_7greaterImEEEEEE10hipError_tPvRmT0_T1_T2_T3_T4_T5_mmT6_P12ihipStream_tbEUlT_E_NS1_11comp_targetILNS1_3genE8ELNS1_11target_archE1030ELNS1_3gpuE2ELNS1_3repE0EEENS1_30default_config_static_selectorELNS0_4arch9wavefront6targetE0EEEvS10_,"axG",@progbits,_ZN7rocprim17ROCPRIM_400000_NS6detail17trampoline_kernelINS0_14default_configENS1_21merge_config_selectorINS0_5tupleIJyyEEENS0_10empty_typeEEEZNS1_10merge_implIS3_NS0_12zip_iteratorINS5_IJN6thrust23THRUST_200600_302600_NS6detail15normal_iteratorINSC_10device_ptrIKyEEEESI_EEEEESK_NSA_INS5_IJNSE_INSF_IyEEEESM_EEEEEPS7_SP_SP_NSC_11hip_rocprim7__merge17predicate_wrapperIyyNSC_7greaterImEEEEEE10hipError_tPvRmT0_T1_T2_T3_T4_T5_mmT6_P12ihipStream_tbEUlT_E_NS1_11comp_targetILNS1_3genE8ELNS1_11target_archE1030ELNS1_3gpuE2ELNS1_3repE0EEENS1_30default_config_static_selectorELNS0_4arch9wavefront6targetE0EEEvS10_,comdat
.Lfunc_end361:
	.size	_ZN7rocprim17ROCPRIM_400000_NS6detail17trampoline_kernelINS0_14default_configENS1_21merge_config_selectorINS0_5tupleIJyyEEENS0_10empty_typeEEEZNS1_10merge_implIS3_NS0_12zip_iteratorINS5_IJN6thrust23THRUST_200600_302600_NS6detail15normal_iteratorINSC_10device_ptrIKyEEEESI_EEEEESK_NSA_INS5_IJNSE_INSF_IyEEEESM_EEEEEPS7_SP_SP_NSC_11hip_rocprim7__merge17predicate_wrapperIyyNSC_7greaterImEEEEEE10hipError_tPvRmT0_T1_T2_T3_T4_T5_mmT6_P12ihipStream_tbEUlT_E_NS1_11comp_targetILNS1_3genE8ELNS1_11target_archE1030ELNS1_3gpuE2ELNS1_3repE0EEENS1_30default_config_static_selectorELNS0_4arch9wavefront6targetE0EEEvS10_, .Lfunc_end361-_ZN7rocprim17ROCPRIM_400000_NS6detail17trampoline_kernelINS0_14default_configENS1_21merge_config_selectorINS0_5tupleIJyyEEENS0_10empty_typeEEEZNS1_10merge_implIS3_NS0_12zip_iteratorINS5_IJN6thrust23THRUST_200600_302600_NS6detail15normal_iteratorINSC_10device_ptrIKyEEEESI_EEEEESK_NSA_INS5_IJNSE_INSF_IyEEEESM_EEEEEPS7_SP_SP_NSC_11hip_rocprim7__merge17predicate_wrapperIyyNSC_7greaterImEEEEEE10hipError_tPvRmT0_T1_T2_T3_T4_T5_mmT6_P12ihipStream_tbEUlT_E_NS1_11comp_targetILNS1_3genE8ELNS1_11target_archE1030ELNS1_3gpuE2ELNS1_3repE0EEENS1_30default_config_static_selectorELNS0_4arch9wavefront6targetE0EEEvS10_
                                        ; -- End function
	.set _ZN7rocprim17ROCPRIM_400000_NS6detail17trampoline_kernelINS0_14default_configENS1_21merge_config_selectorINS0_5tupleIJyyEEENS0_10empty_typeEEEZNS1_10merge_implIS3_NS0_12zip_iteratorINS5_IJN6thrust23THRUST_200600_302600_NS6detail15normal_iteratorINSC_10device_ptrIKyEEEESI_EEEEESK_NSA_INS5_IJNSE_INSF_IyEEEESM_EEEEEPS7_SP_SP_NSC_11hip_rocprim7__merge17predicate_wrapperIyyNSC_7greaterImEEEEEE10hipError_tPvRmT0_T1_T2_T3_T4_T5_mmT6_P12ihipStream_tbEUlT_E_NS1_11comp_targetILNS1_3genE8ELNS1_11target_archE1030ELNS1_3gpuE2ELNS1_3repE0EEENS1_30default_config_static_selectorELNS0_4arch9wavefront6targetE0EEEvS10_.num_vgpr, 14
	.set _ZN7rocprim17ROCPRIM_400000_NS6detail17trampoline_kernelINS0_14default_configENS1_21merge_config_selectorINS0_5tupleIJyyEEENS0_10empty_typeEEEZNS1_10merge_implIS3_NS0_12zip_iteratorINS5_IJN6thrust23THRUST_200600_302600_NS6detail15normal_iteratorINSC_10device_ptrIKyEEEESI_EEEEESK_NSA_INS5_IJNSE_INSF_IyEEEESM_EEEEEPS7_SP_SP_NSC_11hip_rocprim7__merge17predicate_wrapperIyyNSC_7greaterImEEEEEE10hipError_tPvRmT0_T1_T2_T3_T4_T5_mmT6_P12ihipStream_tbEUlT_E_NS1_11comp_targetILNS1_3genE8ELNS1_11target_archE1030ELNS1_3gpuE2ELNS1_3repE0EEENS1_30default_config_static_selectorELNS0_4arch9wavefront6targetE0EEEvS10_.num_agpr, 0
	.set _ZN7rocprim17ROCPRIM_400000_NS6detail17trampoline_kernelINS0_14default_configENS1_21merge_config_selectorINS0_5tupleIJyyEEENS0_10empty_typeEEEZNS1_10merge_implIS3_NS0_12zip_iteratorINS5_IJN6thrust23THRUST_200600_302600_NS6detail15normal_iteratorINSC_10device_ptrIKyEEEESI_EEEEESK_NSA_INS5_IJNSE_INSF_IyEEEESM_EEEEEPS7_SP_SP_NSC_11hip_rocprim7__merge17predicate_wrapperIyyNSC_7greaterImEEEEEE10hipError_tPvRmT0_T1_T2_T3_T4_T5_mmT6_P12ihipStream_tbEUlT_E_NS1_11comp_targetILNS1_3genE8ELNS1_11target_archE1030ELNS1_3gpuE2ELNS1_3repE0EEENS1_30default_config_static_selectorELNS0_4arch9wavefront6targetE0EEEvS10_.numbered_sgpr, 16
	.set _ZN7rocprim17ROCPRIM_400000_NS6detail17trampoline_kernelINS0_14default_configENS1_21merge_config_selectorINS0_5tupleIJyyEEENS0_10empty_typeEEEZNS1_10merge_implIS3_NS0_12zip_iteratorINS5_IJN6thrust23THRUST_200600_302600_NS6detail15normal_iteratorINSC_10device_ptrIKyEEEESI_EEEEESK_NSA_INS5_IJNSE_INSF_IyEEEESM_EEEEEPS7_SP_SP_NSC_11hip_rocprim7__merge17predicate_wrapperIyyNSC_7greaterImEEEEEE10hipError_tPvRmT0_T1_T2_T3_T4_T5_mmT6_P12ihipStream_tbEUlT_E_NS1_11comp_targetILNS1_3genE8ELNS1_11target_archE1030ELNS1_3gpuE2ELNS1_3repE0EEENS1_30default_config_static_selectorELNS0_4arch9wavefront6targetE0EEEvS10_.num_named_barrier, 0
	.set _ZN7rocprim17ROCPRIM_400000_NS6detail17trampoline_kernelINS0_14default_configENS1_21merge_config_selectorINS0_5tupleIJyyEEENS0_10empty_typeEEEZNS1_10merge_implIS3_NS0_12zip_iteratorINS5_IJN6thrust23THRUST_200600_302600_NS6detail15normal_iteratorINSC_10device_ptrIKyEEEESI_EEEEESK_NSA_INS5_IJNSE_INSF_IyEEEESM_EEEEEPS7_SP_SP_NSC_11hip_rocprim7__merge17predicate_wrapperIyyNSC_7greaterImEEEEEE10hipError_tPvRmT0_T1_T2_T3_T4_T5_mmT6_P12ihipStream_tbEUlT_E_NS1_11comp_targetILNS1_3genE8ELNS1_11target_archE1030ELNS1_3gpuE2ELNS1_3repE0EEENS1_30default_config_static_selectorELNS0_4arch9wavefront6targetE0EEEvS10_.private_seg_size, 0
	.set _ZN7rocprim17ROCPRIM_400000_NS6detail17trampoline_kernelINS0_14default_configENS1_21merge_config_selectorINS0_5tupleIJyyEEENS0_10empty_typeEEEZNS1_10merge_implIS3_NS0_12zip_iteratorINS5_IJN6thrust23THRUST_200600_302600_NS6detail15normal_iteratorINSC_10device_ptrIKyEEEESI_EEEEESK_NSA_INS5_IJNSE_INSF_IyEEEESM_EEEEEPS7_SP_SP_NSC_11hip_rocprim7__merge17predicate_wrapperIyyNSC_7greaterImEEEEEE10hipError_tPvRmT0_T1_T2_T3_T4_T5_mmT6_P12ihipStream_tbEUlT_E_NS1_11comp_targetILNS1_3genE8ELNS1_11target_archE1030ELNS1_3gpuE2ELNS1_3repE0EEENS1_30default_config_static_selectorELNS0_4arch9wavefront6targetE0EEEvS10_.uses_vcc, 1
	.set _ZN7rocprim17ROCPRIM_400000_NS6detail17trampoline_kernelINS0_14default_configENS1_21merge_config_selectorINS0_5tupleIJyyEEENS0_10empty_typeEEEZNS1_10merge_implIS3_NS0_12zip_iteratorINS5_IJN6thrust23THRUST_200600_302600_NS6detail15normal_iteratorINSC_10device_ptrIKyEEEESI_EEEEESK_NSA_INS5_IJNSE_INSF_IyEEEESM_EEEEEPS7_SP_SP_NSC_11hip_rocprim7__merge17predicate_wrapperIyyNSC_7greaterImEEEEEE10hipError_tPvRmT0_T1_T2_T3_T4_T5_mmT6_P12ihipStream_tbEUlT_E_NS1_11comp_targetILNS1_3genE8ELNS1_11target_archE1030ELNS1_3gpuE2ELNS1_3repE0EEENS1_30default_config_static_selectorELNS0_4arch9wavefront6targetE0EEEvS10_.uses_flat_scratch, 0
	.set _ZN7rocprim17ROCPRIM_400000_NS6detail17trampoline_kernelINS0_14default_configENS1_21merge_config_selectorINS0_5tupleIJyyEEENS0_10empty_typeEEEZNS1_10merge_implIS3_NS0_12zip_iteratorINS5_IJN6thrust23THRUST_200600_302600_NS6detail15normal_iteratorINSC_10device_ptrIKyEEEESI_EEEEESK_NSA_INS5_IJNSE_INSF_IyEEEESM_EEEEEPS7_SP_SP_NSC_11hip_rocprim7__merge17predicate_wrapperIyyNSC_7greaterImEEEEEE10hipError_tPvRmT0_T1_T2_T3_T4_T5_mmT6_P12ihipStream_tbEUlT_E_NS1_11comp_targetILNS1_3genE8ELNS1_11target_archE1030ELNS1_3gpuE2ELNS1_3repE0EEENS1_30default_config_static_selectorELNS0_4arch9wavefront6targetE0EEEvS10_.has_dyn_sized_stack, 0
	.set _ZN7rocprim17ROCPRIM_400000_NS6detail17trampoline_kernelINS0_14default_configENS1_21merge_config_selectorINS0_5tupleIJyyEEENS0_10empty_typeEEEZNS1_10merge_implIS3_NS0_12zip_iteratorINS5_IJN6thrust23THRUST_200600_302600_NS6detail15normal_iteratorINSC_10device_ptrIKyEEEESI_EEEEESK_NSA_INS5_IJNSE_INSF_IyEEEESM_EEEEEPS7_SP_SP_NSC_11hip_rocprim7__merge17predicate_wrapperIyyNSC_7greaterImEEEEEE10hipError_tPvRmT0_T1_T2_T3_T4_T5_mmT6_P12ihipStream_tbEUlT_E_NS1_11comp_targetILNS1_3genE8ELNS1_11target_archE1030ELNS1_3gpuE2ELNS1_3repE0EEENS1_30default_config_static_selectorELNS0_4arch9wavefront6targetE0EEEvS10_.has_recursion, 0
	.set _ZN7rocprim17ROCPRIM_400000_NS6detail17trampoline_kernelINS0_14default_configENS1_21merge_config_selectorINS0_5tupleIJyyEEENS0_10empty_typeEEEZNS1_10merge_implIS3_NS0_12zip_iteratorINS5_IJN6thrust23THRUST_200600_302600_NS6detail15normal_iteratorINSC_10device_ptrIKyEEEESI_EEEEESK_NSA_INS5_IJNSE_INSF_IyEEEESM_EEEEEPS7_SP_SP_NSC_11hip_rocprim7__merge17predicate_wrapperIyyNSC_7greaterImEEEEEE10hipError_tPvRmT0_T1_T2_T3_T4_T5_mmT6_P12ihipStream_tbEUlT_E_NS1_11comp_targetILNS1_3genE8ELNS1_11target_archE1030ELNS1_3gpuE2ELNS1_3repE0EEENS1_30default_config_static_selectorELNS0_4arch9wavefront6targetE0EEEvS10_.has_indirect_call, 0
	.section	.AMDGPU.csdata,"",@progbits
; Kernel info:
; codeLenInByte = 540
; TotalNumSgprs: 18
; NumVgprs: 14
; ScratchSize: 0
; MemoryBound: 0
; FloatMode: 240
; IeeeMode: 1
; LDSByteSize: 0 bytes/workgroup (compile time only)
; SGPRBlocks: 0
; VGPRBlocks: 1
; NumSGPRsForWavesPerEU: 18
; NumVGPRsForWavesPerEU: 14
; Occupancy: 16
; WaveLimiterHint : 0
; COMPUTE_PGM_RSRC2:SCRATCH_EN: 0
; COMPUTE_PGM_RSRC2:USER_SGPR: 6
; COMPUTE_PGM_RSRC2:TRAP_HANDLER: 0
; COMPUTE_PGM_RSRC2:TGID_X_EN: 1
; COMPUTE_PGM_RSRC2:TGID_Y_EN: 0
; COMPUTE_PGM_RSRC2:TGID_Z_EN: 0
; COMPUTE_PGM_RSRC2:TIDIG_COMP_CNT: 0
	.section	.text._ZN7rocprim17ROCPRIM_400000_NS6detail17trampoline_kernelINS0_14default_configENS1_21merge_config_selectorINS0_5tupleIJyyEEENS0_10empty_typeEEEZNS1_10merge_implIS3_NS0_12zip_iteratorINS5_IJN6thrust23THRUST_200600_302600_NS6detail15normal_iteratorINSC_10device_ptrIKyEEEESI_EEEEESK_NSA_INS5_IJNSE_INSF_IyEEEESM_EEEEEPS7_SP_SP_NSC_11hip_rocprim7__merge17predicate_wrapperIyyNSC_7greaterImEEEEEE10hipError_tPvRmT0_T1_T2_T3_T4_T5_mmT6_P12ihipStream_tbEUlT_E0_NS1_11comp_targetILNS1_3genE0ELNS1_11target_archE4294967295ELNS1_3gpuE0ELNS1_3repE0EEENS1_30default_config_static_selectorELNS0_4arch9wavefront6targetE0EEEvS10_,"axG",@progbits,_ZN7rocprim17ROCPRIM_400000_NS6detail17trampoline_kernelINS0_14default_configENS1_21merge_config_selectorINS0_5tupleIJyyEEENS0_10empty_typeEEEZNS1_10merge_implIS3_NS0_12zip_iteratorINS5_IJN6thrust23THRUST_200600_302600_NS6detail15normal_iteratorINSC_10device_ptrIKyEEEESI_EEEEESK_NSA_INS5_IJNSE_INSF_IyEEEESM_EEEEEPS7_SP_SP_NSC_11hip_rocprim7__merge17predicate_wrapperIyyNSC_7greaterImEEEEEE10hipError_tPvRmT0_T1_T2_T3_T4_T5_mmT6_P12ihipStream_tbEUlT_E0_NS1_11comp_targetILNS1_3genE0ELNS1_11target_archE4294967295ELNS1_3gpuE0ELNS1_3repE0EEENS1_30default_config_static_selectorELNS0_4arch9wavefront6targetE0EEEvS10_,comdat
	.protected	_ZN7rocprim17ROCPRIM_400000_NS6detail17trampoline_kernelINS0_14default_configENS1_21merge_config_selectorINS0_5tupleIJyyEEENS0_10empty_typeEEEZNS1_10merge_implIS3_NS0_12zip_iteratorINS5_IJN6thrust23THRUST_200600_302600_NS6detail15normal_iteratorINSC_10device_ptrIKyEEEESI_EEEEESK_NSA_INS5_IJNSE_INSF_IyEEEESM_EEEEEPS7_SP_SP_NSC_11hip_rocprim7__merge17predicate_wrapperIyyNSC_7greaterImEEEEEE10hipError_tPvRmT0_T1_T2_T3_T4_T5_mmT6_P12ihipStream_tbEUlT_E0_NS1_11comp_targetILNS1_3genE0ELNS1_11target_archE4294967295ELNS1_3gpuE0ELNS1_3repE0EEENS1_30default_config_static_selectorELNS0_4arch9wavefront6targetE0EEEvS10_ ; -- Begin function _ZN7rocprim17ROCPRIM_400000_NS6detail17trampoline_kernelINS0_14default_configENS1_21merge_config_selectorINS0_5tupleIJyyEEENS0_10empty_typeEEEZNS1_10merge_implIS3_NS0_12zip_iteratorINS5_IJN6thrust23THRUST_200600_302600_NS6detail15normal_iteratorINSC_10device_ptrIKyEEEESI_EEEEESK_NSA_INS5_IJNSE_INSF_IyEEEESM_EEEEEPS7_SP_SP_NSC_11hip_rocprim7__merge17predicate_wrapperIyyNSC_7greaterImEEEEEE10hipError_tPvRmT0_T1_T2_T3_T4_T5_mmT6_P12ihipStream_tbEUlT_E0_NS1_11comp_targetILNS1_3genE0ELNS1_11target_archE4294967295ELNS1_3gpuE0ELNS1_3repE0EEENS1_30default_config_static_selectorELNS0_4arch9wavefront6targetE0EEEvS10_
	.globl	_ZN7rocprim17ROCPRIM_400000_NS6detail17trampoline_kernelINS0_14default_configENS1_21merge_config_selectorINS0_5tupleIJyyEEENS0_10empty_typeEEEZNS1_10merge_implIS3_NS0_12zip_iteratorINS5_IJN6thrust23THRUST_200600_302600_NS6detail15normal_iteratorINSC_10device_ptrIKyEEEESI_EEEEESK_NSA_INS5_IJNSE_INSF_IyEEEESM_EEEEEPS7_SP_SP_NSC_11hip_rocprim7__merge17predicate_wrapperIyyNSC_7greaterImEEEEEE10hipError_tPvRmT0_T1_T2_T3_T4_T5_mmT6_P12ihipStream_tbEUlT_E0_NS1_11comp_targetILNS1_3genE0ELNS1_11target_archE4294967295ELNS1_3gpuE0ELNS1_3repE0EEENS1_30default_config_static_selectorELNS0_4arch9wavefront6targetE0EEEvS10_
	.p2align	8
	.type	_ZN7rocprim17ROCPRIM_400000_NS6detail17trampoline_kernelINS0_14default_configENS1_21merge_config_selectorINS0_5tupleIJyyEEENS0_10empty_typeEEEZNS1_10merge_implIS3_NS0_12zip_iteratorINS5_IJN6thrust23THRUST_200600_302600_NS6detail15normal_iteratorINSC_10device_ptrIKyEEEESI_EEEEESK_NSA_INS5_IJNSE_INSF_IyEEEESM_EEEEEPS7_SP_SP_NSC_11hip_rocprim7__merge17predicate_wrapperIyyNSC_7greaterImEEEEEE10hipError_tPvRmT0_T1_T2_T3_T4_T5_mmT6_P12ihipStream_tbEUlT_E0_NS1_11comp_targetILNS1_3genE0ELNS1_11target_archE4294967295ELNS1_3gpuE0ELNS1_3repE0EEENS1_30default_config_static_selectorELNS0_4arch9wavefront6targetE0EEEvS10_,@function
_ZN7rocprim17ROCPRIM_400000_NS6detail17trampoline_kernelINS0_14default_configENS1_21merge_config_selectorINS0_5tupleIJyyEEENS0_10empty_typeEEEZNS1_10merge_implIS3_NS0_12zip_iteratorINS5_IJN6thrust23THRUST_200600_302600_NS6detail15normal_iteratorINSC_10device_ptrIKyEEEESI_EEEEESK_NSA_INS5_IJNSE_INSF_IyEEEESM_EEEEEPS7_SP_SP_NSC_11hip_rocprim7__merge17predicate_wrapperIyyNSC_7greaterImEEEEEE10hipError_tPvRmT0_T1_T2_T3_T4_T5_mmT6_P12ihipStream_tbEUlT_E0_NS1_11comp_targetILNS1_3genE0ELNS1_11target_archE4294967295ELNS1_3gpuE0ELNS1_3repE0EEENS1_30default_config_static_selectorELNS0_4arch9wavefront6targetE0EEEvS10_: ; @_ZN7rocprim17ROCPRIM_400000_NS6detail17trampoline_kernelINS0_14default_configENS1_21merge_config_selectorINS0_5tupleIJyyEEENS0_10empty_typeEEEZNS1_10merge_implIS3_NS0_12zip_iteratorINS5_IJN6thrust23THRUST_200600_302600_NS6detail15normal_iteratorINSC_10device_ptrIKyEEEESI_EEEEESK_NSA_INS5_IJNSE_INSF_IyEEEESM_EEEEEPS7_SP_SP_NSC_11hip_rocprim7__merge17predicate_wrapperIyyNSC_7greaterImEEEEEE10hipError_tPvRmT0_T1_T2_T3_T4_T5_mmT6_P12ihipStream_tbEUlT_E0_NS1_11comp_targetILNS1_3genE0ELNS1_11target_archE4294967295ELNS1_3gpuE0ELNS1_3repE0EEENS1_30default_config_static_selectorELNS0_4arch9wavefront6targetE0EEEvS10_
; %bb.0:
	.section	.rodata,"a",@progbits
	.p2align	6, 0x0
	.amdhsa_kernel _ZN7rocprim17ROCPRIM_400000_NS6detail17trampoline_kernelINS0_14default_configENS1_21merge_config_selectorINS0_5tupleIJyyEEENS0_10empty_typeEEEZNS1_10merge_implIS3_NS0_12zip_iteratorINS5_IJN6thrust23THRUST_200600_302600_NS6detail15normal_iteratorINSC_10device_ptrIKyEEEESI_EEEEESK_NSA_INS5_IJNSE_INSF_IyEEEESM_EEEEEPS7_SP_SP_NSC_11hip_rocprim7__merge17predicate_wrapperIyyNSC_7greaterImEEEEEE10hipError_tPvRmT0_T1_T2_T3_T4_T5_mmT6_P12ihipStream_tbEUlT_E0_NS1_11comp_targetILNS1_3genE0ELNS1_11target_archE4294967295ELNS1_3gpuE0ELNS1_3repE0EEENS1_30default_config_static_selectorELNS0_4arch9wavefront6targetE0EEEvS10_
		.amdhsa_group_segment_fixed_size 0
		.amdhsa_private_segment_fixed_size 0
		.amdhsa_kernarg_size 112
		.amdhsa_user_sgpr_count 6
		.amdhsa_user_sgpr_private_segment_buffer 1
		.amdhsa_user_sgpr_dispatch_ptr 0
		.amdhsa_user_sgpr_queue_ptr 0
		.amdhsa_user_sgpr_kernarg_segment_ptr 1
		.amdhsa_user_sgpr_dispatch_id 0
		.amdhsa_user_sgpr_flat_scratch_init 0
		.amdhsa_user_sgpr_private_segment_size 0
		.amdhsa_wavefront_size32 1
		.amdhsa_uses_dynamic_stack 0
		.amdhsa_system_sgpr_private_segment_wavefront_offset 0
		.amdhsa_system_sgpr_workgroup_id_x 1
		.amdhsa_system_sgpr_workgroup_id_y 0
		.amdhsa_system_sgpr_workgroup_id_z 0
		.amdhsa_system_sgpr_workgroup_info 0
		.amdhsa_system_vgpr_workitem_id 0
		.amdhsa_next_free_vgpr 1
		.amdhsa_next_free_sgpr 1
		.amdhsa_reserve_vcc 0
		.amdhsa_reserve_flat_scratch 0
		.amdhsa_float_round_mode_32 0
		.amdhsa_float_round_mode_16_64 0
		.amdhsa_float_denorm_mode_32 3
		.amdhsa_float_denorm_mode_16_64 3
		.amdhsa_dx10_clamp 1
		.amdhsa_ieee_mode 1
		.amdhsa_fp16_overflow 0
		.amdhsa_workgroup_processor_mode 1
		.amdhsa_memory_ordered 1
		.amdhsa_forward_progress 1
		.amdhsa_shared_vgpr_count 0
		.amdhsa_exception_fp_ieee_invalid_op 0
		.amdhsa_exception_fp_denorm_src 0
		.amdhsa_exception_fp_ieee_div_zero 0
		.amdhsa_exception_fp_ieee_overflow 0
		.amdhsa_exception_fp_ieee_underflow 0
		.amdhsa_exception_fp_ieee_inexact 0
		.amdhsa_exception_int_div_zero 0
	.end_amdhsa_kernel
	.section	.text._ZN7rocprim17ROCPRIM_400000_NS6detail17trampoline_kernelINS0_14default_configENS1_21merge_config_selectorINS0_5tupleIJyyEEENS0_10empty_typeEEEZNS1_10merge_implIS3_NS0_12zip_iteratorINS5_IJN6thrust23THRUST_200600_302600_NS6detail15normal_iteratorINSC_10device_ptrIKyEEEESI_EEEEESK_NSA_INS5_IJNSE_INSF_IyEEEESM_EEEEEPS7_SP_SP_NSC_11hip_rocprim7__merge17predicate_wrapperIyyNSC_7greaterImEEEEEE10hipError_tPvRmT0_T1_T2_T3_T4_T5_mmT6_P12ihipStream_tbEUlT_E0_NS1_11comp_targetILNS1_3genE0ELNS1_11target_archE4294967295ELNS1_3gpuE0ELNS1_3repE0EEENS1_30default_config_static_selectorELNS0_4arch9wavefront6targetE0EEEvS10_,"axG",@progbits,_ZN7rocprim17ROCPRIM_400000_NS6detail17trampoline_kernelINS0_14default_configENS1_21merge_config_selectorINS0_5tupleIJyyEEENS0_10empty_typeEEEZNS1_10merge_implIS3_NS0_12zip_iteratorINS5_IJN6thrust23THRUST_200600_302600_NS6detail15normal_iteratorINSC_10device_ptrIKyEEEESI_EEEEESK_NSA_INS5_IJNSE_INSF_IyEEEESM_EEEEEPS7_SP_SP_NSC_11hip_rocprim7__merge17predicate_wrapperIyyNSC_7greaterImEEEEEE10hipError_tPvRmT0_T1_T2_T3_T4_T5_mmT6_P12ihipStream_tbEUlT_E0_NS1_11comp_targetILNS1_3genE0ELNS1_11target_archE4294967295ELNS1_3gpuE0ELNS1_3repE0EEENS1_30default_config_static_selectorELNS0_4arch9wavefront6targetE0EEEvS10_,comdat
.Lfunc_end362:
	.size	_ZN7rocprim17ROCPRIM_400000_NS6detail17trampoline_kernelINS0_14default_configENS1_21merge_config_selectorINS0_5tupleIJyyEEENS0_10empty_typeEEEZNS1_10merge_implIS3_NS0_12zip_iteratorINS5_IJN6thrust23THRUST_200600_302600_NS6detail15normal_iteratorINSC_10device_ptrIKyEEEESI_EEEEESK_NSA_INS5_IJNSE_INSF_IyEEEESM_EEEEEPS7_SP_SP_NSC_11hip_rocprim7__merge17predicate_wrapperIyyNSC_7greaterImEEEEEE10hipError_tPvRmT0_T1_T2_T3_T4_T5_mmT6_P12ihipStream_tbEUlT_E0_NS1_11comp_targetILNS1_3genE0ELNS1_11target_archE4294967295ELNS1_3gpuE0ELNS1_3repE0EEENS1_30default_config_static_selectorELNS0_4arch9wavefront6targetE0EEEvS10_, .Lfunc_end362-_ZN7rocprim17ROCPRIM_400000_NS6detail17trampoline_kernelINS0_14default_configENS1_21merge_config_selectorINS0_5tupleIJyyEEENS0_10empty_typeEEEZNS1_10merge_implIS3_NS0_12zip_iteratorINS5_IJN6thrust23THRUST_200600_302600_NS6detail15normal_iteratorINSC_10device_ptrIKyEEEESI_EEEEESK_NSA_INS5_IJNSE_INSF_IyEEEESM_EEEEEPS7_SP_SP_NSC_11hip_rocprim7__merge17predicate_wrapperIyyNSC_7greaterImEEEEEE10hipError_tPvRmT0_T1_T2_T3_T4_T5_mmT6_P12ihipStream_tbEUlT_E0_NS1_11comp_targetILNS1_3genE0ELNS1_11target_archE4294967295ELNS1_3gpuE0ELNS1_3repE0EEENS1_30default_config_static_selectorELNS0_4arch9wavefront6targetE0EEEvS10_
                                        ; -- End function
	.set _ZN7rocprim17ROCPRIM_400000_NS6detail17trampoline_kernelINS0_14default_configENS1_21merge_config_selectorINS0_5tupleIJyyEEENS0_10empty_typeEEEZNS1_10merge_implIS3_NS0_12zip_iteratorINS5_IJN6thrust23THRUST_200600_302600_NS6detail15normal_iteratorINSC_10device_ptrIKyEEEESI_EEEEESK_NSA_INS5_IJNSE_INSF_IyEEEESM_EEEEEPS7_SP_SP_NSC_11hip_rocprim7__merge17predicate_wrapperIyyNSC_7greaterImEEEEEE10hipError_tPvRmT0_T1_T2_T3_T4_T5_mmT6_P12ihipStream_tbEUlT_E0_NS1_11comp_targetILNS1_3genE0ELNS1_11target_archE4294967295ELNS1_3gpuE0ELNS1_3repE0EEENS1_30default_config_static_selectorELNS0_4arch9wavefront6targetE0EEEvS10_.num_vgpr, 0
	.set _ZN7rocprim17ROCPRIM_400000_NS6detail17trampoline_kernelINS0_14default_configENS1_21merge_config_selectorINS0_5tupleIJyyEEENS0_10empty_typeEEEZNS1_10merge_implIS3_NS0_12zip_iteratorINS5_IJN6thrust23THRUST_200600_302600_NS6detail15normal_iteratorINSC_10device_ptrIKyEEEESI_EEEEESK_NSA_INS5_IJNSE_INSF_IyEEEESM_EEEEEPS7_SP_SP_NSC_11hip_rocprim7__merge17predicate_wrapperIyyNSC_7greaterImEEEEEE10hipError_tPvRmT0_T1_T2_T3_T4_T5_mmT6_P12ihipStream_tbEUlT_E0_NS1_11comp_targetILNS1_3genE0ELNS1_11target_archE4294967295ELNS1_3gpuE0ELNS1_3repE0EEENS1_30default_config_static_selectorELNS0_4arch9wavefront6targetE0EEEvS10_.num_agpr, 0
	.set _ZN7rocprim17ROCPRIM_400000_NS6detail17trampoline_kernelINS0_14default_configENS1_21merge_config_selectorINS0_5tupleIJyyEEENS0_10empty_typeEEEZNS1_10merge_implIS3_NS0_12zip_iteratorINS5_IJN6thrust23THRUST_200600_302600_NS6detail15normal_iteratorINSC_10device_ptrIKyEEEESI_EEEEESK_NSA_INS5_IJNSE_INSF_IyEEEESM_EEEEEPS7_SP_SP_NSC_11hip_rocprim7__merge17predicate_wrapperIyyNSC_7greaterImEEEEEE10hipError_tPvRmT0_T1_T2_T3_T4_T5_mmT6_P12ihipStream_tbEUlT_E0_NS1_11comp_targetILNS1_3genE0ELNS1_11target_archE4294967295ELNS1_3gpuE0ELNS1_3repE0EEENS1_30default_config_static_selectorELNS0_4arch9wavefront6targetE0EEEvS10_.numbered_sgpr, 0
	.set _ZN7rocprim17ROCPRIM_400000_NS6detail17trampoline_kernelINS0_14default_configENS1_21merge_config_selectorINS0_5tupleIJyyEEENS0_10empty_typeEEEZNS1_10merge_implIS3_NS0_12zip_iteratorINS5_IJN6thrust23THRUST_200600_302600_NS6detail15normal_iteratorINSC_10device_ptrIKyEEEESI_EEEEESK_NSA_INS5_IJNSE_INSF_IyEEEESM_EEEEEPS7_SP_SP_NSC_11hip_rocprim7__merge17predicate_wrapperIyyNSC_7greaterImEEEEEE10hipError_tPvRmT0_T1_T2_T3_T4_T5_mmT6_P12ihipStream_tbEUlT_E0_NS1_11comp_targetILNS1_3genE0ELNS1_11target_archE4294967295ELNS1_3gpuE0ELNS1_3repE0EEENS1_30default_config_static_selectorELNS0_4arch9wavefront6targetE0EEEvS10_.num_named_barrier, 0
	.set _ZN7rocprim17ROCPRIM_400000_NS6detail17trampoline_kernelINS0_14default_configENS1_21merge_config_selectorINS0_5tupleIJyyEEENS0_10empty_typeEEEZNS1_10merge_implIS3_NS0_12zip_iteratorINS5_IJN6thrust23THRUST_200600_302600_NS6detail15normal_iteratorINSC_10device_ptrIKyEEEESI_EEEEESK_NSA_INS5_IJNSE_INSF_IyEEEESM_EEEEEPS7_SP_SP_NSC_11hip_rocprim7__merge17predicate_wrapperIyyNSC_7greaterImEEEEEE10hipError_tPvRmT0_T1_T2_T3_T4_T5_mmT6_P12ihipStream_tbEUlT_E0_NS1_11comp_targetILNS1_3genE0ELNS1_11target_archE4294967295ELNS1_3gpuE0ELNS1_3repE0EEENS1_30default_config_static_selectorELNS0_4arch9wavefront6targetE0EEEvS10_.private_seg_size, 0
	.set _ZN7rocprim17ROCPRIM_400000_NS6detail17trampoline_kernelINS0_14default_configENS1_21merge_config_selectorINS0_5tupleIJyyEEENS0_10empty_typeEEEZNS1_10merge_implIS3_NS0_12zip_iteratorINS5_IJN6thrust23THRUST_200600_302600_NS6detail15normal_iteratorINSC_10device_ptrIKyEEEESI_EEEEESK_NSA_INS5_IJNSE_INSF_IyEEEESM_EEEEEPS7_SP_SP_NSC_11hip_rocprim7__merge17predicate_wrapperIyyNSC_7greaterImEEEEEE10hipError_tPvRmT0_T1_T2_T3_T4_T5_mmT6_P12ihipStream_tbEUlT_E0_NS1_11comp_targetILNS1_3genE0ELNS1_11target_archE4294967295ELNS1_3gpuE0ELNS1_3repE0EEENS1_30default_config_static_selectorELNS0_4arch9wavefront6targetE0EEEvS10_.uses_vcc, 0
	.set _ZN7rocprim17ROCPRIM_400000_NS6detail17trampoline_kernelINS0_14default_configENS1_21merge_config_selectorINS0_5tupleIJyyEEENS0_10empty_typeEEEZNS1_10merge_implIS3_NS0_12zip_iteratorINS5_IJN6thrust23THRUST_200600_302600_NS6detail15normal_iteratorINSC_10device_ptrIKyEEEESI_EEEEESK_NSA_INS5_IJNSE_INSF_IyEEEESM_EEEEEPS7_SP_SP_NSC_11hip_rocprim7__merge17predicate_wrapperIyyNSC_7greaterImEEEEEE10hipError_tPvRmT0_T1_T2_T3_T4_T5_mmT6_P12ihipStream_tbEUlT_E0_NS1_11comp_targetILNS1_3genE0ELNS1_11target_archE4294967295ELNS1_3gpuE0ELNS1_3repE0EEENS1_30default_config_static_selectorELNS0_4arch9wavefront6targetE0EEEvS10_.uses_flat_scratch, 0
	.set _ZN7rocprim17ROCPRIM_400000_NS6detail17trampoline_kernelINS0_14default_configENS1_21merge_config_selectorINS0_5tupleIJyyEEENS0_10empty_typeEEEZNS1_10merge_implIS3_NS0_12zip_iteratorINS5_IJN6thrust23THRUST_200600_302600_NS6detail15normal_iteratorINSC_10device_ptrIKyEEEESI_EEEEESK_NSA_INS5_IJNSE_INSF_IyEEEESM_EEEEEPS7_SP_SP_NSC_11hip_rocprim7__merge17predicate_wrapperIyyNSC_7greaterImEEEEEE10hipError_tPvRmT0_T1_T2_T3_T4_T5_mmT6_P12ihipStream_tbEUlT_E0_NS1_11comp_targetILNS1_3genE0ELNS1_11target_archE4294967295ELNS1_3gpuE0ELNS1_3repE0EEENS1_30default_config_static_selectorELNS0_4arch9wavefront6targetE0EEEvS10_.has_dyn_sized_stack, 0
	.set _ZN7rocprim17ROCPRIM_400000_NS6detail17trampoline_kernelINS0_14default_configENS1_21merge_config_selectorINS0_5tupleIJyyEEENS0_10empty_typeEEEZNS1_10merge_implIS3_NS0_12zip_iteratorINS5_IJN6thrust23THRUST_200600_302600_NS6detail15normal_iteratorINSC_10device_ptrIKyEEEESI_EEEEESK_NSA_INS5_IJNSE_INSF_IyEEEESM_EEEEEPS7_SP_SP_NSC_11hip_rocprim7__merge17predicate_wrapperIyyNSC_7greaterImEEEEEE10hipError_tPvRmT0_T1_T2_T3_T4_T5_mmT6_P12ihipStream_tbEUlT_E0_NS1_11comp_targetILNS1_3genE0ELNS1_11target_archE4294967295ELNS1_3gpuE0ELNS1_3repE0EEENS1_30default_config_static_selectorELNS0_4arch9wavefront6targetE0EEEvS10_.has_recursion, 0
	.set _ZN7rocprim17ROCPRIM_400000_NS6detail17trampoline_kernelINS0_14default_configENS1_21merge_config_selectorINS0_5tupleIJyyEEENS0_10empty_typeEEEZNS1_10merge_implIS3_NS0_12zip_iteratorINS5_IJN6thrust23THRUST_200600_302600_NS6detail15normal_iteratorINSC_10device_ptrIKyEEEESI_EEEEESK_NSA_INS5_IJNSE_INSF_IyEEEESM_EEEEEPS7_SP_SP_NSC_11hip_rocprim7__merge17predicate_wrapperIyyNSC_7greaterImEEEEEE10hipError_tPvRmT0_T1_T2_T3_T4_T5_mmT6_P12ihipStream_tbEUlT_E0_NS1_11comp_targetILNS1_3genE0ELNS1_11target_archE4294967295ELNS1_3gpuE0ELNS1_3repE0EEENS1_30default_config_static_selectorELNS0_4arch9wavefront6targetE0EEEvS10_.has_indirect_call, 0
	.section	.AMDGPU.csdata,"",@progbits
; Kernel info:
; codeLenInByte = 0
; TotalNumSgprs: 0
; NumVgprs: 0
; ScratchSize: 0
; MemoryBound: 0
; FloatMode: 240
; IeeeMode: 1
; LDSByteSize: 0 bytes/workgroup (compile time only)
; SGPRBlocks: 0
; VGPRBlocks: 0
; NumSGPRsForWavesPerEU: 1
; NumVGPRsForWavesPerEU: 1
; Occupancy: 16
; WaveLimiterHint : 0
; COMPUTE_PGM_RSRC2:SCRATCH_EN: 0
; COMPUTE_PGM_RSRC2:USER_SGPR: 6
; COMPUTE_PGM_RSRC2:TRAP_HANDLER: 0
; COMPUTE_PGM_RSRC2:TGID_X_EN: 1
; COMPUTE_PGM_RSRC2:TGID_Y_EN: 0
; COMPUTE_PGM_RSRC2:TGID_Z_EN: 0
; COMPUTE_PGM_RSRC2:TIDIG_COMP_CNT: 0
	.section	.text._ZN7rocprim17ROCPRIM_400000_NS6detail17trampoline_kernelINS0_14default_configENS1_21merge_config_selectorINS0_5tupleIJyyEEENS0_10empty_typeEEEZNS1_10merge_implIS3_NS0_12zip_iteratorINS5_IJN6thrust23THRUST_200600_302600_NS6detail15normal_iteratorINSC_10device_ptrIKyEEEESI_EEEEESK_NSA_INS5_IJNSE_INSF_IyEEEESM_EEEEEPS7_SP_SP_NSC_11hip_rocprim7__merge17predicate_wrapperIyyNSC_7greaterImEEEEEE10hipError_tPvRmT0_T1_T2_T3_T4_T5_mmT6_P12ihipStream_tbEUlT_E0_NS1_11comp_targetILNS1_3genE5ELNS1_11target_archE942ELNS1_3gpuE9ELNS1_3repE0EEENS1_30default_config_static_selectorELNS0_4arch9wavefront6targetE0EEEvS10_,"axG",@progbits,_ZN7rocprim17ROCPRIM_400000_NS6detail17trampoline_kernelINS0_14default_configENS1_21merge_config_selectorINS0_5tupleIJyyEEENS0_10empty_typeEEEZNS1_10merge_implIS3_NS0_12zip_iteratorINS5_IJN6thrust23THRUST_200600_302600_NS6detail15normal_iteratorINSC_10device_ptrIKyEEEESI_EEEEESK_NSA_INS5_IJNSE_INSF_IyEEEESM_EEEEEPS7_SP_SP_NSC_11hip_rocprim7__merge17predicate_wrapperIyyNSC_7greaterImEEEEEE10hipError_tPvRmT0_T1_T2_T3_T4_T5_mmT6_P12ihipStream_tbEUlT_E0_NS1_11comp_targetILNS1_3genE5ELNS1_11target_archE942ELNS1_3gpuE9ELNS1_3repE0EEENS1_30default_config_static_selectorELNS0_4arch9wavefront6targetE0EEEvS10_,comdat
	.protected	_ZN7rocprim17ROCPRIM_400000_NS6detail17trampoline_kernelINS0_14default_configENS1_21merge_config_selectorINS0_5tupleIJyyEEENS0_10empty_typeEEEZNS1_10merge_implIS3_NS0_12zip_iteratorINS5_IJN6thrust23THRUST_200600_302600_NS6detail15normal_iteratorINSC_10device_ptrIKyEEEESI_EEEEESK_NSA_INS5_IJNSE_INSF_IyEEEESM_EEEEEPS7_SP_SP_NSC_11hip_rocprim7__merge17predicate_wrapperIyyNSC_7greaterImEEEEEE10hipError_tPvRmT0_T1_T2_T3_T4_T5_mmT6_P12ihipStream_tbEUlT_E0_NS1_11comp_targetILNS1_3genE5ELNS1_11target_archE942ELNS1_3gpuE9ELNS1_3repE0EEENS1_30default_config_static_selectorELNS0_4arch9wavefront6targetE0EEEvS10_ ; -- Begin function _ZN7rocprim17ROCPRIM_400000_NS6detail17trampoline_kernelINS0_14default_configENS1_21merge_config_selectorINS0_5tupleIJyyEEENS0_10empty_typeEEEZNS1_10merge_implIS3_NS0_12zip_iteratorINS5_IJN6thrust23THRUST_200600_302600_NS6detail15normal_iteratorINSC_10device_ptrIKyEEEESI_EEEEESK_NSA_INS5_IJNSE_INSF_IyEEEESM_EEEEEPS7_SP_SP_NSC_11hip_rocprim7__merge17predicate_wrapperIyyNSC_7greaterImEEEEEE10hipError_tPvRmT0_T1_T2_T3_T4_T5_mmT6_P12ihipStream_tbEUlT_E0_NS1_11comp_targetILNS1_3genE5ELNS1_11target_archE942ELNS1_3gpuE9ELNS1_3repE0EEENS1_30default_config_static_selectorELNS0_4arch9wavefront6targetE0EEEvS10_
	.globl	_ZN7rocprim17ROCPRIM_400000_NS6detail17trampoline_kernelINS0_14default_configENS1_21merge_config_selectorINS0_5tupleIJyyEEENS0_10empty_typeEEEZNS1_10merge_implIS3_NS0_12zip_iteratorINS5_IJN6thrust23THRUST_200600_302600_NS6detail15normal_iteratorINSC_10device_ptrIKyEEEESI_EEEEESK_NSA_INS5_IJNSE_INSF_IyEEEESM_EEEEEPS7_SP_SP_NSC_11hip_rocprim7__merge17predicate_wrapperIyyNSC_7greaterImEEEEEE10hipError_tPvRmT0_T1_T2_T3_T4_T5_mmT6_P12ihipStream_tbEUlT_E0_NS1_11comp_targetILNS1_3genE5ELNS1_11target_archE942ELNS1_3gpuE9ELNS1_3repE0EEENS1_30default_config_static_selectorELNS0_4arch9wavefront6targetE0EEEvS10_
	.p2align	8
	.type	_ZN7rocprim17ROCPRIM_400000_NS6detail17trampoline_kernelINS0_14default_configENS1_21merge_config_selectorINS0_5tupleIJyyEEENS0_10empty_typeEEEZNS1_10merge_implIS3_NS0_12zip_iteratorINS5_IJN6thrust23THRUST_200600_302600_NS6detail15normal_iteratorINSC_10device_ptrIKyEEEESI_EEEEESK_NSA_INS5_IJNSE_INSF_IyEEEESM_EEEEEPS7_SP_SP_NSC_11hip_rocprim7__merge17predicate_wrapperIyyNSC_7greaterImEEEEEE10hipError_tPvRmT0_T1_T2_T3_T4_T5_mmT6_P12ihipStream_tbEUlT_E0_NS1_11comp_targetILNS1_3genE5ELNS1_11target_archE942ELNS1_3gpuE9ELNS1_3repE0EEENS1_30default_config_static_selectorELNS0_4arch9wavefront6targetE0EEEvS10_,@function
_ZN7rocprim17ROCPRIM_400000_NS6detail17trampoline_kernelINS0_14default_configENS1_21merge_config_selectorINS0_5tupleIJyyEEENS0_10empty_typeEEEZNS1_10merge_implIS3_NS0_12zip_iteratorINS5_IJN6thrust23THRUST_200600_302600_NS6detail15normal_iteratorINSC_10device_ptrIKyEEEESI_EEEEESK_NSA_INS5_IJNSE_INSF_IyEEEESM_EEEEEPS7_SP_SP_NSC_11hip_rocprim7__merge17predicate_wrapperIyyNSC_7greaterImEEEEEE10hipError_tPvRmT0_T1_T2_T3_T4_T5_mmT6_P12ihipStream_tbEUlT_E0_NS1_11comp_targetILNS1_3genE5ELNS1_11target_archE942ELNS1_3gpuE9ELNS1_3repE0EEENS1_30default_config_static_selectorELNS0_4arch9wavefront6targetE0EEEvS10_: ; @_ZN7rocprim17ROCPRIM_400000_NS6detail17trampoline_kernelINS0_14default_configENS1_21merge_config_selectorINS0_5tupleIJyyEEENS0_10empty_typeEEEZNS1_10merge_implIS3_NS0_12zip_iteratorINS5_IJN6thrust23THRUST_200600_302600_NS6detail15normal_iteratorINSC_10device_ptrIKyEEEESI_EEEEESK_NSA_INS5_IJNSE_INSF_IyEEEESM_EEEEEPS7_SP_SP_NSC_11hip_rocprim7__merge17predicate_wrapperIyyNSC_7greaterImEEEEEE10hipError_tPvRmT0_T1_T2_T3_T4_T5_mmT6_P12ihipStream_tbEUlT_E0_NS1_11comp_targetILNS1_3genE5ELNS1_11target_archE942ELNS1_3gpuE9ELNS1_3repE0EEENS1_30default_config_static_selectorELNS0_4arch9wavefront6targetE0EEEvS10_
; %bb.0:
	.section	.rodata,"a",@progbits
	.p2align	6, 0x0
	.amdhsa_kernel _ZN7rocprim17ROCPRIM_400000_NS6detail17trampoline_kernelINS0_14default_configENS1_21merge_config_selectorINS0_5tupleIJyyEEENS0_10empty_typeEEEZNS1_10merge_implIS3_NS0_12zip_iteratorINS5_IJN6thrust23THRUST_200600_302600_NS6detail15normal_iteratorINSC_10device_ptrIKyEEEESI_EEEEESK_NSA_INS5_IJNSE_INSF_IyEEEESM_EEEEEPS7_SP_SP_NSC_11hip_rocprim7__merge17predicate_wrapperIyyNSC_7greaterImEEEEEE10hipError_tPvRmT0_T1_T2_T3_T4_T5_mmT6_P12ihipStream_tbEUlT_E0_NS1_11comp_targetILNS1_3genE5ELNS1_11target_archE942ELNS1_3gpuE9ELNS1_3repE0EEENS1_30default_config_static_selectorELNS0_4arch9wavefront6targetE0EEEvS10_
		.amdhsa_group_segment_fixed_size 0
		.amdhsa_private_segment_fixed_size 0
		.amdhsa_kernarg_size 112
		.amdhsa_user_sgpr_count 6
		.amdhsa_user_sgpr_private_segment_buffer 1
		.amdhsa_user_sgpr_dispatch_ptr 0
		.amdhsa_user_sgpr_queue_ptr 0
		.amdhsa_user_sgpr_kernarg_segment_ptr 1
		.amdhsa_user_sgpr_dispatch_id 0
		.amdhsa_user_sgpr_flat_scratch_init 0
		.amdhsa_user_sgpr_private_segment_size 0
		.amdhsa_wavefront_size32 1
		.amdhsa_uses_dynamic_stack 0
		.amdhsa_system_sgpr_private_segment_wavefront_offset 0
		.amdhsa_system_sgpr_workgroup_id_x 1
		.amdhsa_system_sgpr_workgroup_id_y 0
		.amdhsa_system_sgpr_workgroup_id_z 0
		.amdhsa_system_sgpr_workgroup_info 0
		.amdhsa_system_vgpr_workitem_id 0
		.amdhsa_next_free_vgpr 1
		.amdhsa_next_free_sgpr 1
		.amdhsa_reserve_vcc 0
		.amdhsa_reserve_flat_scratch 0
		.amdhsa_float_round_mode_32 0
		.amdhsa_float_round_mode_16_64 0
		.amdhsa_float_denorm_mode_32 3
		.amdhsa_float_denorm_mode_16_64 3
		.amdhsa_dx10_clamp 1
		.amdhsa_ieee_mode 1
		.amdhsa_fp16_overflow 0
		.amdhsa_workgroup_processor_mode 1
		.amdhsa_memory_ordered 1
		.amdhsa_forward_progress 1
		.amdhsa_shared_vgpr_count 0
		.amdhsa_exception_fp_ieee_invalid_op 0
		.amdhsa_exception_fp_denorm_src 0
		.amdhsa_exception_fp_ieee_div_zero 0
		.amdhsa_exception_fp_ieee_overflow 0
		.amdhsa_exception_fp_ieee_underflow 0
		.amdhsa_exception_fp_ieee_inexact 0
		.amdhsa_exception_int_div_zero 0
	.end_amdhsa_kernel
	.section	.text._ZN7rocprim17ROCPRIM_400000_NS6detail17trampoline_kernelINS0_14default_configENS1_21merge_config_selectorINS0_5tupleIJyyEEENS0_10empty_typeEEEZNS1_10merge_implIS3_NS0_12zip_iteratorINS5_IJN6thrust23THRUST_200600_302600_NS6detail15normal_iteratorINSC_10device_ptrIKyEEEESI_EEEEESK_NSA_INS5_IJNSE_INSF_IyEEEESM_EEEEEPS7_SP_SP_NSC_11hip_rocprim7__merge17predicate_wrapperIyyNSC_7greaterImEEEEEE10hipError_tPvRmT0_T1_T2_T3_T4_T5_mmT6_P12ihipStream_tbEUlT_E0_NS1_11comp_targetILNS1_3genE5ELNS1_11target_archE942ELNS1_3gpuE9ELNS1_3repE0EEENS1_30default_config_static_selectorELNS0_4arch9wavefront6targetE0EEEvS10_,"axG",@progbits,_ZN7rocprim17ROCPRIM_400000_NS6detail17trampoline_kernelINS0_14default_configENS1_21merge_config_selectorINS0_5tupleIJyyEEENS0_10empty_typeEEEZNS1_10merge_implIS3_NS0_12zip_iteratorINS5_IJN6thrust23THRUST_200600_302600_NS6detail15normal_iteratorINSC_10device_ptrIKyEEEESI_EEEEESK_NSA_INS5_IJNSE_INSF_IyEEEESM_EEEEEPS7_SP_SP_NSC_11hip_rocprim7__merge17predicate_wrapperIyyNSC_7greaterImEEEEEE10hipError_tPvRmT0_T1_T2_T3_T4_T5_mmT6_P12ihipStream_tbEUlT_E0_NS1_11comp_targetILNS1_3genE5ELNS1_11target_archE942ELNS1_3gpuE9ELNS1_3repE0EEENS1_30default_config_static_selectorELNS0_4arch9wavefront6targetE0EEEvS10_,comdat
.Lfunc_end363:
	.size	_ZN7rocprim17ROCPRIM_400000_NS6detail17trampoline_kernelINS0_14default_configENS1_21merge_config_selectorINS0_5tupleIJyyEEENS0_10empty_typeEEEZNS1_10merge_implIS3_NS0_12zip_iteratorINS5_IJN6thrust23THRUST_200600_302600_NS6detail15normal_iteratorINSC_10device_ptrIKyEEEESI_EEEEESK_NSA_INS5_IJNSE_INSF_IyEEEESM_EEEEEPS7_SP_SP_NSC_11hip_rocprim7__merge17predicate_wrapperIyyNSC_7greaterImEEEEEE10hipError_tPvRmT0_T1_T2_T3_T4_T5_mmT6_P12ihipStream_tbEUlT_E0_NS1_11comp_targetILNS1_3genE5ELNS1_11target_archE942ELNS1_3gpuE9ELNS1_3repE0EEENS1_30default_config_static_selectorELNS0_4arch9wavefront6targetE0EEEvS10_, .Lfunc_end363-_ZN7rocprim17ROCPRIM_400000_NS6detail17trampoline_kernelINS0_14default_configENS1_21merge_config_selectorINS0_5tupleIJyyEEENS0_10empty_typeEEEZNS1_10merge_implIS3_NS0_12zip_iteratorINS5_IJN6thrust23THRUST_200600_302600_NS6detail15normal_iteratorINSC_10device_ptrIKyEEEESI_EEEEESK_NSA_INS5_IJNSE_INSF_IyEEEESM_EEEEEPS7_SP_SP_NSC_11hip_rocprim7__merge17predicate_wrapperIyyNSC_7greaterImEEEEEE10hipError_tPvRmT0_T1_T2_T3_T4_T5_mmT6_P12ihipStream_tbEUlT_E0_NS1_11comp_targetILNS1_3genE5ELNS1_11target_archE942ELNS1_3gpuE9ELNS1_3repE0EEENS1_30default_config_static_selectorELNS0_4arch9wavefront6targetE0EEEvS10_
                                        ; -- End function
	.set _ZN7rocprim17ROCPRIM_400000_NS6detail17trampoline_kernelINS0_14default_configENS1_21merge_config_selectorINS0_5tupleIJyyEEENS0_10empty_typeEEEZNS1_10merge_implIS3_NS0_12zip_iteratorINS5_IJN6thrust23THRUST_200600_302600_NS6detail15normal_iteratorINSC_10device_ptrIKyEEEESI_EEEEESK_NSA_INS5_IJNSE_INSF_IyEEEESM_EEEEEPS7_SP_SP_NSC_11hip_rocprim7__merge17predicate_wrapperIyyNSC_7greaterImEEEEEE10hipError_tPvRmT0_T1_T2_T3_T4_T5_mmT6_P12ihipStream_tbEUlT_E0_NS1_11comp_targetILNS1_3genE5ELNS1_11target_archE942ELNS1_3gpuE9ELNS1_3repE0EEENS1_30default_config_static_selectorELNS0_4arch9wavefront6targetE0EEEvS10_.num_vgpr, 0
	.set _ZN7rocprim17ROCPRIM_400000_NS6detail17trampoline_kernelINS0_14default_configENS1_21merge_config_selectorINS0_5tupleIJyyEEENS0_10empty_typeEEEZNS1_10merge_implIS3_NS0_12zip_iteratorINS5_IJN6thrust23THRUST_200600_302600_NS6detail15normal_iteratorINSC_10device_ptrIKyEEEESI_EEEEESK_NSA_INS5_IJNSE_INSF_IyEEEESM_EEEEEPS7_SP_SP_NSC_11hip_rocprim7__merge17predicate_wrapperIyyNSC_7greaterImEEEEEE10hipError_tPvRmT0_T1_T2_T3_T4_T5_mmT6_P12ihipStream_tbEUlT_E0_NS1_11comp_targetILNS1_3genE5ELNS1_11target_archE942ELNS1_3gpuE9ELNS1_3repE0EEENS1_30default_config_static_selectorELNS0_4arch9wavefront6targetE0EEEvS10_.num_agpr, 0
	.set _ZN7rocprim17ROCPRIM_400000_NS6detail17trampoline_kernelINS0_14default_configENS1_21merge_config_selectorINS0_5tupleIJyyEEENS0_10empty_typeEEEZNS1_10merge_implIS3_NS0_12zip_iteratorINS5_IJN6thrust23THRUST_200600_302600_NS6detail15normal_iteratorINSC_10device_ptrIKyEEEESI_EEEEESK_NSA_INS5_IJNSE_INSF_IyEEEESM_EEEEEPS7_SP_SP_NSC_11hip_rocprim7__merge17predicate_wrapperIyyNSC_7greaterImEEEEEE10hipError_tPvRmT0_T1_T2_T3_T4_T5_mmT6_P12ihipStream_tbEUlT_E0_NS1_11comp_targetILNS1_3genE5ELNS1_11target_archE942ELNS1_3gpuE9ELNS1_3repE0EEENS1_30default_config_static_selectorELNS0_4arch9wavefront6targetE0EEEvS10_.numbered_sgpr, 0
	.set _ZN7rocprim17ROCPRIM_400000_NS6detail17trampoline_kernelINS0_14default_configENS1_21merge_config_selectorINS0_5tupleIJyyEEENS0_10empty_typeEEEZNS1_10merge_implIS3_NS0_12zip_iteratorINS5_IJN6thrust23THRUST_200600_302600_NS6detail15normal_iteratorINSC_10device_ptrIKyEEEESI_EEEEESK_NSA_INS5_IJNSE_INSF_IyEEEESM_EEEEEPS7_SP_SP_NSC_11hip_rocprim7__merge17predicate_wrapperIyyNSC_7greaterImEEEEEE10hipError_tPvRmT0_T1_T2_T3_T4_T5_mmT6_P12ihipStream_tbEUlT_E0_NS1_11comp_targetILNS1_3genE5ELNS1_11target_archE942ELNS1_3gpuE9ELNS1_3repE0EEENS1_30default_config_static_selectorELNS0_4arch9wavefront6targetE0EEEvS10_.num_named_barrier, 0
	.set _ZN7rocprim17ROCPRIM_400000_NS6detail17trampoline_kernelINS0_14default_configENS1_21merge_config_selectorINS0_5tupleIJyyEEENS0_10empty_typeEEEZNS1_10merge_implIS3_NS0_12zip_iteratorINS5_IJN6thrust23THRUST_200600_302600_NS6detail15normal_iteratorINSC_10device_ptrIKyEEEESI_EEEEESK_NSA_INS5_IJNSE_INSF_IyEEEESM_EEEEEPS7_SP_SP_NSC_11hip_rocprim7__merge17predicate_wrapperIyyNSC_7greaterImEEEEEE10hipError_tPvRmT0_T1_T2_T3_T4_T5_mmT6_P12ihipStream_tbEUlT_E0_NS1_11comp_targetILNS1_3genE5ELNS1_11target_archE942ELNS1_3gpuE9ELNS1_3repE0EEENS1_30default_config_static_selectorELNS0_4arch9wavefront6targetE0EEEvS10_.private_seg_size, 0
	.set _ZN7rocprim17ROCPRIM_400000_NS6detail17trampoline_kernelINS0_14default_configENS1_21merge_config_selectorINS0_5tupleIJyyEEENS0_10empty_typeEEEZNS1_10merge_implIS3_NS0_12zip_iteratorINS5_IJN6thrust23THRUST_200600_302600_NS6detail15normal_iteratorINSC_10device_ptrIKyEEEESI_EEEEESK_NSA_INS5_IJNSE_INSF_IyEEEESM_EEEEEPS7_SP_SP_NSC_11hip_rocprim7__merge17predicate_wrapperIyyNSC_7greaterImEEEEEE10hipError_tPvRmT0_T1_T2_T3_T4_T5_mmT6_P12ihipStream_tbEUlT_E0_NS1_11comp_targetILNS1_3genE5ELNS1_11target_archE942ELNS1_3gpuE9ELNS1_3repE0EEENS1_30default_config_static_selectorELNS0_4arch9wavefront6targetE0EEEvS10_.uses_vcc, 0
	.set _ZN7rocprim17ROCPRIM_400000_NS6detail17trampoline_kernelINS0_14default_configENS1_21merge_config_selectorINS0_5tupleIJyyEEENS0_10empty_typeEEEZNS1_10merge_implIS3_NS0_12zip_iteratorINS5_IJN6thrust23THRUST_200600_302600_NS6detail15normal_iteratorINSC_10device_ptrIKyEEEESI_EEEEESK_NSA_INS5_IJNSE_INSF_IyEEEESM_EEEEEPS7_SP_SP_NSC_11hip_rocprim7__merge17predicate_wrapperIyyNSC_7greaterImEEEEEE10hipError_tPvRmT0_T1_T2_T3_T4_T5_mmT6_P12ihipStream_tbEUlT_E0_NS1_11comp_targetILNS1_3genE5ELNS1_11target_archE942ELNS1_3gpuE9ELNS1_3repE0EEENS1_30default_config_static_selectorELNS0_4arch9wavefront6targetE0EEEvS10_.uses_flat_scratch, 0
	.set _ZN7rocprim17ROCPRIM_400000_NS6detail17trampoline_kernelINS0_14default_configENS1_21merge_config_selectorINS0_5tupleIJyyEEENS0_10empty_typeEEEZNS1_10merge_implIS3_NS0_12zip_iteratorINS5_IJN6thrust23THRUST_200600_302600_NS6detail15normal_iteratorINSC_10device_ptrIKyEEEESI_EEEEESK_NSA_INS5_IJNSE_INSF_IyEEEESM_EEEEEPS7_SP_SP_NSC_11hip_rocprim7__merge17predicate_wrapperIyyNSC_7greaterImEEEEEE10hipError_tPvRmT0_T1_T2_T3_T4_T5_mmT6_P12ihipStream_tbEUlT_E0_NS1_11comp_targetILNS1_3genE5ELNS1_11target_archE942ELNS1_3gpuE9ELNS1_3repE0EEENS1_30default_config_static_selectorELNS0_4arch9wavefront6targetE0EEEvS10_.has_dyn_sized_stack, 0
	.set _ZN7rocprim17ROCPRIM_400000_NS6detail17trampoline_kernelINS0_14default_configENS1_21merge_config_selectorINS0_5tupleIJyyEEENS0_10empty_typeEEEZNS1_10merge_implIS3_NS0_12zip_iteratorINS5_IJN6thrust23THRUST_200600_302600_NS6detail15normal_iteratorINSC_10device_ptrIKyEEEESI_EEEEESK_NSA_INS5_IJNSE_INSF_IyEEEESM_EEEEEPS7_SP_SP_NSC_11hip_rocprim7__merge17predicate_wrapperIyyNSC_7greaterImEEEEEE10hipError_tPvRmT0_T1_T2_T3_T4_T5_mmT6_P12ihipStream_tbEUlT_E0_NS1_11comp_targetILNS1_3genE5ELNS1_11target_archE942ELNS1_3gpuE9ELNS1_3repE0EEENS1_30default_config_static_selectorELNS0_4arch9wavefront6targetE0EEEvS10_.has_recursion, 0
	.set _ZN7rocprim17ROCPRIM_400000_NS6detail17trampoline_kernelINS0_14default_configENS1_21merge_config_selectorINS0_5tupleIJyyEEENS0_10empty_typeEEEZNS1_10merge_implIS3_NS0_12zip_iteratorINS5_IJN6thrust23THRUST_200600_302600_NS6detail15normal_iteratorINSC_10device_ptrIKyEEEESI_EEEEESK_NSA_INS5_IJNSE_INSF_IyEEEESM_EEEEEPS7_SP_SP_NSC_11hip_rocprim7__merge17predicate_wrapperIyyNSC_7greaterImEEEEEE10hipError_tPvRmT0_T1_T2_T3_T4_T5_mmT6_P12ihipStream_tbEUlT_E0_NS1_11comp_targetILNS1_3genE5ELNS1_11target_archE942ELNS1_3gpuE9ELNS1_3repE0EEENS1_30default_config_static_selectorELNS0_4arch9wavefront6targetE0EEEvS10_.has_indirect_call, 0
	.section	.AMDGPU.csdata,"",@progbits
; Kernel info:
; codeLenInByte = 0
; TotalNumSgprs: 0
; NumVgprs: 0
; ScratchSize: 0
; MemoryBound: 0
; FloatMode: 240
; IeeeMode: 1
; LDSByteSize: 0 bytes/workgroup (compile time only)
; SGPRBlocks: 0
; VGPRBlocks: 0
; NumSGPRsForWavesPerEU: 1
; NumVGPRsForWavesPerEU: 1
; Occupancy: 16
; WaveLimiterHint : 0
; COMPUTE_PGM_RSRC2:SCRATCH_EN: 0
; COMPUTE_PGM_RSRC2:USER_SGPR: 6
; COMPUTE_PGM_RSRC2:TRAP_HANDLER: 0
; COMPUTE_PGM_RSRC2:TGID_X_EN: 1
; COMPUTE_PGM_RSRC2:TGID_Y_EN: 0
; COMPUTE_PGM_RSRC2:TGID_Z_EN: 0
; COMPUTE_PGM_RSRC2:TIDIG_COMP_CNT: 0
	.section	.text._ZN7rocprim17ROCPRIM_400000_NS6detail17trampoline_kernelINS0_14default_configENS1_21merge_config_selectorINS0_5tupleIJyyEEENS0_10empty_typeEEEZNS1_10merge_implIS3_NS0_12zip_iteratorINS5_IJN6thrust23THRUST_200600_302600_NS6detail15normal_iteratorINSC_10device_ptrIKyEEEESI_EEEEESK_NSA_INS5_IJNSE_INSF_IyEEEESM_EEEEEPS7_SP_SP_NSC_11hip_rocprim7__merge17predicate_wrapperIyyNSC_7greaterImEEEEEE10hipError_tPvRmT0_T1_T2_T3_T4_T5_mmT6_P12ihipStream_tbEUlT_E0_NS1_11comp_targetILNS1_3genE4ELNS1_11target_archE910ELNS1_3gpuE8ELNS1_3repE0EEENS1_30default_config_static_selectorELNS0_4arch9wavefront6targetE0EEEvS10_,"axG",@progbits,_ZN7rocprim17ROCPRIM_400000_NS6detail17trampoline_kernelINS0_14default_configENS1_21merge_config_selectorINS0_5tupleIJyyEEENS0_10empty_typeEEEZNS1_10merge_implIS3_NS0_12zip_iteratorINS5_IJN6thrust23THRUST_200600_302600_NS6detail15normal_iteratorINSC_10device_ptrIKyEEEESI_EEEEESK_NSA_INS5_IJNSE_INSF_IyEEEESM_EEEEEPS7_SP_SP_NSC_11hip_rocprim7__merge17predicate_wrapperIyyNSC_7greaterImEEEEEE10hipError_tPvRmT0_T1_T2_T3_T4_T5_mmT6_P12ihipStream_tbEUlT_E0_NS1_11comp_targetILNS1_3genE4ELNS1_11target_archE910ELNS1_3gpuE8ELNS1_3repE0EEENS1_30default_config_static_selectorELNS0_4arch9wavefront6targetE0EEEvS10_,comdat
	.protected	_ZN7rocprim17ROCPRIM_400000_NS6detail17trampoline_kernelINS0_14default_configENS1_21merge_config_selectorINS0_5tupleIJyyEEENS0_10empty_typeEEEZNS1_10merge_implIS3_NS0_12zip_iteratorINS5_IJN6thrust23THRUST_200600_302600_NS6detail15normal_iteratorINSC_10device_ptrIKyEEEESI_EEEEESK_NSA_INS5_IJNSE_INSF_IyEEEESM_EEEEEPS7_SP_SP_NSC_11hip_rocprim7__merge17predicate_wrapperIyyNSC_7greaterImEEEEEE10hipError_tPvRmT0_T1_T2_T3_T4_T5_mmT6_P12ihipStream_tbEUlT_E0_NS1_11comp_targetILNS1_3genE4ELNS1_11target_archE910ELNS1_3gpuE8ELNS1_3repE0EEENS1_30default_config_static_selectorELNS0_4arch9wavefront6targetE0EEEvS10_ ; -- Begin function _ZN7rocprim17ROCPRIM_400000_NS6detail17trampoline_kernelINS0_14default_configENS1_21merge_config_selectorINS0_5tupleIJyyEEENS0_10empty_typeEEEZNS1_10merge_implIS3_NS0_12zip_iteratorINS5_IJN6thrust23THRUST_200600_302600_NS6detail15normal_iteratorINSC_10device_ptrIKyEEEESI_EEEEESK_NSA_INS5_IJNSE_INSF_IyEEEESM_EEEEEPS7_SP_SP_NSC_11hip_rocprim7__merge17predicate_wrapperIyyNSC_7greaterImEEEEEE10hipError_tPvRmT0_T1_T2_T3_T4_T5_mmT6_P12ihipStream_tbEUlT_E0_NS1_11comp_targetILNS1_3genE4ELNS1_11target_archE910ELNS1_3gpuE8ELNS1_3repE0EEENS1_30default_config_static_selectorELNS0_4arch9wavefront6targetE0EEEvS10_
	.globl	_ZN7rocprim17ROCPRIM_400000_NS6detail17trampoline_kernelINS0_14default_configENS1_21merge_config_selectorINS0_5tupleIJyyEEENS0_10empty_typeEEEZNS1_10merge_implIS3_NS0_12zip_iteratorINS5_IJN6thrust23THRUST_200600_302600_NS6detail15normal_iteratorINSC_10device_ptrIKyEEEESI_EEEEESK_NSA_INS5_IJNSE_INSF_IyEEEESM_EEEEEPS7_SP_SP_NSC_11hip_rocprim7__merge17predicate_wrapperIyyNSC_7greaterImEEEEEE10hipError_tPvRmT0_T1_T2_T3_T4_T5_mmT6_P12ihipStream_tbEUlT_E0_NS1_11comp_targetILNS1_3genE4ELNS1_11target_archE910ELNS1_3gpuE8ELNS1_3repE0EEENS1_30default_config_static_selectorELNS0_4arch9wavefront6targetE0EEEvS10_
	.p2align	8
	.type	_ZN7rocprim17ROCPRIM_400000_NS6detail17trampoline_kernelINS0_14default_configENS1_21merge_config_selectorINS0_5tupleIJyyEEENS0_10empty_typeEEEZNS1_10merge_implIS3_NS0_12zip_iteratorINS5_IJN6thrust23THRUST_200600_302600_NS6detail15normal_iteratorINSC_10device_ptrIKyEEEESI_EEEEESK_NSA_INS5_IJNSE_INSF_IyEEEESM_EEEEEPS7_SP_SP_NSC_11hip_rocprim7__merge17predicate_wrapperIyyNSC_7greaterImEEEEEE10hipError_tPvRmT0_T1_T2_T3_T4_T5_mmT6_P12ihipStream_tbEUlT_E0_NS1_11comp_targetILNS1_3genE4ELNS1_11target_archE910ELNS1_3gpuE8ELNS1_3repE0EEENS1_30default_config_static_selectorELNS0_4arch9wavefront6targetE0EEEvS10_,@function
_ZN7rocprim17ROCPRIM_400000_NS6detail17trampoline_kernelINS0_14default_configENS1_21merge_config_selectorINS0_5tupleIJyyEEENS0_10empty_typeEEEZNS1_10merge_implIS3_NS0_12zip_iteratorINS5_IJN6thrust23THRUST_200600_302600_NS6detail15normal_iteratorINSC_10device_ptrIKyEEEESI_EEEEESK_NSA_INS5_IJNSE_INSF_IyEEEESM_EEEEEPS7_SP_SP_NSC_11hip_rocprim7__merge17predicate_wrapperIyyNSC_7greaterImEEEEEE10hipError_tPvRmT0_T1_T2_T3_T4_T5_mmT6_P12ihipStream_tbEUlT_E0_NS1_11comp_targetILNS1_3genE4ELNS1_11target_archE910ELNS1_3gpuE8ELNS1_3repE0EEENS1_30default_config_static_selectorELNS0_4arch9wavefront6targetE0EEEvS10_: ; @_ZN7rocprim17ROCPRIM_400000_NS6detail17trampoline_kernelINS0_14default_configENS1_21merge_config_selectorINS0_5tupleIJyyEEENS0_10empty_typeEEEZNS1_10merge_implIS3_NS0_12zip_iteratorINS5_IJN6thrust23THRUST_200600_302600_NS6detail15normal_iteratorINSC_10device_ptrIKyEEEESI_EEEEESK_NSA_INS5_IJNSE_INSF_IyEEEESM_EEEEEPS7_SP_SP_NSC_11hip_rocprim7__merge17predicate_wrapperIyyNSC_7greaterImEEEEEE10hipError_tPvRmT0_T1_T2_T3_T4_T5_mmT6_P12ihipStream_tbEUlT_E0_NS1_11comp_targetILNS1_3genE4ELNS1_11target_archE910ELNS1_3gpuE8ELNS1_3repE0EEENS1_30default_config_static_selectorELNS0_4arch9wavefront6targetE0EEEvS10_
; %bb.0:
	.section	.rodata,"a",@progbits
	.p2align	6, 0x0
	.amdhsa_kernel _ZN7rocprim17ROCPRIM_400000_NS6detail17trampoline_kernelINS0_14default_configENS1_21merge_config_selectorINS0_5tupleIJyyEEENS0_10empty_typeEEEZNS1_10merge_implIS3_NS0_12zip_iteratorINS5_IJN6thrust23THRUST_200600_302600_NS6detail15normal_iteratorINSC_10device_ptrIKyEEEESI_EEEEESK_NSA_INS5_IJNSE_INSF_IyEEEESM_EEEEEPS7_SP_SP_NSC_11hip_rocprim7__merge17predicate_wrapperIyyNSC_7greaterImEEEEEE10hipError_tPvRmT0_T1_T2_T3_T4_T5_mmT6_P12ihipStream_tbEUlT_E0_NS1_11comp_targetILNS1_3genE4ELNS1_11target_archE910ELNS1_3gpuE8ELNS1_3repE0EEENS1_30default_config_static_selectorELNS0_4arch9wavefront6targetE0EEEvS10_
		.amdhsa_group_segment_fixed_size 0
		.amdhsa_private_segment_fixed_size 0
		.amdhsa_kernarg_size 112
		.amdhsa_user_sgpr_count 6
		.amdhsa_user_sgpr_private_segment_buffer 1
		.amdhsa_user_sgpr_dispatch_ptr 0
		.amdhsa_user_sgpr_queue_ptr 0
		.amdhsa_user_sgpr_kernarg_segment_ptr 1
		.amdhsa_user_sgpr_dispatch_id 0
		.amdhsa_user_sgpr_flat_scratch_init 0
		.amdhsa_user_sgpr_private_segment_size 0
		.amdhsa_wavefront_size32 1
		.amdhsa_uses_dynamic_stack 0
		.amdhsa_system_sgpr_private_segment_wavefront_offset 0
		.amdhsa_system_sgpr_workgroup_id_x 1
		.amdhsa_system_sgpr_workgroup_id_y 0
		.amdhsa_system_sgpr_workgroup_id_z 0
		.amdhsa_system_sgpr_workgroup_info 0
		.amdhsa_system_vgpr_workitem_id 0
		.amdhsa_next_free_vgpr 1
		.amdhsa_next_free_sgpr 1
		.amdhsa_reserve_vcc 0
		.amdhsa_reserve_flat_scratch 0
		.amdhsa_float_round_mode_32 0
		.amdhsa_float_round_mode_16_64 0
		.amdhsa_float_denorm_mode_32 3
		.amdhsa_float_denorm_mode_16_64 3
		.amdhsa_dx10_clamp 1
		.amdhsa_ieee_mode 1
		.amdhsa_fp16_overflow 0
		.amdhsa_workgroup_processor_mode 1
		.amdhsa_memory_ordered 1
		.amdhsa_forward_progress 1
		.amdhsa_shared_vgpr_count 0
		.amdhsa_exception_fp_ieee_invalid_op 0
		.amdhsa_exception_fp_denorm_src 0
		.amdhsa_exception_fp_ieee_div_zero 0
		.amdhsa_exception_fp_ieee_overflow 0
		.amdhsa_exception_fp_ieee_underflow 0
		.amdhsa_exception_fp_ieee_inexact 0
		.amdhsa_exception_int_div_zero 0
	.end_amdhsa_kernel
	.section	.text._ZN7rocprim17ROCPRIM_400000_NS6detail17trampoline_kernelINS0_14default_configENS1_21merge_config_selectorINS0_5tupleIJyyEEENS0_10empty_typeEEEZNS1_10merge_implIS3_NS0_12zip_iteratorINS5_IJN6thrust23THRUST_200600_302600_NS6detail15normal_iteratorINSC_10device_ptrIKyEEEESI_EEEEESK_NSA_INS5_IJNSE_INSF_IyEEEESM_EEEEEPS7_SP_SP_NSC_11hip_rocprim7__merge17predicate_wrapperIyyNSC_7greaterImEEEEEE10hipError_tPvRmT0_T1_T2_T3_T4_T5_mmT6_P12ihipStream_tbEUlT_E0_NS1_11comp_targetILNS1_3genE4ELNS1_11target_archE910ELNS1_3gpuE8ELNS1_3repE0EEENS1_30default_config_static_selectorELNS0_4arch9wavefront6targetE0EEEvS10_,"axG",@progbits,_ZN7rocprim17ROCPRIM_400000_NS6detail17trampoline_kernelINS0_14default_configENS1_21merge_config_selectorINS0_5tupleIJyyEEENS0_10empty_typeEEEZNS1_10merge_implIS3_NS0_12zip_iteratorINS5_IJN6thrust23THRUST_200600_302600_NS6detail15normal_iteratorINSC_10device_ptrIKyEEEESI_EEEEESK_NSA_INS5_IJNSE_INSF_IyEEEESM_EEEEEPS7_SP_SP_NSC_11hip_rocprim7__merge17predicate_wrapperIyyNSC_7greaterImEEEEEE10hipError_tPvRmT0_T1_T2_T3_T4_T5_mmT6_P12ihipStream_tbEUlT_E0_NS1_11comp_targetILNS1_3genE4ELNS1_11target_archE910ELNS1_3gpuE8ELNS1_3repE0EEENS1_30default_config_static_selectorELNS0_4arch9wavefront6targetE0EEEvS10_,comdat
.Lfunc_end364:
	.size	_ZN7rocprim17ROCPRIM_400000_NS6detail17trampoline_kernelINS0_14default_configENS1_21merge_config_selectorINS0_5tupleIJyyEEENS0_10empty_typeEEEZNS1_10merge_implIS3_NS0_12zip_iteratorINS5_IJN6thrust23THRUST_200600_302600_NS6detail15normal_iteratorINSC_10device_ptrIKyEEEESI_EEEEESK_NSA_INS5_IJNSE_INSF_IyEEEESM_EEEEEPS7_SP_SP_NSC_11hip_rocprim7__merge17predicate_wrapperIyyNSC_7greaterImEEEEEE10hipError_tPvRmT0_T1_T2_T3_T4_T5_mmT6_P12ihipStream_tbEUlT_E0_NS1_11comp_targetILNS1_3genE4ELNS1_11target_archE910ELNS1_3gpuE8ELNS1_3repE0EEENS1_30default_config_static_selectorELNS0_4arch9wavefront6targetE0EEEvS10_, .Lfunc_end364-_ZN7rocprim17ROCPRIM_400000_NS6detail17trampoline_kernelINS0_14default_configENS1_21merge_config_selectorINS0_5tupleIJyyEEENS0_10empty_typeEEEZNS1_10merge_implIS3_NS0_12zip_iteratorINS5_IJN6thrust23THRUST_200600_302600_NS6detail15normal_iteratorINSC_10device_ptrIKyEEEESI_EEEEESK_NSA_INS5_IJNSE_INSF_IyEEEESM_EEEEEPS7_SP_SP_NSC_11hip_rocprim7__merge17predicate_wrapperIyyNSC_7greaterImEEEEEE10hipError_tPvRmT0_T1_T2_T3_T4_T5_mmT6_P12ihipStream_tbEUlT_E0_NS1_11comp_targetILNS1_3genE4ELNS1_11target_archE910ELNS1_3gpuE8ELNS1_3repE0EEENS1_30default_config_static_selectorELNS0_4arch9wavefront6targetE0EEEvS10_
                                        ; -- End function
	.set _ZN7rocprim17ROCPRIM_400000_NS6detail17trampoline_kernelINS0_14default_configENS1_21merge_config_selectorINS0_5tupleIJyyEEENS0_10empty_typeEEEZNS1_10merge_implIS3_NS0_12zip_iteratorINS5_IJN6thrust23THRUST_200600_302600_NS6detail15normal_iteratorINSC_10device_ptrIKyEEEESI_EEEEESK_NSA_INS5_IJNSE_INSF_IyEEEESM_EEEEEPS7_SP_SP_NSC_11hip_rocprim7__merge17predicate_wrapperIyyNSC_7greaterImEEEEEE10hipError_tPvRmT0_T1_T2_T3_T4_T5_mmT6_P12ihipStream_tbEUlT_E0_NS1_11comp_targetILNS1_3genE4ELNS1_11target_archE910ELNS1_3gpuE8ELNS1_3repE0EEENS1_30default_config_static_selectorELNS0_4arch9wavefront6targetE0EEEvS10_.num_vgpr, 0
	.set _ZN7rocprim17ROCPRIM_400000_NS6detail17trampoline_kernelINS0_14default_configENS1_21merge_config_selectorINS0_5tupleIJyyEEENS0_10empty_typeEEEZNS1_10merge_implIS3_NS0_12zip_iteratorINS5_IJN6thrust23THRUST_200600_302600_NS6detail15normal_iteratorINSC_10device_ptrIKyEEEESI_EEEEESK_NSA_INS5_IJNSE_INSF_IyEEEESM_EEEEEPS7_SP_SP_NSC_11hip_rocprim7__merge17predicate_wrapperIyyNSC_7greaterImEEEEEE10hipError_tPvRmT0_T1_T2_T3_T4_T5_mmT6_P12ihipStream_tbEUlT_E0_NS1_11comp_targetILNS1_3genE4ELNS1_11target_archE910ELNS1_3gpuE8ELNS1_3repE0EEENS1_30default_config_static_selectorELNS0_4arch9wavefront6targetE0EEEvS10_.num_agpr, 0
	.set _ZN7rocprim17ROCPRIM_400000_NS6detail17trampoline_kernelINS0_14default_configENS1_21merge_config_selectorINS0_5tupleIJyyEEENS0_10empty_typeEEEZNS1_10merge_implIS3_NS0_12zip_iteratorINS5_IJN6thrust23THRUST_200600_302600_NS6detail15normal_iteratorINSC_10device_ptrIKyEEEESI_EEEEESK_NSA_INS5_IJNSE_INSF_IyEEEESM_EEEEEPS7_SP_SP_NSC_11hip_rocprim7__merge17predicate_wrapperIyyNSC_7greaterImEEEEEE10hipError_tPvRmT0_T1_T2_T3_T4_T5_mmT6_P12ihipStream_tbEUlT_E0_NS1_11comp_targetILNS1_3genE4ELNS1_11target_archE910ELNS1_3gpuE8ELNS1_3repE0EEENS1_30default_config_static_selectorELNS0_4arch9wavefront6targetE0EEEvS10_.numbered_sgpr, 0
	.set _ZN7rocprim17ROCPRIM_400000_NS6detail17trampoline_kernelINS0_14default_configENS1_21merge_config_selectorINS0_5tupleIJyyEEENS0_10empty_typeEEEZNS1_10merge_implIS3_NS0_12zip_iteratorINS5_IJN6thrust23THRUST_200600_302600_NS6detail15normal_iteratorINSC_10device_ptrIKyEEEESI_EEEEESK_NSA_INS5_IJNSE_INSF_IyEEEESM_EEEEEPS7_SP_SP_NSC_11hip_rocprim7__merge17predicate_wrapperIyyNSC_7greaterImEEEEEE10hipError_tPvRmT0_T1_T2_T3_T4_T5_mmT6_P12ihipStream_tbEUlT_E0_NS1_11comp_targetILNS1_3genE4ELNS1_11target_archE910ELNS1_3gpuE8ELNS1_3repE0EEENS1_30default_config_static_selectorELNS0_4arch9wavefront6targetE0EEEvS10_.num_named_barrier, 0
	.set _ZN7rocprim17ROCPRIM_400000_NS6detail17trampoline_kernelINS0_14default_configENS1_21merge_config_selectorINS0_5tupleIJyyEEENS0_10empty_typeEEEZNS1_10merge_implIS3_NS0_12zip_iteratorINS5_IJN6thrust23THRUST_200600_302600_NS6detail15normal_iteratorINSC_10device_ptrIKyEEEESI_EEEEESK_NSA_INS5_IJNSE_INSF_IyEEEESM_EEEEEPS7_SP_SP_NSC_11hip_rocprim7__merge17predicate_wrapperIyyNSC_7greaterImEEEEEE10hipError_tPvRmT0_T1_T2_T3_T4_T5_mmT6_P12ihipStream_tbEUlT_E0_NS1_11comp_targetILNS1_3genE4ELNS1_11target_archE910ELNS1_3gpuE8ELNS1_3repE0EEENS1_30default_config_static_selectorELNS0_4arch9wavefront6targetE0EEEvS10_.private_seg_size, 0
	.set _ZN7rocprim17ROCPRIM_400000_NS6detail17trampoline_kernelINS0_14default_configENS1_21merge_config_selectorINS0_5tupleIJyyEEENS0_10empty_typeEEEZNS1_10merge_implIS3_NS0_12zip_iteratorINS5_IJN6thrust23THRUST_200600_302600_NS6detail15normal_iteratorINSC_10device_ptrIKyEEEESI_EEEEESK_NSA_INS5_IJNSE_INSF_IyEEEESM_EEEEEPS7_SP_SP_NSC_11hip_rocprim7__merge17predicate_wrapperIyyNSC_7greaterImEEEEEE10hipError_tPvRmT0_T1_T2_T3_T4_T5_mmT6_P12ihipStream_tbEUlT_E0_NS1_11comp_targetILNS1_3genE4ELNS1_11target_archE910ELNS1_3gpuE8ELNS1_3repE0EEENS1_30default_config_static_selectorELNS0_4arch9wavefront6targetE0EEEvS10_.uses_vcc, 0
	.set _ZN7rocprim17ROCPRIM_400000_NS6detail17trampoline_kernelINS0_14default_configENS1_21merge_config_selectorINS0_5tupleIJyyEEENS0_10empty_typeEEEZNS1_10merge_implIS3_NS0_12zip_iteratorINS5_IJN6thrust23THRUST_200600_302600_NS6detail15normal_iteratorINSC_10device_ptrIKyEEEESI_EEEEESK_NSA_INS5_IJNSE_INSF_IyEEEESM_EEEEEPS7_SP_SP_NSC_11hip_rocprim7__merge17predicate_wrapperIyyNSC_7greaterImEEEEEE10hipError_tPvRmT0_T1_T2_T3_T4_T5_mmT6_P12ihipStream_tbEUlT_E0_NS1_11comp_targetILNS1_3genE4ELNS1_11target_archE910ELNS1_3gpuE8ELNS1_3repE0EEENS1_30default_config_static_selectorELNS0_4arch9wavefront6targetE0EEEvS10_.uses_flat_scratch, 0
	.set _ZN7rocprim17ROCPRIM_400000_NS6detail17trampoline_kernelINS0_14default_configENS1_21merge_config_selectorINS0_5tupleIJyyEEENS0_10empty_typeEEEZNS1_10merge_implIS3_NS0_12zip_iteratorINS5_IJN6thrust23THRUST_200600_302600_NS6detail15normal_iteratorINSC_10device_ptrIKyEEEESI_EEEEESK_NSA_INS5_IJNSE_INSF_IyEEEESM_EEEEEPS7_SP_SP_NSC_11hip_rocprim7__merge17predicate_wrapperIyyNSC_7greaterImEEEEEE10hipError_tPvRmT0_T1_T2_T3_T4_T5_mmT6_P12ihipStream_tbEUlT_E0_NS1_11comp_targetILNS1_3genE4ELNS1_11target_archE910ELNS1_3gpuE8ELNS1_3repE0EEENS1_30default_config_static_selectorELNS0_4arch9wavefront6targetE0EEEvS10_.has_dyn_sized_stack, 0
	.set _ZN7rocprim17ROCPRIM_400000_NS6detail17trampoline_kernelINS0_14default_configENS1_21merge_config_selectorINS0_5tupleIJyyEEENS0_10empty_typeEEEZNS1_10merge_implIS3_NS0_12zip_iteratorINS5_IJN6thrust23THRUST_200600_302600_NS6detail15normal_iteratorINSC_10device_ptrIKyEEEESI_EEEEESK_NSA_INS5_IJNSE_INSF_IyEEEESM_EEEEEPS7_SP_SP_NSC_11hip_rocprim7__merge17predicate_wrapperIyyNSC_7greaterImEEEEEE10hipError_tPvRmT0_T1_T2_T3_T4_T5_mmT6_P12ihipStream_tbEUlT_E0_NS1_11comp_targetILNS1_3genE4ELNS1_11target_archE910ELNS1_3gpuE8ELNS1_3repE0EEENS1_30default_config_static_selectorELNS0_4arch9wavefront6targetE0EEEvS10_.has_recursion, 0
	.set _ZN7rocprim17ROCPRIM_400000_NS6detail17trampoline_kernelINS0_14default_configENS1_21merge_config_selectorINS0_5tupleIJyyEEENS0_10empty_typeEEEZNS1_10merge_implIS3_NS0_12zip_iteratorINS5_IJN6thrust23THRUST_200600_302600_NS6detail15normal_iteratorINSC_10device_ptrIKyEEEESI_EEEEESK_NSA_INS5_IJNSE_INSF_IyEEEESM_EEEEEPS7_SP_SP_NSC_11hip_rocprim7__merge17predicate_wrapperIyyNSC_7greaterImEEEEEE10hipError_tPvRmT0_T1_T2_T3_T4_T5_mmT6_P12ihipStream_tbEUlT_E0_NS1_11comp_targetILNS1_3genE4ELNS1_11target_archE910ELNS1_3gpuE8ELNS1_3repE0EEENS1_30default_config_static_selectorELNS0_4arch9wavefront6targetE0EEEvS10_.has_indirect_call, 0
	.section	.AMDGPU.csdata,"",@progbits
; Kernel info:
; codeLenInByte = 0
; TotalNumSgprs: 0
; NumVgprs: 0
; ScratchSize: 0
; MemoryBound: 0
; FloatMode: 240
; IeeeMode: 1
; LDSByteSize: 0 bytes/workgroup (compile time only)
; SGPRBlocks: 0
; VGPRBlocks: 0
; NumSGPRsForWavesPerEU: 1
; NumVGPRsForWavesPerEU: 1
; Occupancy: 16
; WaveLimiterHint : 0
; COMPUTE_PGM_RSRC2:SCRATCH_EN: 0
; COMPUTE_PGM_RSRC2:USER_SGPR: 6
; COMPUTE_PGM_RSRC2:TRAP_HANDLER: 0
; COMPUTE_PGM_RSRC2:TGID_X_EN: 1
; COMPUTE_PGM_RSRC2:TGID_Y_EN: 0
; COMPUTE_PGM_RSRC2:TGID_Z_EN: 0
; COMPUTE_PGM_RSRC2:TIDIG_COMP_CNT: 0
	.section	.text._ZN7rocprim17ROCPRIM_400000_NS6detail17trampoline_kernelINS0_14default_configENS1_21merge_config_selectorINS0_5tupleIJyyEEENS0_10empty_typeEEEZNS1_10merge_implIS3_NS0_12zip_iteratorINS5_IJN6thrust23THRUST_200600_302600_NS6detail15normal_iteratorINSC_10device_ptrIKyEEEESI_EEEEESK_NSA_INS5_IJNSE_INSF_IyEEEESM_EEEEEPS7_SP_SP_NSC_11hip_rocprim7__merge17predicate_wrapperIyyNSC_7greaterImEEEEEE10hipError_tPvRmT0_T1_T2_T3_T4_T5_mmT6_P12ihipStream_tbEUlT_E0_NS1_11comp_targetILNS1_3genE3ELNS1_11target_archE908ELNS1_3gpuE7ELNS1_3repE0EEENS1_30default_config_static_selectorELNS0_4arch9wavefront6targetE0EEEvS10_,"axG",@progbits,_ZN7rocprim17ROCPRIM_400000_NS6detail17trampoline_kernelINS0_14default_configENS1_21merge_config_selectorINS0_5tupleIJyyEEENS0_10empty_typeEEEZNS1_10merge_implIS3_NS0_12zip_iteratorINS5_IJN6thrust23THRUST_200600_302600_NS6detail15normal_iteratorINSC_10device_ptrIKyEEEESI_EEEEESK_NSA_INS5_IJNSE_INSF_IyEEEESM_EEEEEPS7_SP_SP_NSC_11hip_rocprim7__merge17predicate_wrapperIyyNSC_7greaterImEEEEEE10hipError_tPvRmT0_T1_T2_T3_T4_T5_mmT6_P12ihipStream_tbEUlT_E0_NS1_11comp_targetILNS1_3genE3ELNS1_11target_archE908ELNS1_3gpuE7ELNS1_3repE0EEENS1_30default_config_static_selectorELNS0_4arch9wavefront6targetE0EEEvS10_,comdat
	.protected	_ZN7rocprim17ROCPRIM_400000_NS6detail17trampoline_kernelINS0_14default_configENS1_21merge_config_selectorINS0_5tupleIJyyEEENS0_10empty_typeEEEZNS1_10merge_implIS3_NS0_12zip_iteratorINS5_IJN6thrust23THRUST_200600_302600_NS6detail15normal_iteratorINSC_10device_ptrIKyEEEESI_EEEEESK_NSA_INS5_IJNSE_INSF_IyEEEESM_EEEEEPS7_SP_SP_NSC_11hip_rocprim7__merge17predicate_wrapperIyyNSC_7greaterImEEEEEE10hipError_tPvRmT0_T1_T2_T3_T4_T5_mmT6_P12ihipStream_tbEUlT_E0_NS1_11comp_targetILNS1_3genE3ELNS1_11target_archE908ELNS1_3gpuE7ELNS1_3repE0EEENS1_30default_config_static_selectorELNS0_4arch9wavefront6targetE0EEEvS10_ ; -- Begin function _ZN7rocprim17ROCPRIM_400000_NS6detail17trampoline_kernelINS0_14default_configENS1_21merge_config_selectorINS0_5tupleIJyyEEENS0_10empty_typeEEEZNS1_10merge_implIS3_NS0_12zip_iteratorINS5_IJN6thrust23THRUST_200600_302600_NS6detail15normal_iteratorINSC_10device_ptrIKyEEEESI_EEEEESK_NSA_INS5_IJNSE_INSF_IyEEEESM_EEEEEPS7_SP_SP_NSC_11hip_rocprim7__merge17predicate_wrapperIyyNSC_7greaterImEEEEEE10hipError_tPvRmT0_T1_T2_T3_T4_T5_mmT6_P12ihipStream_tbEUlT_E0_NS1_11comp_targetILNS1_3genE3ELNS1_11target_archE908ELNS1_3gpuE7ELNS1_3repE0EEENS1_30default_config_static_selectorELNS0_4arch9wavefront6targetE0EEEvS10_
	.globl	_ZN7rocprim17ROCPRIM_400000_NS6detail17trampoline_kernelINS0_14default_configENS1_21merge_config_selectorINS0_5tupleIJyyEEENS0_10empty_typeEEEZNS1_10merge_implIS3_NS0_12zip_iteratorINS5_IJN6thrust23THRUST_200600_302600_NS6detail15normal_iteratorINSC_10device_ptrIKyEEEESI_EEEEESK_NSA_INS5_IJNSE_INSF_IyEEEESM_EEEEEPS7_SP_SP_NSC_11hip_rocprim7__merge17predicate_wrapperIyyNSC_7greaterImEEEEEE10hipError_tPvRmT0_T1_T2_T3_T4_T5_mmT6_P12ihipStream_tbEUlT_E0_NS1_11comp_targetILNS1_3genE3ELNS1_11target_archE908ELNS1_3gpuE7ELNS1_3repE0EEENS1_30default_config_static_selectorELNS0_4arch9wavefront6targetE0EEEvS10_
	.p2align	8
	.type	_ZN7rocprim17ROCPRIM_400000_NS6detail17trampoline_kernelINS0_14default_configENS1_21merge_config_selectorINS0_5tupleIJyyEEENS0_10empty_typeEEEZNS1_10merge_implIS3_NS0_12zip_iteratorINS5_IJN6thrust23THRUST_200600_302600_NS6detail15normal_iteratorINSC_10device_ptrIKyEEEESI_EEEEESK_NSA_INS5_IJNSE_INSF_IyEEEESM_EEEEEPS7_SP_SP_NSC_11hip_rocprim7__merge17predicate_wrapperIyyNSC_7greaterImEEEEEE10hipError_tPvRmT0_T1_T2_T3_T4_T5_mmT6_P12ihipStream_tbEUlT_E0_NS1_11comp_targetILNS1_3genE3ELNS1_11target_archE908ELNS1_3gpuE7ELNS1_3repE0EEENS1_30default_config_static_selectorELNS0_4arch9wavefront6targetE0EEEvS10_,@function
_ZN7rocprim17ROCPRIM_400000_NS6detail17trampoline_kernelINS0_14default_configENS1_21merge_config_selectorINS0_5tupleIJyyEEENS0_10empty_typeEEEZNS1_10merge_implIS3_NS0_12zip_iteratorINS5_IJN6thrust23THRUST_200600_302600_NS6detail15normal_iteratorINSC_10device_ptrIKyEEEESI_EEEEESK_NSA_INS5_IJNSE_INSF_IyEEEESM_EEEEEPS7_SP_SP_NSC_11hip_rocprim7__merge17predicate_wrapperIyyNSC_7greaterImEEEEEE10hipError_tPvRmT0_T1_T2_T3_T4_T5_mmT6_P12ihipStream_tbEUlT_E0_NS1_11comp_targetILNS1_3genE3ELNS1_11target_archE908ELNS1_3gpuE7ELNS1_3repE0EEENS1_30default_config_static_selectorELNS0_4arch9wavefront6targetE0EEEvS10_: ; @_ZN7rocprim17ROCPRIM_400000_NS6detail17trampoline_kernelINS0_14default_configENS1_21merge_config_selectorINS0_5tupleIJyyEEENS0_10empty_typeEEEZNS1_10merge_implIS3_NS0_12zip_iteratorINS5_IJN6thrust23THRUST_200600_302600_NS6detail15normal_iteratorINSC_10device_ptrIKyEEEESI_EEEEESK_NSA_INS5_IJNSE_INSF_IyEEEESM_EEEEEPS7_SP_SP_NSC_11hip_rocprim7__merge17predicate_wrapperIyyNSC_7greaterImEEEEEE10hipError_tPvRmT0_T1_T2_T3_T4_T5_mmT6_P12ihipStream_tbEUlT_E0_NS1_11comp_targetILNS1_3genE3ELNS1_11target_archE908ELNS1_3gpuE7ELNS1_3repE0EEENS1_30default_config_static_selectorELNS0_4arch9wavefront6targetE0EEEvS10_
; %bb.0:
	.section	.rodata,"a",@progbits
	.p2align	6, 0x0
	.amdhsa_kernel _ZN7rocprim17ROCPRIM_400000_NS6detail17trampoline_kernelINS0_14default_configENS1_21merge_config_selectorINS0_5tupleIJyyEEENS0_10empty_typeEEEZNS1_10merge_implIS3_NS0_12zip_iteratorINS5_IJN6thrust23THRUST_200600_302600_NS6detail15normal_iteratorINSC_10device_ptrIKyEEEESI_EEEEESK_NSA_INS5_IJNSE_INSF_IyEEEESM_EEEEEPS7_SP_SP_NSC_11hip_rocprim7__merge17predicate_wrapperIyyNSC_7greaterImEEEEEE10hipError_tPvRmT0_T1_T2_T3_T4_T5_mmT6_P12ihipStream_tbEUlT_E0_NS1_11comp_targetILNS1_3genE3ELNS1_11target_archE908ELNS1_3gpuE7ELNS1_3repE0EEENS1_30default_config_static_selectorELNS0_4arch9wavefront6targetE0EEEvS10_
		.amdhsa_group_segment_fixed_size 0
		.amdhsa_private_segment_fixed_size 0
		.amdhsa_kernarg_size 112
		.amdhsa_user_sgpr_count 6
		.amdhsa_user_sgpr_private_segment_buffer 1
		.amdhsa_user_sgpr_dispatch_ptr 0
		.amdhsa_user_sgpr_queue_ptr 0
		.amdhsa_user_sgpr_kernarg_segment_ptr 1
		.amdhsa_user_sgpr_dispatch_id 0
		.amdhsa_user_sgpr_flat_scratch_init 0
		.amdhsa_user_sgpr_private_segment_size 0
		.amdhsa_wavefront_size32 1
		.amdhsa_uses_dynamic_stack 0
		.amdhsa_system_sgpr_private_segment_wavefront_offset 0
		.amdhsa_system_sgpr_workgroup_id_x 1
		.amdhsa_system_sgpr_workgroup_id_y 0
		.amdhsa_system_sgpr_workgroup_id_z 0
		.amdhsa_system_sgpr_workgroup_info 0
		.amdhsa_system_vgpr_workitem_id 0
		.amdhsa_next_free_vgpr 1
		.amdhsa_next_free_sgpr 1
		.amdhsa_reserve_vcc 0
		.amdhsa_reserve_flat_scratch 0
		.amdhsa_float_round_mode_32 0
		.amdhsa_float_round_mode_16_64 0
		.amdhsa_float_denorm_mode_32 3
		.amdhsa_float_denorm_mode_16_64 3
		.amdhsa_dx10_clamp 1
		.amdhsa_ieee_mode 1
		.amdhsa_fp16_overflow 0
		.amdhsa_workgroup_processor_mode 1
		.amdhsa_memory_ordered 1
		.amdhsa_forward_progress 1
		.amdhsa_shared_vgpr_count 0
		.amdhsa_exception_fp_ieee_invalid_op 0
		.amdhsa_exception_fp_denorm_src 0
		.amdhsa_exception_fp_ieee_div_zero 0
		.amdhsa_exception_fp_ieee_overflow 0
		.amdhsa_exception_fp_ieee_underflow 0
		.amdhsa_exception_fp_ieee_inexact 0
		.amdhsa_exception_int_div_zero 0
	.end_amdhsa_kernel
	.section	.text._ZN7rocprim17ROCPRIM_400000_NS6detail17trampoline_kernelINS0_14default_configENS1_21merge_config_selectorINS0_5tupleIJyyEEENS0_10empty_typeEEEZNS1_10merge_implIS3_NS0_12zip_iteratorINS5_IJN6thrust23THRUST_200600_302600_NS6detail15normal_iteratorINSC_10device_ptrIKyEEEESI_EEEEESK_NSA_INS5_IJNSE_INSF_IyEEEESM_EEEEEPS7_SP_SP_NSC_11hip_rocprim7__merge17predicate_wrapperIyyNSC_7greaterImEEEEEE10hipError_tPvRmT0_T1_T2_T3_T4_T5_mmT6_P12ihipStream_tbEUlT_E0_NS1_11comp_targetILNS1_3genE3ELNS1_11target_archE908ELNS1_3gpuE7ELNS1_3repE0EEENS1_30default_config_static_selectorELNS0_4arch9wavefront6targetE0EEEvS10_,"axG",@progbits,_ZN7rocprim17ROCPRIM_400000_NS6detail17trampoline_kernelINS0_14default_configENS1_21merge_config_selectorINS0_5tupleIJyyEEENS0_10empty_typeEEEZNS1_10merge_implIS3_NS0_12zip_iteratorINS5_IJN6thrust23THRUST_200600_302600_NS6detail15normal_iteratorINSC_10device_ptrIKyEEEESI_EEEEESK_NSA_INS5_IJNSE_INSF_IyEEEESM_EEEEEPS7_SP_SP_NSC_11hip_rocprim7__merge17predicate_wrapperIyyNSC_7greaterImEEEEEE10hipError_tPvRmT0_T1_T2_T3_T4_T5_mmT6_P12ihipStream_tbEUlT_E0_NS1_11comp_targetILNS1_3genE3ELNS1_11target_archE908ELNS1_3gpuE7ELNS1_3repE0EEENS1_30default_config_static_selectorELNS0_4arch9wavefront6targetE0EEEvS10_,comdat
.Lfunc_end365:
	.size	_ZN7rocprim17ROCPRIM_400000_NS6detail17trampoline_kernelINS0_14default_configENS1_21merge_config_selectorINS0_5tupleIJyyEEENS0_10empty_typeEEEZNS1_10merge_implIS3_NS0_12zip_iteratorINS5_IJN6thrust23THRUST_200600_302600_NS6detail15normal_iteratorINSC_10device_ptrIKyEEEESI_EEEEESK_NSA_INS5_IJNSE_INSF_IyEEEESM_EEEEEPS7_SP_SP_NSC_11hip_rocprim7__merge17predicate_wrapperIyyNSC_7greaterImEEEEEE10hipError_tPvRmT0_T1_T2_T3_T4_T5_mmT6_P12ihipStream_tbEUlT_E0_NS1_11comp_targetILNS1_3genE3ELNS1_11target_archE908ELNS1_3gpuE7ELNS1_3repE0EEENS1_30default_config_static_selectorELNS0_4arch9wavefront6targetE0EEEvS10_, .Lfunc_end365-_ZN7rocprim17ROCPRIM_400000_NS6detail17trampoline_kernelINS0_14default_configENS1_21merge_config_selectorINS0_5tupleIJyyEEENS0_10empty_typeEEEZNS1_10merge_implIS3_NS0_12zip_iteratorINS5_IJN6thrust23THRUST_200600_302600_NS6detail15normal_iteratorINSC_10device_ptrIKyEEEESI_EEEEESK_NSA_INS5_IJNSE_INSF_IyEEEESM_EEEEEPS7_SP_SP_NSC_11hip_rocprim7__merge17predicate_wrapperIyyNSC_7greaterImEEEEEE10hipError_tPvRmT0_T1_T2_T3_T4_T5_mmT6_P12ihipStream_tbEUlT_E0_NS1_11comp_targetILNS1_3genE3ELNS1_11target_archE908ELNS1_3gpuE7ELNS1_3repE0EEENS1_30default_config_static_selectorELNS0_4arch9wavefront6targetE0EEEvS10_
                                        ; -- End function
	.set _ZN7rocprim17ROCPRIM_400000_NS6detail17trampoline_kernelINS0_14default_configENS1_21merge_config_selectorINS0_5tupleIJyyEEENS0_10empty_typeEEEZNS1_10merge_implIS3_NS0_12zip_iteratorINS5_IJN6thrust23THRUST_200600_302600_NS6detail15normal_iteratorINSC_10device_ptrIKyEEEESI_EEEEESK_NSA_INS5_IJNSE_INSF_IyEEEESM_EEEEEPS7_SP_SP_NSC_11hip_rocprim7__merge17predicate_wrapperIyyNSC_7greaterImEEEEEE10hipError_tPvRmT0_T1_T2_T3_T4_T5_mmT6_P12ihipStream_tbEUlT_E0_NS1_11comp_targetILNS1_3genE3ELNS1_11target_archE908ELNS1_3gpuE7ELNS1_3repE0EEENS1_30default_config_static_selectorELNS0_4arch9wavefront6targetE0EEEvS10_.num_vgpr, 0
	.set _ZN7rocprim17ROCPRIM_400000_NS6detail17trampoline_kernelINS0_14default_configENS1_21merge_config_selectorINS0_5tupleIJyyEEENS0_10empty_typeEEEZNS1_10merge_implIS3_NS0_12zip_iteratorINS5_IJN6thrust23THRUST_200600_302600_NS6detail15normal_iteratorINSC_10device_ptrIKyEEEESI_EEEEESK_NSA_INS5_IJNSE_INSF_IyEEEESM_EEEEEPS7_SP_SP_NSC_11hip_rocprim7__merge17predicate_wrapperIyyNSC_7greaterImEEEEEE10hipError_tPvRmT0_T1_T2_T3_T4_T5_mmT6_P12ihipStream_tbEUlT_E0_NS1_11comp_targetILNS1_3genE3ELNS1_11target_archE908ELNS1_3gpuE7ELNS1_3repE0EEENS1_30default_config_static_selectorELNS0_4arch9wavefront6targetE0EEEvS10_.num_agpr, 0
	.set _ZN7rocprim17ROCPRIM_400000_NS6detail17trampoline_kernelINS0_14default_configENS1_21merge_config_selectorINS0_5tupleIJyyEEENS0_10empty_typeEEEZNS1_10merge_implIS3_NS0_12zip_iteratorINS5_IJN6thrust23THRUST_200600_302600_NS6detail15normal_iteratorINSC_10device_ptrIKyEEEESI_EEEEESK_NSA_INS5_IJNSE_INSF_IyEEEESM_EEEEEPS7_SP_SP_NSC_11hip_rocprim7__merge17predicate_wrapperIyyNSC_7greaterImEEEEEE10hipError_tPvRmT0_T1_T2_T3_T4_T5_mmT6_P12ihipStream_tbEUlT_E0_NS1_11comp_targetILNS1_3genE3ELNS1_11target_archE908ELNS1_3gpuE7ELNS1_3repE0EEENS1_30default_config_static_selectorELNS0_4arch9wavefront6targetE0EEEvS10_.numbered_sgpr, 0
	.set _ZN7rocprim17ROCPRIM_400000_NS6detail17trampoline_kernelINS0_14default_configENS1_21merge_config_selectorINS0_5tupleIJyyEEENS0_10empty_typeEEEZNS1_10merge_implIS3_NS0_12zip_iteratorINS5_IJN6thrust23THRUST_200600_302600_NS6detail15normal_iteratorINSC_10device_ptrIKyEEEESI_EEEEESK_NSA_INS5_IJNSE_INSF_IyEEEESM_EEEEEPS7_SP_SP_NSC_11hip_rocprim7__merge17predicate_wrapperIyyNSC_7greaterImEEEEEE10hipError_tPvRmT0_T1_T2_T3_T4_T5_mmT6_P12ihipStream_tbEUlT_E0_NS1_11comp_targetILNS1_3genE3ELNS1_11target_archE908ELNS1_3gpuE7ELNS1_3repE0EEENS1_30default_config_static_selectorELNS0_4arch9wavefront6targetE0EEEvS10_.num_named_barrier, 0
	.set _ZN7rocprim17ROCPRIM_400000_NS6detail17trampoline_kernelINS0_14default_configENS1_21merge_config_selectorINS0_5tupleIJyyEEENS0_10empty_typeEEEZNS1_10merge_implIS3_NS0_12zip_iteratorINS5_IJN6thrust23THRUST_200600_302600_NS6detail15normal_iteratorINSC_10device_ptrIKyEEEESI_EEEEESK_NSA_INS5_IJNSE_INSF_IyEEEESM_EEEEEPS7_SP_SP_NSC_11hip_rocprim7__merge17predicate_wrapperIyyNSC_7greaterImEEEEEE10hipError_tPvRmT0_T1_T2_T3_T4_T5_mmT6_P12ihipStream_tbEUlT_E0_NS1_11comp_targetILNS1_3genE3ELNS1_11target_archE908ELNS1_3gpuE7ELNS1_3repE0EEENS1_30default_config_static_selectorELNS0_4arch9wavefront6targetE0EEEvS10_.private_seg_size, 0
	.set _ZN7rocprim17ROCPRIM_400000_NS6detail17trampoline_kernelINS0_14default_configENS1_21merge_config_selectorINS0_5tupleIJyyEEENS0_10empty_typeEEEZNS1_10merge_implIS3_NS0_12zip_iteratorINS5_IJN6thrust23THRUST_200600_302600_NS6detail15normal_iteratorINSC_10device_ptrIKyEEEESI_EEEEESK_NSA_INS5_IJNSE_INSF_IyEEEESM_EEEEEPS7_SP_SP_NSC_11hip_rocprim7__merge17predicate_wrapperIyyNSC_7greaterImEEEEEE10hipError_tPvRmT0_T1_T2_T3_T4_T5_mmT6_P12ihipStream_tbEUlT_E0_NS1_11comp_targetILNS1_3genE3ELNS1_11target_archE908ELNS1_3gpuE7ELNS1_3repE0EEENS1_30default_config_static_selectorELNS0_4arch9wavefront6targetE0EEEvS10_.uses_vcc, 0
	.set _ZN7rocprim17ROCPRIM_400000_NS6detail17trampoline_kernelINS0_14default_configENS1_21merge_config_selectorINS0_5tupleIJyyEEENS0_10empty_typeEEEZNS1_10merge_implIS3_NS0_12zip_iteratorINS5_IJN6thrust23THRUST_200600_302600_NS6detail15normal_iteratorINSC_10device_ptrIKyEEEESI_EEEEESK_NSA_INS5_IJNSE_INSF_IyEEEESM_EEEEEPS7_SP_SP_NSC_11hip_rocprim7__merge17predicate_wrapperIyyNSC_7greaterImEEEEEE10hipError_tPvRmT0_T1_T2_T3_T4_T5_mmT6_P12ihipStream_tbEUlT_E0_NS1_11comp_targetILNS1_3genE3ELNS1_11target_archE908ELNS1_3gpuE7ELNS1_3repE0EEENS1_30default_config_static_selectorELNS0_4arch9wavefront6targetE0EEEvS10_.uses_flat_scratch, 0
	.set _ZN7rocprim17ROCPRIM_400000_NS6detail17trampoline_kernelINS0_14default_configENS1_21merge_config_selectorINS0_5tupleIJyyEEENS0_10empty_typeEEEZNS1_10merge_implIS3_NS0_12zip_iteratorINS5_IJN6thrust23THRUST_200600_302600_NS6detail15normal_iteratorINSC_10device_ptrIKyEEEESI_EEEEESK_NSA_INS5_IJNSE_INSF_IyEEEESM_EEEEEPS7_SP_SP_NSC_11hip_rocprim7__merge17predicate_wrapperIyyNSC_7greaterImEEEEEE10hipError_tPvRmT0_T1_T2_T3_T4_T5_mmT6_P12ihipStream_tbEUlT_E0_NS1_11comp_targetILNS1_3genE3ELNS1_11target_archE908ELNS1_3gpuE7ELNS1_3repE0EEENS1_30default_config_static_selectorELNS0_4arch9wavefront6targetE0EEEvS10_.has_dyn_sized_stack, 0
	.set _ZN7rocprim17ROCPRIM_400000_NS6detail17trampoline_kernelINS0_14default_configENS1_21merge_config_selectorINS0_5tupleIJyyEEENS0_10empty_typeEEEZNS1_10merge_implIS3_NS0_12zip_iteratorINS5_IJN6thrust23THRUST_200600_302600_NS6detail15normal_iteratorINSC_10device_ptrIKyEEEESI_EEEEESK_NSA_INS5_IJNSE_INSF_IyEEEESM_EEEEEPS7_SP_SP_NSC_11hip_rocprim7__merge17predicate_wrapperIyyNSC_7greaterImEEEEEE10hipError_tPvRmT0_T1_T2_T3_T4_T5_mmT6_P12ihipStream_tbEUlT_E0_NS1_11comp_targetILNS1_3genE3ELNS1_11target_archE908ELNS1_3gpuE7ELNS1_3repE0EEENS1_30default_config_static_selectorELNS0_4arch9wavefront6targetE0EEEvS10_.has_recursion, 0
	.set _ZN7rocprim17ROCPRIM_400000_NS6detail17trampoline_kernelINS0_14default_configENS1_21merge_config_selectorINS0_5tupleIJyyEEENS0_10empty_typeEEEZNS1_10merge_implIS3_NS0_12zip_iteratorINS5_IJN6thrust23THRUST_200600_302600_NS6detail15normal_iteratorINSC_10device_ptrIKyEEEESI_EEEEESK_NSA_INS5_IJNSE_INSF_IyEEEESM_EEEEEPS7_SP_SP_NSC_11hip_rocprim7__merge17predicate_wrapperIyyNSC_7greaterImEEEEEE10hipError_tPvRmT0_T1_T2_T3_T4_T5_mmT6_P12ihipStream_tbEUlT_E0_NS1_11comp_targetILNS1_3genE3ELNS1_11target_archE908ELNS1_3gpuE7ELNS1_3repE0EEENS1_30default_config_static_selectorELNS0_4arch9wavefront6targetE0EEEvS10_.has_indirect_call, 0
	.section	.AMDGPU.csdata,"",@progbits
; Kernel info:
; codeLenInByte = 0
; TotalNumSgprs: 0
; NumVgprs: 0
; ScratchSize: 0
; MemoryBound: 0
; FloatMode: 240
; IeeeMode: 1
; LDSByteSize: 0 bytes/workgroup (compile time only)
; SGPRBlocks: 0
; VGPRBlocks: 0
; NumSGPRsForWavesPerEU: 1
; NumVGPRsForWavesPerEU: 1
; Occupancy: 16
; WaveLimiterHint : 0
; COMPUTE_PGM_RSRC2:SCRATCH_EN: 0
; COMPUTE_PGM_RSRC2:USER_SGPR: 6
; COMPUTE_PGM_RSRC2:TRAP_HANDLER: 0
; COMPUTE_PGM_RSRC2:TGID_X_EN: 1
; COMPUTE_PGM_RSRC2:TGID_Y_EN: 0
; COMPUTE_PGM_RSRC2:TGID_Z_EN: 0
; COMPUTE_PGM_RSRC2:TIDIG_COMP_CNT: 0
	.section	.text._ZN7rocprim17ROCPRIM_400000_NS6detail17trampoline_kernelINS0_14default_configENS1_21merge_config_selectorINS0_5tupleIJyyEEENS0_10empty_typeEEEZNS1_10merge_implIS3_NS0_12zip_iteratorINS5_IJN6thrust23THRUST_200600_302600_NS6detail15normal_iteratorINSC_10device_ptrIKyEEEESI_EEEEESK_NSA_INS5_IJNSE_INSF_IyEEEESM_EEEEEPS7_SP_SP_NSC_11hip_rocprim7__merge17predicate_wrapperIyyNSC_7greaterImEEEEEE10hipError_tPvRmT0_T1_T2_T3_T4_T5_mmT6_P12ihipStream_tbEUlT_E0_NS1_11comp_targetILNS1_3genE2ELNS1_11target_archE906ELNS1_3gpuE6ELNS1_3repE0EEENS1_30default_config_static_selectorELNS0_4arch9wavefront6targetE0EEEvS10_,"axG",@progbits,_ZN7rocprim17ROCPRIM_400000_NS6detail17trampoline_kernelINS0_14default_configENS1_21merge_config_selectorINS0_5tupleIJyyEEENS0_10empty_typeEEEZNS1_10merge_implIS3_NS0_12zip_iteratorINS5_IJN6thrust23THRUST_200600_302600_NS6detail15normal_iteratorINSC_10device_ptrIKyEEEESI_EEEEESK_NSA_INS5_IJNSE_INSF_IyEEEESM_EEEEEPS7_SP_SP_NSC_11hip_rocprim7__merge17predicate_wrapperIyyNSC_7greaterImEEEEEE10hipError_tPvRmT0_T1_T2_T3_T4_T5_mmT6_P12ihipStream_tbEUlT_E0_NS1_11comp_targetILNS1_3genE2ELNS1_11target_archE906ELNS1_3gpuE6ELNS1_3repE0EEENS1_30default_config_static_selectorELNS0_4arch9wavefront6targetE0EEEvS10_,comdat
	.protected	_ZN7rocprim17ROCPRIM_400000_NS6detail17trampoline_kernelINS0_14default_configENS1_21merge_config_selectorINS0_5tupleIJyyEEENS0_10empty_typeEEEZNS1_10merge_implIS3_NS0_12zip_iteratorINS5_IJN6thrust23THRUST_200600_302600_NS6detail15normal_iteratorINSC_10device_ptrIKyEEEESI_EEEEESK_NSA_INS5_IJNSE_INSF_IyEEEESM_EEEEEPS7_SP_SP_NSC_11hip_rocprim7__merge17predicate_wrapperIyyNSC_7greaterImEEEEEE10hipError_tPvRmT0_T1_T2_T3_T4_T5_mmT6_P12ihipStream_tbEUlT_E0_NS1_11comp_targetILNS1_3genE2ELNS1_11target_archE906ELNS1_3gpuE6ELNS1_3repE0EEENS1_30default_config_static_selectorELNS0_4arch9wavefront6targetE0EEEvS10_ ; -- Begin function _ZN7rocprim17ROCPRIM_400000_NS6detail17trampoline_kernelINS0_14default_configENS1_21merge_config_selectorINS0_5tupleIJyyEEENS0_10empty_typeEEEZNS1_10merge_implIS3_NS0_12zip_iteratorINS5_IJN6thrust23THRUST_200600_302600_NS6detail15normal_iteratorINSC_10device_ptrIKyEEEESI_EEEEESK_NSA_INS5_IJNSE_INSF_IyEEEESM_EEEEEPS7_SP_SP_NSC_11hip_rocprim7__merge17predicate_wrapperIyyNSC_7greaterImEEEEEE10hipError_tPvRmT0_T1_T2_T3_T4_T5_mmT6_P12ihipStream_tbEUlT_E0_NS1_11comp_targetILNS1_3genE2ELNS1_11target_archE906ELNS1_3gpuE6ELNS1_3repE0EEENS1_30default_config_static_selectorELNS0_4arch9wavefront6targetE0EEEvS10_
	.globl	_ZN7rocprim17ROCPRIM_400000_NS6detail17trampoline_kernelINS0_14default_configENS1_21merge_config_selectorINS0_5tupleIJyyEEENS0_10empty_typeEEEZNS1_10merge_implIS3_NS0_12zip_iteratorINS5_IJN6thrust23THRUST_200600_302600_NS6detail15normal_iteratorINSC_10device_ptrIKyEEEESI_EEEEESK_NSA_INS5_IJNSE_INSF_IyEEEESM_EEEEEPS7_SP_SP_NSC_11hip_rocprim7__merge17predicate_wrapperIyyNSC_7greaterImEEEEEE10hipError_tPvRmT0_T1_T2_T3_T4_T5_mmT6_P12ihipStream_tbEUlT_E0_NS1_11comp_targetILNS1_3genE2ELNS1_11target_archE906ELNS1_3gpuE6ELNS1_3repE0EEENS1_30default_config_static_selectorELNS0_4arch9wavefront6targetE0EEEvS10_
	.p2align	8
	.type	_ZN7rocprim17ROCPRIM_400000_NS6detail17trampoline_kernelINS0_14default_configENS1_21merge_config_selectorINS0_5tupleIJyyEEENS0_10empty_typeEEEZNS1_10merge_implIS3_NS0_12zip_iteratorINS5_IJN6thrust23THRUST_200600_302600_NS6detail15normal_iteratorINSC_10device_ptrIKyEEEESI_EEEEESK_NSA_INS5_IJNSE_INSF_IyEEEESM_EEEEEPS7_SP_SP_NSC_11hip_rocprim7__merge17predicate_wrapperIyyNSC_7greaterImEEEEEE10hipError_tPvRmT0_T1_T2_T3_T4_T5_mmT6_P12ihipStream_tbEUlT_E0_NS1_11comp_targetILNS1_3genE2ELNS1_11target_archE906ELNS1_3gpuE6ELNS1_3repE0EEENS1_30default_config_static_selectorELNS0_4arch9wavefront6targetE0EEEvS10_,@function
_ZN7rocprim17ROCPRIM_400000_NS6detail17trampoline_kernelINS0_14default_configENS1_21merge_config_selectorINS0_5tupleIJyyEEENS0_10empty_typeEEEZNS1_10merge_implIS3_NS0_12zip_iteratorINS5_IJN6thrust23THRUST_200600_302600_NS6detail15normal_iteratorINSC_10device_ptrIKyEEEESI_EEEEESK_NSA_INS5_IJNSE_INSF_IyEEEESM_EEEEEPS7_SP_SP_NSC_11hip_rocprim7__merge17predicate_wrapperIyyNSC_7greaterImEEEEEE10hipError_tPvRmT0_T1_T2_T3_T4_T5_mmT6_P12ihipStream_tbEUlT_E0_NS1_11comp_targetILNS1_3genE2ELNS1_11target_archE906ELNS1_3gpuE6ELNS1_3repE0EEENS1_30default_config_static_selectorELNS0_4arch9wavefront6targetE0EEEvS10_: ; @_ZN7rocprim17ROCPRIM_400000_NS6detail17trampoline_kernelINS0_14default_configENS1_21merge_config_selectorINS0_5tupleIJyyEEENS0_10empty_typeEEEZNS1_10merge_implIS3_NS0_12zip_iteratorINS5_IJN6thrust23THRUST_200600_302600_NS6detail15normal_iteratorINSC_10device_ptrIKyEEEESI_EEEEESK_NSA_INS5_IJNSE_INSF_IyEEEESM_EEEEEPS7_SP_SP_NSC_11hip_rocprim7__merge17predicate_wrapperIyyNSC_7greaterImEEEEEE10hipError_tPvRmT0_T1_T2_T3_T4_T5_mmT6_P12ihipStream_tbEUlT_E0_NS1_11comp_targetILNS1_3genE2ELNS1_11target_archE906ELNS1_3gpuE6ELNS1_3repE0EEENS1_30default_config_static_selectorELNS0_4arch9wavefront6targetE0EEEvS10_
; %bb.0:
	.section	.rodata,"a",@progbits
	.p2align	6, 0x0
	.amdhsa_kernel _ZN7rocprim17ROCPRIM_400000_NS6detail17trampoline_kernelINS0_14default_configENS1_21merge_config_selectorINS0_5tupleIJyyEEENS0_10empty_typeEEEZNS1_10merge_implIS3_NS0_12zip_iteratorINS5_IJN6thrust23THRUST_200600_302600_NS6detail15normal_iteratorINSC_10device_ptrIKyEEEESI_EEEEESK_NSA_INS5_IJNSE_INSF_IyEEEESM_EEEEEPS7_SP_SP_NSC_11hip_rocprim7__merge17predicate_wrapperIyyNSC_7greaterImEEEEEE10hipError_tPvRmT0_T1_T2_T3_T4_T5_mmT6_P12ihipStream_tbEUlT_E0_NS1_11comp_targetILNS1_3genE2ELNS1_11target_archE906ELNS1_3gpuE6ELNS1_3repE0EEENS1_30default_config_static_selectorELNS0_4arch9wavefront6targetE0EEEvS10_
		.amdhsa_group_segment_fixed_size 0
		.amdhsa_private_segment_fixed_size 0
		.amdhsa_kernarg_size 112
		.amdhsa_user_sgpr_count 6
		.amdhsa_user_sgpr_private_segment_buffer 1
		.amdhsa_user_sgpr_dispatch_ptr 0
		.amdhsa_user_sgpr_queue_ptr 0
		.amdhsa_user_sgpr_kernarg_segment_ptr 1
		.amdhsa_user_sgpr_dispatch_id 0
		.amdhsa_user_sgpr_flat_scratch_init 0
		.amdhsa_user_sgpr_private_segment_size 0
		.amdhsa_wavefront_size32 1
		.amdhsa_uses_dynamic_stack 0
		.amdhsa_system_sgpr_private_segment_wavefront_offset 0
		.amdhsa_system_sgpr_workgroup_id_x 1
		.amdhsa_system_sgpr_workgroup_id_y 0
		.amdhsa_system_sgpr_workgroup_id_z 0
		.amdhsa_system_sgpr_workgroup_info 0
		.amdhsa_system_vgpr_workitem_id 0
		.amdhsa_next_free_vgpr 1
		.amdhsa_next_free_sgpr 1
		.amdhsa_reserve_vcc 0
		.amdhsa_reserve_flat_scratch 0
		.amdhsa_float_round_mode_32 0
		.amdhsa_float_round_mode_16_64 0
		.amdhsa_float_denorm_mode_32 3
		.amdhsa_float_denorm_mode_16_64 3
		.amdhsa_dx10_clamp 1
		.amdhsa_ieee_mode 1
		.amdhsa_fp16_overflow 0
		.amdhsa_workgroup_processor_mode 1
		.amdhsa_memory_ordered 1
		.amdhsa_forward_progress 1
		.amdhsa_shared_vgpr_count 0
		.amdhsa_exception_fp_ieee_invalid_op 0
		.amdhsa_exception_fp_denorm_src 0
		.amdhsa_exception_fp_ieee_div_zero 0
		.amdhsa_exception_fp_ieee_overflow 0
		.amdhsa_exception_fp_ieee_underflow 0
		.amdhsa_exception_fp_ieee_inexact 0
		.amdhsa_exception_int_div_zero 0
	.end_amdhsa_kernel
	.section	.text._ZN7rocprim17ROCPRIM_400000_NS6detail17trampoline_kernelINS0_14default_configENS1_21merge_config_selectorINS0_5tupleIJyyEEENS0_10empty_typeEEEZNS1_10merge_implIS3_NS0_12zip_iteratorINS5_IJN6thrust23THRUST_200600_302600_NS6detail15normal_iteratorINSC_10device_ptrIKyEEEESI_EEEEESK_NSA_INS5_IJNSE_INSF_IyEEEESM_EEEEEPS7_SP_SP_NSC_11hip_rocprim7__merge17predicate_wrapperIyyNSC_7greaterImEEEEEE10hipError_tPvRmT0_T1_T2_T3_T4_T5_mmT6_P12ihipStream_tbEUlT_E0_NS1_11comp_targetILNS1_3genE2ELNS1_11target_archE906ELNS1_3gpuE6ELNS1_3repE0EEENS1_30default_config_static_selectorELNS0_4arch9wavefront6targetE0EEEvS10_,"axG",@progbits,_ZN7rocprim17ROCPRIM_400000_NS6detail17trampoline_kernelINS0_14default_configENS1_21merge_config_selectorINS0_5tupleIJyyEEENS0_10empty_typeEEEZNS1_10merge_implIS3_NS0_12zip_iteratorINS5_IJN6thrust23THRUST_200600_302600_NS6detail15normal_iteratorINSC_10device_ptrIKyEEEESI_EEEEESK_NSA_INS5_IJNSE_INSF_IyEEEESM_EEEEEPS7_SP_SP_NSC_11hip_rocprim7__merge17predicate_wrapperIyyNSC_7greaterImEEEEEE10hipError_tPvRmT0_T1_T2_T3_T4_T5_mmT6_P12ihipStream_tbEUlT_E0_NS1_11comp_targetILNS1_3genE2ELNS1_11target_archE906ELNS1_3gpuE6ELNS1_3repE0EEENS1_30default_config_static_selectorELNS0_4arch9wavefront6targetE0EEEvS10_,comdat
.Lfunc_end366:
	.size	_ZN7rocprim17ROCPRIM_400000_NS6detail17trampoline_kernelINS0_14default_configENS1_21merge_config_selectorINS0_5tupleIJyyEEENS0_10empty_typeEEEZNS1_10merge_implIS3_NS0_12zip_iteratorINS5_IJN6thrust23THRUST_200600_302600_NS6detail15normal_iteratorINSC_10device_ptrIKyEEEESI_EEEEESK_NSA_INS5_IJNSE_INSF_IyEEEESM_EEEEEPS7_SP_SP_NSC_11hip_rocprim7__merge17predicate_wrapperIyyNSC_7greaterImEEEEEE10hipError_tPvRmT0_T1_T2_T3_T4_T5_mmT6_P12ihipStream_tbEUlT_E0_NS1_11comp_targetILNS1_3genE2ELNS1_11target_archE906ELNS1_3gpuE6ELNS1_3repE0EEENS1_30default_config_static_selectorELNS0_4arch9wavefront6targetE0EEEvS10_, .Lfunc_end366-_ZN7rocprim17ROCPRIM_400000_NS6detail17trampoline_kernelINS0_14default_configENS1_21merge_config_selectorINS0_5tupleIJyyEEENS0_10empty_typeEEEZNS1_10merge_implIS3_NS0_12zip_iteratorINS5_IJN6thrust23THRUST_200600_302600_NS6detail15normal_iteratorINSC_10device_ptrIKyEEEESI_EEEEESK_NSA_INS5_IJNSE_INSF_IyEEEESM_EEEEEPS7_SP_SP_NSC_11hip_rocprim7__merge17predicate_wrapperIyyNSC_7greaterImEEEEEE10hipError_tPvRmT0_T1_T2_T3_T4_T5_mmT6_P12ihipStream_tbEUlT_E0_NS1_11comp_targetILNS1_3genE2ELNS1_11target_archE906ELNS1_3gpuE6ELNS1_3repE0EEENS1_30default_config_static_selectorELNS0_4arch9wavefront6targetE0EEEvS10_
                                        ; -- End function
	.set _ZN7rocprim17ROCPRIM_400000_NS6detail17trampoline_kernelINS0_14default_configENS1_21merge_config_selectorINS0_5tupleIJyyEEENS0_10empty_typeEEEZNS1_10merge_implIS3_NS0_12zip_iteratorINS5_IJN6thrust23THRUST_200600_302600_NS6detail15normal_iteratorINSC_10device_ptrIKyEEEESI_EEEEESK_NSA_INS5_IJNSE_INSF_IyEEEESM_EEEEEPS7_SP_SP_NSC_11hip_rocprim7__merge17predicate_wrapperIyyNSC_7greaterImEEEEEE10hipError_tPvRmT0_T1_T2_T3_T4_T5_mmT6_P12ihipStream_tbEUlT_E0_NS1_11comp_targetILNS1_3genE2ELNS1_11target_archE906ELNS1_3gpuE6ELNS1_3repE0EEENS1_30default_config_static_selectorELNS0_4arch9wavefront6targetE0EEEvS10_.num_vgpr, 0
	.set _ZN7rocprim17ROCPRIM_400000_NS6detail17trampoline_kernelINS0_14default_configENS1_21merge_config_selectorINS0_5tupleIJyyEEENS0_10empty_typeEEEZNS1_10merge_implIS3_NS0_12zip_iteratorINS5_IJN6thrust23THRUST_200600_302600_NS6detail15normal_iteratorINSC_10device_ptrIKyEEEESI_EEEEESK_NSA_INS5_IJNSE_INSF_IyEEEESM_EEEEEPS7_SP_SP_NSC_11hip_rocprim7__merge17predicate_wrapperIyyNSC_7greaterImEEEEEE10hipError_tPvRmT0_T1_T2_T3_T4_T5_mmT6_P12ihipStream_tbEUlT_E0_NS1_11comp_targetILNS1_3genE2ELNS1_11target_archE906ELNS1_3gpuE6ELNS1_3repE0EEENS1_30default_config_static_selectorELNS0_4arch9wavefront6targetE0EEEvS10_.num_agpr, 0
	.set _ZN7rocprim17ROCPRIM_400000_NS6detail17trampoline_kernelINS0_14default_configENS1_21merge_config_selectorINS0_5tupleIJyyEEENS0_10empty_typeEEEZNS1_10merge_implIS3_NS0_12zip_iteratorINS5_IJN6thrust23THRUST_200600_302600_NS6detail15normal_iteratorINSC_10device_ptrIKyEEEESI_EEEEESK_NSA_INS5_IJNSE_INSF_IyEEEESM_EEEEEPS7_SP_SP_NSC_11hip_rocprim7__merge17predicate_wrapperIyyNSC_7greaterImEEEEEE10hipError_tPvRmT0_T1_T2_T3_T4_T5_mmT6_P12ihipStream_tbEUlT_E0_NS1_11comp_targetILNS1_3genE2ELNS1_11target_archE906ELNS1_3gpuE6ELNS1_3repE0EEENS1_30default_config_static_selectorELNS0_4arch9wavefront6targetE0EEEvS10_.numbered_sgpr, 0
	.set _ZN7rocprim17ROCPRIM_400000_NS6detail17trampoline_kernelINS0_14default_configENS1_21merge_config_selectorINS0_5tupleIJyyEEENS0_10empty_typeEEEZNS1_10merge_implIS3_NS0_12zip_iteratorINS5_IJN6thrust23THRUST_200600_302600_NS6detail15normal_iteratorINSC_10device_ptrIKyEEEESI_EEEEESK_NSA_INS5_IJNSE_INSF_IyEEEESM_EEEEEPS7_SP_SP_NSC_11hip_rocprim7__merge17predicate_wrapperIyyNSC_7greaterImEEEEEE10hipError_tPvRmT0_T1_T2_T3_T4_T5_mmT6_P12ihipStream_tbEUlT_E0_NS1_11comp_targetILNS1_3genE2ELNS1_11target_archE906ELNS1_3gpuE6ELNS1_3repE0EEENS1_30default_config_static_selectorELNS0_4arch9wavefront6targetE0EEEvS10_.num_named_barrier, 0
	.set _ZN7rocprim17ROCPRIM_400000_NS6detail17trampoline_kernelINS0_14default_configENS1_21merge_config_selectorINS0_5tupleIJyyEEENS0_10empty_typeEEEZNS1_10merge_implIS3_NS0_12zip_iteratorINS5_IJN6thrust23THRUST_200600_302600_NS6detail15normal_iteratorINSC_10device_ptrIKyEEEESI_EEEEESK_NSA_INS5_IJNSE_INSF_IyEEEESM_EEEEEPS7_SP_SP_NSC_11hip_rocprim7__merge17predicate_wrapperIyyNSC_7greaterImEEEEEE10hipError_tPvRmT0_T1_T2_T3_T4_T5_mmT6_P12ihipStream_tbEUlT_E0_NS1_11comp_targetILNS1_3genE2ELNS1_11target_archE906ELNS1_3gpuE6ELNS1_3repE0EEENS1_30default_config_static_selectorELNS0_4arch9wavefront6targetE0EEEvS10_.private_seg_size, 0
	.set _ZN7rocprim17ROCPRIM_400000_NS6detail17trampoline_kernelINS0_14default_configENS1_21merge_config_selectorINS0_5tupleIJyyEEENS0_10empty_typeEEEZNS1_10merge_implIS3_NS0_12zip_iteratorINS5_IJN6thrust23THRUST_200600_302600_NS6detail15normal_iteratorINSC_10device_ptrIKyEEEESI_EEEEESK_NSA_INS5_IJNSE_INSF_IyEEEESM_EEEEEPS7_SP_SP_NSC_11hip_rocprim7__merge17predicate_wrapperIyyNSC_7greaterImEEEEEE10hipError_tPvRmT0_T1_T2_T3_T4_T5_mmT6_P12ihipStream_tbEUlT_E0_NS1_11comp_targetILNS1_3genE2ELNS1_11target_archE906ELNS1_3gpuE6ELNS1_3repE0EEENS1_30default_config_static_selectorELNS0_4arch9wavefront6targetE0EEEvS10_.uses_vcc, 0
	.set _ZN7rocprim17ROCPRIM_400000_NS6detail17trampoline_kernelINS0_14default_configENS1_21merge_config_selectorINS0_5tupleIJyyEEENS0_10empty_typeEEEZNS1_10merge_implIS3_NS0_12zip_iteratorINS5_IJN6thrust23THRUST_200600_302600_NS6detail15normal_iteratorINSC_10device_ptrIKyEEEESI_EEEEESK_NSA_INS5_IJNSE_INSF_IyEEEESM_EEEEEPS7_SP_SP_NSC_11hip_rocprim7__merge17predicate_wrapperIyyNSC_7greaterImEEEEEE10hipError_tPvRmT0_T1_T2_T3_T4_T5_mmT6_P12ihipStream_tbEUlT_E0_NS1_11comp_targetILNS1_3genE2ELNS1_11target_archE906ELNS1_3gpuE6ELNS1_3repE0EEENS1_30default_config_static_selectorELNS0_4arch9wavefront6targetE0EEEvS10_.uses_flat_scratch, 0
	.set _ZN7rocprim17ROCPRIM_400000_NS6detail17trampoline_kernelINS0_14default_configENS1_21merge_config_selectorINS0_5tupleIJyyEEENS0_10empty_typeEEEZNS1_10merge_implIS3_NS0_12zip_iteratorINS5_IJN6thrust23THRUST_200600_302600_NS6detail15normal_iteratorINSC_10device_ptrIKyEEEESI_EEEEESK_NSA_INS5_IJNSE_INSF_IyEEEESM_EEEEEPS7_SP_SP_NSC_11hip_rocprim7__merge17predicate_wrapperIyyNSC_7greaterImEEEEEE10hipError_tPvRmT0_T1_T2_T3_T4_T5_mmT6_P12ihipStream_tbEUlT_E0_NS1_11comp_targetILNS1_3genE2ELNS1_11target_archE906ELNS1_3gpuE6ELNS1_3repE0EEENS1_30default_config_static_selectorELNS0_4arch9wavefront6targetE0EEEvS10_.has_dyn_sized_stack, 0
	.set _ZN7rocprim17ROCPRIM_400000_NS6detail17trampoline_kernelINS0_14default_configENS1_21merge_config_selectorINS0_5tupleIJyyEEENS0_10empty_typeEEEZNS1_10merge_implIS3_NS0_12zip_iteratorINS5_IJN6thrust23THRUST_200600_302600_NS6detail15normal_iteratorINSC_10device_ptrIKyEEEESI_EEEEESK_NSA_INS5_IJNSE_INSF_IyEEEESM_EEEEEPS7_SP_SP_NSC_11hip_rocprim7__merge17predicate_wrapperIyyNSC_7greaterImEEEEEE10hipError_tPvRmT0_T1_T2_T3_T4_T5_mmT6_P12ihipStream_tbEUlT_E0_NS1_11comp_targetILNS1_3genE2ELNS1_11target_archE906ELNS1_3gpuE6ELNS1_3repE0EEENS1_30default_config_static_selectorELNS0_4arch9wavefront6targetE0EEEvS10_.has_recursion, 0
	.set _ZN7rocprim17ROCPRIM_400000_NS6detail17trampoline_kernelINS0_14default_configENS1_21merge_config_selectorINS0_5tupleIJyyEEENS0_10empty_typeEEEZNS1_10merge_implIS3_NS0_12zip_iteratorINS5_IJN6thrust23THRUST_200600_302600_NS6detail15normal_iteratorINSC_10device_ptrIKyEEEESI_EEEEESK_NSA_INS5_IJNSE_INSF_IyEEEESM_EEEEEPS7_SP_SP_NSC_11hip_rocprim7__merge17predicate_wrapperIyyNSC_7greaterImEEEEEE10hipError_tPvRmT0_T1_T2_T3_T4_T5_mmT6_P12ihipStream_tbEUlT_E0_NS1_11comp_targetILNS1_3genE2ELNS1_11target_archE906ELNS1_3gpuE6ELNS1_3repE0EEENS1_30default_config_static_selectorELNS0_4arch9wavefront6targetE0EEEvS10_.has_indirect_call, 0
	.section	.AMDGPU.csdata,"",@progbits
; Kernel info:
; codeLenInByte = 0
; TotalNumSgprs: 0
; NumVgprs: 0
; ScratchSize: 0
; MemoryBound: 0
; FloatMode: 240
; IeeeMode: 1
; LDSByteSize: 0 bytes/workgroup (compile time only)
; SGPRBlocks: 0
; VGPRBlocks: 0
; NumSGPRsForWavesPerEU: 1
; NumVGPRsForWavesPerEU: 1
; Occupancy: 16
; WaveLimiterHint : 0
; COMPUTE_PGM_RSRC2:SCRATCH_EN: 0
; COMPUTE_PGM_RSRC2:USER_SGPR: 6
; COMPUTE_PGM_RSRC2:TRAP_HANDLER: 0
; COMPUTE_PGM_RSRC2:TGID_X_EN: 1
; COMPUTE_PGM_RSRC2:TGID_Y_EN: 0
; COMPUTE_PGM_RSRC2:TGID_Z_EN: 0
; COMPUTE_PGM_RSRC2:TIDIG_COMP_CNT: 0
	.section	.text._ZN7rocprim17ROCPRIM_400000_NS6detail17trampoline_kernelINS0_14default_configENS1_21merge_config_selectorINS0_5tupleIJyyEEENS0_10empty_typeEEEZNS1_10merge_implIS3_NS0_12zip_iteratorINS5_IJN6thrust23THRUST_200600_302600_NS6detail15normal_iteratorINSC_10device_ptrIKyEEEESI_EEEEESK_NSA_INS5_IJNSE_INSF_IyEEEESM_EEEEEPS7_SP_SP_NSC_11hip_rocprim7__merge17predicate_wrapperIyyNSC_7greaterImEEEEEE10hipError_tPvRmT0_T1_T2_T3_T4_T5_mmT6_P12ihipStream_tbEUlT_E0_NS1_11comp_targetILNS1_3genE10ELNS1_11target_archE1201ELNS1_3gpuE5ELNS1_3repE0EEENS1_30default_config_static_selectorELNS0_4arch9wavefront6targetE0EEEvS10_,"axG",@progbits,_ZN7rocprim17ROCPRIM_400000_NS6detail17trampoline_kernelINS0_14default_configENS1_21merge_config_selectorINS0_5tupleIJyyEEENS0_10empty_typeEEEZNS1_10merge_implIS3_NS0_12zip_iteratorINS5_IJN6thrust23THRUST_200600_302600_NS6detail15normal_iteratorINSC_10device_ptrIKyEEEESI_EEEEESK_NSA_INS5_IJNSE_INSF_IyEEEESM_EEEEEPS7_SP_SP_NSC_11hip_rocprim7__merge17predicate_wrapperIyyNSC_7greaterImEEEEEE10hipError_tPvRmT0_T1_T2_T3_T4_T5_mmT6_P12ihipStream_tbEUlT_E0_NS1_11comp_targetILNS1_3genE10ELNS1_11target_archE1201ELNS1_3gpuE5ELNS1_3repE0EEENS1_30default_config_static_selectorELNS0_4arch9wavefront6targetE0EEEvS10_,comdat
	.protected	_ZN7rocprim17ROCPRIM_400000_NS6detail17trampoline_kernelINS0_14default_configENS1_21merge_config_selectorINS0_5tupleIJyyEEENS0_10empty_typeEEEZNS1_10merge_implIS3_NS0_12zip_iteratorINS5_IJN6thrust23THRUST_200600_302600_NS6detail15normal_iteratorINSC_10device_ptrIKyEEEESI_EEEEESK_NSA_INS5_IJNSE_INSF_IyEEEESM_EEEEEPS7_SP_SP_NSC_11hip_rocprim7__merge17predicate_wrapperIyyNSC_7greaterImEEEEEE10hipError_tPvRmT0_T1_T2_T3_T4_T5_mmT6_P12ihipStream_tbEUlT_E0_NS1_11comp_targetILNS1_3genE10ELNS1_11target_archE1201ELNS1_3gpuE5ELNS1_3repE0EEENS1_30default_config_static_selectorELNS0_4arch9wavefront6targetE0EEEvS10_ ; -- Begin function _ZN7rocprim17ROCPRIM_400000_NS6detail17trampoline_kernelINS0_14default_configENS1_21merge_config_selectorINS0_5tupleIJyyEEENS0_10empty_typeEEEZNS1_10merge_implIS3_NS0_12zip_iteratorINS5_IJN6thrust23THRUST_200600_302600_NS6detail15normal_iteratorINSC_10device_ptrIKyEEEESI_EEEEESK_NSA_INS5_IJNSE_INSF_IyEEEESM_EEEEEPS7_SP_SP_NSC_11hip_rocprim7__merge17predicate_wrapperIyyNSC_7greaterImEEEEEE10hipError_tPvRmT0_T1_T2_T3_T4_T5_mmT6_P12ihipStream_tbEUlT_E0_NS1_11comp_targetILNS1_3genE10ELNS1_11target_archE1201ELNS1_3gpuE5ELNS1_3repE0EEENS1_30default_config_static_selectorELNS0_4arch9wavefront6targetE0EEEvS10_
	.globl	_ZN7rocprim17ROCPRIM_400000_NS6detail17trampoline_kernelINS0_14default_configENS1_21merge_config_selectorINS0_5tupleIJyyEEENS0_10empty_typeEEEZNS1_10merge_implIS3_NS0_12zip_iteratorINS5_IJN6thrust23THRUST_200600_302600_NS6detail15normal_iteratorINSC_10device_ptrIKyEEEESI_EEEEESK_NSA_INS5_IJNSE_INSF_IyEEEESM_EEEEEPS7_SP_SP_NSC_11hip_rocprim7__merge17predicate_wrapperIyyNSC_7greaterImEEEEEE10hipError_tPvRmT0_T1_T2_T3_T4_T5_mmT6_P12ihipStream_tbEUlT_E0_NS1_11comp_targetILNS1_3genE10ELNS1_11target_archE1201ELNS1_3gpuE5ELNS1_3repE0EEENS1_30default_config_static_selectorELNS0_4arch9wavefront6targetE0EEEvS10_
	.p2align	8
	.type	_ZN7rocprim17ROCPRIM_400000_NS6detail17trampoline_kernelINS0_14default_configENS1_21merge_config_selectorINS0_5tupleIJyyEEENS0_10empty_typeEEEZNS1_10merge_implIS3_NS0_12zip_iteratorINS5_IJN6thrust23THRUST_200600_302600_NS6detail15normal_iteratorINSC_10device_ptrIKyEEEESI_EEEEESK_NSA_INS5_IJNSE_INSF_IyEEEESM_EEEEEPS7_SP_SP_NSC_11hip_rocprim7__merge17predicate_wrapperIyyNSC_7greaterImEEEEEE10hipError_tPvRmT0_T1_T2_T3_T4_T5_mmT6_P12ihipStream_tbEUlT_E0_NS1_11comp_targetILNS1_3genE10ELNS1_11target_archE1201ELNS1_3gpuE5ELNS1_3repE0EEENS1_30default_config_static_selectorELNS0_4arch9wavefront6targetE0EEEvS10_,@function
_ZN7rocprim17ROCPRIM_400000_NS6detail17trampoline_kernelINS0_14default_configENS1_21merge_config_selectorINS0_5tupleIJyyEEENS0_10empty_typeEEEZNS1_10merge_implIS3_NS0_12zip_iteratorINS5_IJN6thrust23THRUST_200600_302600_NS6detail15normal_iteratorINSC_10device_ptrIKyEEEESI_EEEEESK_NSA_INS5_IJNSE_INSF_IyEEEESM_EEEEEPS7_SP_SP_NSC_11hip_rocprim7__merge17predicate_wrapperIyyNSC_7greaterImEEEEEE10hipError_tPvRmT0_T1_T2_T3_T4_T5_mmT6_P12ihipStream_tbEUlT_E0_NS1_11comp_targetILNS1_3genE10ELNS1_11target_archE1201ELNS1_3gpuE5ELNS1_3repE0EEENS1_30default_config_static_selectorELNS0_4arch9wavefront6targetE0EEEvS10_: ; @_ZN7rocprim17ROCPRIM_400000_NS6detail17trampoline_kernelINS0_14default_configENS1_21merge_config_selectorINS0_5tupleIJyyEEENS0_10empty_typeEEEZNS1_10merge_implIS3_NS0_12zip_iteratorINS5_IJN6thrust23THRUST_200600_302600_NS6detail15normal_iteratorINSC_10device_ptrIKyEEEESI_EEEEESK_NSA_INS5_IJNSE_INSF_IyEEEESM_EEEEEPS7_SP_SP_NSC_11hip_rocprim7__merge17predicate_wrapperIyyNSC_7greaterImEEEEEE10hipError_tPvRmT0_T1_T2_T3_T4_T5_mmT6_P12ihipStream_tbEUlT_E0_NS1_11comp_targetILNS1_3genE10ELNS1_11target_archE1201ELNS1_3gpuE5ELNS1_3repE0EEENS1_30default_config_static_selectorELNS0_4arch9wavefront6targetE0EEEvS10_
; %bb.0:
	.section	.rodata,"a",@progbits
	.p2align	6, 0x0
	.amdhsa_kernel _ZN7rocprim17ROCPRIM_400000_NS6detail17trampoline_kernelINS0_14default_configENS1_21merge_config_selectorINS0_5tupleIJyyEEENS0_10empty_typeEEEZNS1_10merge_implIS3_NS0_12zip_iteratorINS5_IJN6thrust23THRUST_200600_302600_NS6detail15normal_iteratorINSC_10device_ptrIKyEEEESI_EEEEESK_NSA_INS5_IJNSE_INSF_IyEEEESM_EEEEEPS7_SP_SP_NSC_11hip_rocprim7__merge17predicate_wrapperIyyNSC_7greaterImEEEEEE10hipError_tPvRmT0_T1_T2_T3_T4_T5_mmT6_P12ihipStream_tbEUlT_E0_NS1_11comp_targetILNS1_3genE10ELNS1_11target_archE1201ELNS1_3gpuE5ELNS1_3repE0EEENS1_30default_config_static_selectorELNS0_4arch9wavefront6targetE0EEEvS10_
		.amdhsa_group_segment_fixed_size 0
		.amdhsa_private_segment_fixed_size 0
		.amdhsa_kernarg_size 112
		.amdhsa_user_sgpr_count 6
		.amdhsa_user_sgpr_private_segment_buffer 1
		.amdhsa_user_sgpr_dispatch_ptr 0
		.amdhsa_user_sgpr_queue_ptr 0
		.amdhsa_user_sgpr_kernarg_segment_ptr 1
		.amdhsa_user_sgpr_dispatch_id 0
		.amdhsa_user_sgpr_flat_scratch_init 0
		.amdhsa_user_sgpr_private_segment_size 0
		.amdhsa_wavefront_size32 1
		.amdhsa_uses_dynamic_stack 0
		.amdhsa_system_sgpr_private_segment_wavefront_offset 0
		.amdhsa_system_sgpr_workgroup_id_x 1
		.amdhsa_system_sgpr_workgroup_id_y 0
		.amdhsa_system_sgpr_workgroup_id_z 0
		.amdhsa_system_sgpr_workgroup_info 0
		.amdhsa_system_vgpr_workitem_id 0
		.amdhsa_next_free_vgpr 1
		.amdhsa_next_free_sgpr 1
		.amdhsa_reserve_vcc 0
		.amdhsa_reserve_flat_scratch 0
		.amdhsa_float_round_mode_32 0
		.amdhsa_float_round_mode_16_64 0
		.amdhsa_float_denorm_mode_32 3
		.amdhsa_float_denorm_mode_16_64 3
		.amdhsa_dx10_clamp 1
		.amdhsa_ieee_mode 1
		.amdhsa_fp16_overflow 0
		.amdhsa_workgroup_processor_mode 1
		.amdhsa_memory_ordered 1
		.amdhsa_forward_progress 1
		.amdhsa_shared_vgpr_count 0
		.amdhsa_exception_fp_ieee_invalid_op 0
		.amdhsa_exception_fp_denorm_src 0
		.amdhsa_exception_fp_ieee_div_zero 0
		.amdhsa_exception_fp_ieee_overflow 0
		.amdhsa_exception_fp_ieee_underflow 0
		.amdhsa_exception_fp_ieee_inexact 0
		.amdhsa_exception_int_div_zero 0
	.end_amdhsa_kernel
	.section	.text._ZN7rocprim17ROCPRIM_400000_NS6detail17trampoline_kernelINS0_14default_configENS1_21merge_config_selectorINS0_5tupleIJyyEEENS0_10empty_typeEEEZNS1_10merge_implIS3_NS0_12zip_iteratorINS5_IJN6thrust23THRUST_200600_302600_NS6detail15normal_iteratorINSC_10device_ptrIKyEEEESI_EEEEESK_NSA_INS5_IJNSE_INSF_IyEEEESM_EEEEEPS7_SP_SP_NSC_11hip_rocprim7__merge17predicate_wrapperIyyNSC_7greaterImEEEEEE10hipError_tPvRmT0_T1_T2_T3_T4_T5_mmT6_P12ihipStream_tbEUlT_E0_NS1_11comp_targetILNS1_3genE10ELNS1_11target_archE1201ELNS1_3gpuE5ELNS1_3repE0EEENS1_30default_config_static_selectorELNS0_4arch9wavefront6targetE0EEEvS10_,"axG",@progbits,_ZN7rocprim17ROCPRIM_400000_NS6detail17trampoline_kernelINS0_14default_configENS1_21merge_config_selectorINS0_5tupleIJyyEEENS0_10empty_typeEEEZNS1_10merge_implIS3_NS0_12zip_iteratorINS5_IJN6thrust23THRUST_200600_302600_NS6detail15normal_iteratorINSC_10device_ptrIKyEEEESI_EEEEESK_NSA_INS5_IJNSE_INSF_IyEEEESM_EEEEEPS7_SP_SP_NSC_11hip_rocprim7__merge17predicate_wrapperIyyNSC_7greaterImEEEEEE10hipError_tPvRmT0_T1_T2_T3_T4_T5_mmT6_P12ihipStream_tbEUlT_E0_NS1_11comp_targetILNS1_3genE10ELNS1_11target_archE1201ELNS1_3gpuE5ELNS1_3repE0EEENS1_30default_config_static_selectorELNS0_4arch9wavefront6targetE0EEEvS10_,comdat
.Lfunc_end367:
	.size	_ZN7rocprim17ROCPRIM_400000_NS6detail17trampoline_kernelINS0_14default_configENS1_21merge_config_selectorINS0_5tupleIJyyEEENS0_10empty_typeEEEZNS1_10merge_implIS3_NS0_12zip_iteratorINS5_IJN6thrust23THRUST_200600_302600_NS6detail15normal_iteratorINSC_10device_ptrIKyEEEESI_EEEEESK_NSA_INS5_IJNSE_INSF_IyEEEESM_EEEEEPS7_SP_SP_NSC_11hip_rocprim7__merge17predicate_wrapperIyyNSC_7greaterImEEEEEE10hipError_tPvRmT0_T1_T2_T3_T4_T5_mmT6_P12ihipStream_tbEUlT_E0_NS1_11comp_targetILNS1_3genE10ELNS1_11target_archE1201ELNS1_3gpuE5ELNS1_3repE0EEENS1_30default_config_static_selectorELNS0_4arch9wavefront6targetE0EEEvS10_, .Lfunc_end367-_ZN7rocprim17ROCPRIM_400000_NS6detail17trampoline_kernelINS0_14default_configENS1_21merge_config_selectorINS0_5tupleIJyyEEENS0_10empty_typeEEEZNS1_10merge_implIS3_NS0_12zip_iteratorINS5_IJN6thrust23THRUST_200600_302600_NS6detail15normal_iteratorINSC_10device_ptrIKyEEEESI_EEEEESK_NSA_INS5_IJNSE_INSF_IyEEEESM_EEEEEPS7_SP_SP_NSC_11hip_rocprim7__merge17predicate_wrapperIyyNSC_7greaterImEEEEEE10hipError_tPvRmT0_T1_T2_T3_T4_T5_mmT6_P12ihipStream_tbEUlT_E0_NS1_11comp_targetILNS1_3genE10ELNS1_11target_archE1201ELNS1_3gpuE5ELNS1_3repE0EEENS1_30default_config_static_selectorELNS0_4arch9wavefront6targetE0EEEvS10_
                                        ; -- End function
	.set _ZN7rocprim17ROCPRIM_400000_NS6detail17trampoline_kernelINS0_14default_configENS1_21merge_config_selectorINS0_5tupleIJyyEEENS0_10empty_typeEEEZNS1_10merge_implIS3_NS0_12zip_iteratorINS5_IJN6thrust23THRUST_200600_302600_NS6detail15normal_iteratorINSC_10device_ptrIKyEEEESI_EEEEESK_NSA_INS5_IJNSE_INSF_IyEEEESM_EEEEEPS7_SP_SP_NSC_11hip_rocprim7__merge17predicate_wrapperIyyNSC_7greaterImEEEEEE10hipError_tPvRmT0_T1_T2_T3_T4_T5_mmT6_P12ihipStream_tbEUlT_E0_NS1_11comp_targetILNS1_3genE10ELNS1_11target_archE1201ELNS1_3gpuE5ELNS1_3repE0EEENS1_30default_config_static_selectorELNS0_4arch9wavefront6targetE0EEEvS10_.num_vgpr, 0
	.set _ZN7rocprim17ROCPRIM_400000_NS6detail17trampoline_kernelINS0_14default_configENS1_21merge_config_selectorINS0_5tupleIJyyEEENS0_10empty_typeEEEZNS1_10merge_implIS3_NS0_12zip_iteratorINS5_IJN6thrust23THRUST_200600_302600_NS6detail15normal_iteratorINSC_10device_ptrIKyEEEESI_EEEEESK_NSA_INS5_IJNSE_INSF_IyEEEESM_EEEEEPS7_SP_SP_NSC_11hip_rocprim7__merge17predicate_wrapperIyyNSC_7greaterImEEEEEE10hipError_tPvRmT0_T1_T2_T3_T4_T5_mmT6_P12ihipStream_tbEUlT_E0_NS1_11comp_targetILNS1_3genE10ELNS1_11target_archE1201ELNS1_3gpuE5ELNS1_3repE0EEENS1_30default_config_static_selectorELNS0_4arch9wavefront6targetE0EEEvS10_.num_agpr, 0
	.set _ZN7rocprim17ROCPRIM_400000_NS6detail17trampoline_kernelINS0_14default_configENS1_21merge_config_selectorINS0_5tupleIJyyEEENS0_10empty_typeEEEZNS1_10merge_implIS3_NS0_12zip_iteratorINS5_IJN6thrust23THRUST_200600_302600_NS6detail15normal_iteratorINSC_10device_ptrIKyEEEESI_EEEEESK_NSA_INS5_IJNSE_INSF_IyEEEESM_EEEEEPS7_SP_SP_NSC_11hip_rocprim7__merge17predicate_wrapperIyyNSC_7greaterImEEEEEE10hipError_tPvRmT0_T1_T2_T3_T4_T5_mmT6_P12ihipStream_tbEUlT_E0_NS1_11comp_targetILNS1_3genE10ELNS1_11target_archE1201ELNS1_3gpuE5ELNS1_3repE0EEENS1_30default_config_static_selectorELNS0_4arch9wavefront6targetE0EEEvS10_.numbered_sgpr, 0
	.set _ZN7rocprim17ROCPRIM_400000_NS6detail17trampoline_kernelINS0_14default_configENS1_21merge_config_selectorINS0_5tupleIJyyEEENS0_10empty_typeEEEZNS1_10merge_implIS3_NS0_12zip_iteratorINS5_IJN6thrust23THRUST_200600_302600_NS6detail15normal_iteratorINSC_10device_ptrIKyEEEESI_EEEEESK_NSA_INS5_IJNSE_INSF_IyEEEESM_EEEEEPS7_SP_SP_NSC_11hip_rocprim7__merge17predicate_wrapperIyyNSC_7greaterImEEEEEE10hipError_tPvRmT0_T1_T2_T3_T4_T5_mmT6_P12ihipStream_tbEUlT_E0_NS1_11comp_targetILNS1_3genE10ELNS1_11target_archE1201ELNS1_3gpuE5ELNS1_3repE0EEENS1_30default_config_static_selectorELNS0_4arch9wavefront6targetE0EEEvS10_.num_named_barrier, 0
	.set _ZN7rocprim17ROCPRIM_400000_NS6detail17trampoline_kernelINS0_14default_configENS1_21merge_config_selectorINS0_5tupleIJyyEEENS0_10empty_typeEEEZNS1_10merge_implIS3_NS0_12zip_iteratorINS5_IJN6thrust23THRUST_200600_302600_NS6detail15normal_iteratorINSC_10device_ptrIKyEEEESI_EEEEESK_NSA_INS5_IJNSE_INSF_IyEEEESM_EEEEEPS7_SP_SP_NSC_11hip_rocprim7__merge17predicate_wrapperIyyNSC_7greaterImEEEEEE10hipError_tPvRmT0_T1_T2_T3_T4_T5_mmT6_P12ihipStream_tbEUlT_E0_NS1_11comp_targetILNS1_3genE10ELNS1_11target_archE1201ELNS1_3gpuE5ELNS1_3repE0EEENS1_30default_config_static_selectorELNS0_4arch9wavefront6targetE0EEEvS10_.private_seg_size, 0
	.set _ZN7rocprim17ROCPRIM_400000_NS6detail17trampoline_kernelINS0_14default_configENS1_21merge_config_selectorINS0_5tupleIJyyEEENS0_10empty_typeEEEZNS1_10merge_implIS3_NS0_12zip_iteratorINS5_IJN6thrust23THRUST_200600_302600_NS6detail15normal_iteratorINSC_10device_ptrIKyEEEESI_EEEEESK_NSA_INS5_IJNSE_INSF_IyEEEESM_EEEEEPS7_SP_SP_NSC_11hip_rocprim7__merge17predicate_wrapperIyyNSC_7greaterImEEEEEE10hipError_tPvRmT0_T1_T2_T3_T4_T5_mmT6_P12ihipStream_tbEUlT_E0_NS1_11comp_targetILNS1_3genE10ELNS1_11target_archE1201ELNS1_3gpuE5ELNS1_3repE0EEENS1_30default_config_static_selectorELNS0_4arch9wavefront6targetE0EEEvS10_.uses_vcc, 0
	.set _ZN7rocprim17ROCPRIM_400000_NS6detail17trampoline_kernelINS0_14default_configENS1_21merge_config_selectorINS0_5tupleIJyyEEENS0_10empty_typeEEEZNS1_10merge_implIS3_NS0_12zip_iteratorINS5_IJN6thrust23THRUST_200600_302600_NS6detail15normal_iteratorINSC_10device_ptrIKyEEEESI_EEEEESK_NSA_INS5_IJNSE_INSF_IyEEEESM_EEEEEPS7_SP_SP_NSC_11hip_rocprim7__merge17predicate_wrapperIyyNSC_7greaterImEEEEEE10hipError_tPvRmT0_T1_T2_T3_T4_T5_mmT6_P12ihipStream_tbEUlT_E0_NS1_11comp_targetILNS1_3genE10ELNS1_11target_archE1201ELNS1_3gpuE5ELNS1_3repE0EEENS1_30default_config_static_selectorELNS0_4arch9wavefront6targetE0EEEvS10_.uses_flat_scratch, 0
	.set _ZN7rocprim17ROCPRIM_400000_NS6detail17trampoline_kernelINS0_14default_configENS1_21merge_config_selectorINS0_5tupleIJyyEEENS0_10empty_typeEEEZNS1_10merge_implIS3_NS0_12zip_iteratorINS5_IJN6thrust23THRUST_200600_302600_NS6detail15normal_iteratorINSC_10device_ptrIKyEEEESI_EEEEESK_NSA_INS5_IJNSE_INSF_IyEEEESM_EEEEEPS7_SP_SP_NSC_11hip_rocprim7__merge17predicate_wrapperIyyNSC_7greaterImEEEEEE10hipError_tPvRmT0_T1_T2_T3_T4_T5_mmT6_P12ihipStream_tbEUlT_E0_NS1_11comp_targetILNS1_3genE10ELNS1_11target_archE1201ELNS1_3gpuE5ELNS1_3repE0EEENS1_30default_config_static_selectorELNS0_4arch9wavefront6targetE0EEEvS10_.has_dyn_sized_stack, 0
	.set _ZN7rocprim17ROCPRIM_400000_NS6detail17trampoline_kernelINS0_14default_configENS1_21merge_config_selectorINS0_5tupleIJyyEEENS0_10empty_typeEEEZNS1_10merge_implIS3_NS0_12zip_iteratorINS5_IJN6thrust23THRUST_200600_302600_NS6detail15normal_iteratorINSC_10device_ptrIKyEEEESI_EEEEESK_NSA_INS5_IJNSE_INSF_IyEEEESM_EEEEEPS7_SP_SP_NSC_11hip_rocprim7__merge17predicate_wrapperIyyNSC_7greaterImEEEEEE10hipError_tPvRmT0_T1_T2_T3_T4_T5_mmT6_P12ihipStream_tbEUlT_E0_NS1_11comp_targetILNS1_3genE10ELNS1_11target_archE1201ELNS1_3gpuE5ELNS1_3repE0EEENS1_30default_config_static_selectorELNS0_4arch9wavefront6targetE0EEEvS10_.has_recursion, 0
	.set _ZN7rocprim17ROCPRIM_400000_NS6detail17trampoline_kernelINS0_14default_configENS1_21merge_config_selectorINS0_5tupleIJyyEEENS0_10empty_typeEEEZNS1_10merge_implIS3_NS0_12zip_iteratorINS5_IJN6thrust23THRUST_200600_302600_NS6detail15normal_iteratorINSC_10device_ptrIKyEEEESI_EEEEESK_NSA_INS5_IJNSE_INSF_IyEEEESM_EEEEEPS7_SP_SP_NSC_11hip_rocprim7__merge17predicate_wrapperIyyNSC_7greaterImEEEEEE10hipError_tPvRmT0_T1_T2_T3_T4_T5_mmT6_P12ihipStream_tbEUlT_E0_NS1_11comp_targetILNS1_3genE10ELNS1_11target_archE1201ELNS1_3gpuE5ELNS1_3repE0EEENS1_30default_config_static_selectorELNS0_4arch9wavefront6targetE0EEEvS10_.has_indirect_call, 0
	.section	.AMDGPU.csdata,"",@progbits
; Kernel info:
; codeLenInByte = 0
; TotalNumSgprs: 0
; NumVgprs: 0
; ScratchSize: 0
; MemoryBound: 0
; FloatMode: 240
; IeeeMode: 1
; LDSByteSize: 0 bytes/workgroup (compile time only)
; SGPRBlocks: 0
; VGPRBlocks: 0
; NumSGPRsForWavesPerEU: 1
; NumVGPRsForWavesPerEU: 1
; Occupancy: 16
; WaveLimiterHint : 0
; COMPUTE_PGM_RSRC2:SCRATCH_EN: 0
; COMPUTE_PGM_RSRC2:USER_SGPR: 6
; COMPUTE_PGM_RSRC2:TRAP_HANDLER: 0
; COMPUTE_PGM_RSRC2:TGID_X_EN: 1
; COMPUTE_PGM_RSRC2:TGID_Y_EN: 0
; COMPUTE_PGM_RSRC2:TGID_Z_EN: 0
; COMPUTE_PGM_RSRC2:TIDIG_COMP_CNT: 0
	.section	.text._ZN7rocprim17ROCPRIM_400000_NS6detail17trampoline_kernelINS0_14default_configENS1_21merge_config_selectorINS0_5tupleIJyyEEENS0_10empty_typeEEEZNS1_10merge_implIS3_NS0_12zip_iteratorINS5_IJN6thrust23THRUST_200600_302600_NS6detail15normal_iteratorINSC_10device_ptrIKyEEEESI_EEEEESK_NSA_INS5_IJNSE_INSF_IyEEEESM_EEEEEPS7_SP_SP_NSC_11hip_rocprim7__merge17predicate_wrapperIyyNSC_7greaterImEEEEEE10hipError_tPvRmT0_T1_T2_T3_T4_T5_mmT6_P12ihipStream_tbEUlT_E0_NS1_11comp_targetILNS1_3genE10ELNS1_11target_archE1200ELNS1_3gpuE4ELNS1_3repE0EEENS1_30default_config_static_selectorELNS0_4arch9wavefront6targetE0EEEvS10_,"axG",@progbits,_ZN7rocprim17ROCPRIM_400000_NS6detail17trampoline_kernelINS0_14default_configENS1_21merge_config_selectorINS0_5tupleIJyyEEENS0_10empty_typeEEEZNS1_10merge_implIS3_NS0_12zip_iteratorINS5_IJN6thrust23THRUST_200600_302600_NS6detail15normal_iteratorINSC_10device_ptrIKyEEEESI_EEEEESK_NSA_INS5_IJNSE_INSF_IyEEEESM_EEEEEPS7_SP_SP_NSC_11hip_rocprim7__merge17predicate_wrapperIyyNSC_7greaterImEEEEEE10hipError_tPvRmT0_T1_T2_T3_T4_T5_mmT6_P12ihipStream_tbEUlT_E0_NS1_11comp_targetILNS1_3genE10ELNS1_11target_archE1200ELNS1_3gpuE4ELNS1_3repE0EEENS1_30default_config_static_selectorELNS0_4arch9wavefront6targetE0EEEvS10_,comdat
	.protected	_ZN7rocprim17ROCPRIM_400000_NS6detail17trampoline_kernelINS0_14default_configENS1_21merge_config_selectorINS0_5tupleIJyyEEENS0_10empty_typeEEEZNS1_10merge_implIS3_NS0_12zip_iteratorINS5_IJN6thrust23THRUST_200600_302600_NS6detail15normal_iteratorINSC_10device_ptrIKyEEEESI_EEEEESK_NSA_INS5_IJNSE_INSF_IyEEEESM_EEEEEPS7_SP_SP_NSC_11hip_rocprim7__merge17predicate_wrapperIyyNSC_7greaterImEEEEEE10hipError_tPvRmT0_T1_T2_T3_T4_T5_mmT6_P12ihipStream_tbEUlT_E0_NS1_11comp_targetILNS1_3genE10ELNS1_11target_archE1200ELNS1_3gpuE4ELNS1_3repE0EEENS1_30default_config_static_selectorELNS0_4arch9wavefront6targetE0EEEvS10_ ; -- Begin function _ZN7rocprim17ROCPRIM_400000_NS6detail17trampoline_kernelINS0_14default_configENS1_21merge_config_selectorINS0_5tupleIJyyEEENS0_10empty_typeEEEZNS1_10merge_implIS3_NS0_12zip_iteratorINS5_IJN6thrust23THRUST_200600_302600_NS6detail15normal_iteratorINSC_10device_ptrIKyEEEESI_EEEEESK_NSA_INS5_IJNSE_INSF_IyEEEESM_EEEEEPS7_SP_SP_NSC_11hip_rocprim7__merge17predicate_wrapperIyyNSC_7greaterImEEEEEE10hipError_tPvRmT0_T1_T2_T3_T4_T5_mmT6_P12ihipStream_tbEUlT_E0_NS1_11comp_targetILNS1_3genE10ELNS1_11target_archE1200ELNS1_3gpuE4ELNS1_3repE0EEENS1_30default_config_static_selectorELNS0_4arch9wavefront6targetE0EEEvS10_
	.globl	_ZN7rocprim17ROCPRIM_400000_NS6detail17trampoline_kernelINS0_14default_configENS1_21merge_config_selectorINS0_5tupleIJyyEEENS0_10empty_typeEEEZNS1_10merge_implIS3_NS0_12zip_iteratorINS5_IJN6thrust23THRUST_200600_302600_NS6detail15normal_iteratorINSC_10device_ptrIKyEEEESI_EEEEESK_NSA_INS5_IJNSE_INSF_IyEEEESM_EEEEEPS7_SP_SP_NSC_11hip_rocprim7__merge17predicate_wrapperIyyNSC_7greaterImEEEEEE10hipError_tPvRmT0_T1_T2_T3_T4_T5_mmT6_P12ihipStream_tbEUlT_E0_NS1_11comp_targetILNS1_3genE10ELNS1_11target_archE1200ELNS1_3gpuE4ELNS1_3repE0EEENS1_30default_config_static_selectorELNS0_4arch9wavefront6targetE0EEEvS10_
	.p2align	8
	.type	_ZN7rocprim17ROCPRIM_400000_NS6detail17trampoline_kernelINS0_14default_configENS1_21merge_config_selectorINS0_5tupleIJyyEEENS0_10empty_typeEEEZNS1_10merge_implIS3_NS0_12zip_iteratorINS5_IJN6thrust23THRUST_200600_302600_NS6detail15normal_iteratorINSC_10device_ptrIKyEEEESI_EEEEESK_NSA_INS5_IJNSE_INSF_IyEEEESM_EEEEEPS7_SP_SP_NSC_11hip_rocprim7__merge17predicate_wrapperIyyNSC_7greaterImEEEEEE10hipError_tPvRmT0_T1_T2_T3_T4_T5_mmT6_P12ihipStream_tbEUlT_E0_NS1_11comp_targetILNS1_3genE10ELNS1_11target_archE1200ELNS1_3gpuE4ELNS1_3repE0EEENS1_30default_config_static_selectorELNS0_4arch9wavefront6targetE0EEEvS10_,@function
_ZN7rocprim17ROCPRIM_400000_NS6detail17trampoline_kernelINS0_14default_configENS1_21merge_config_selectorINS0_5tupleIJyyEEENS0_10empty_typeEEEZNS1_10merge_implIS3_NS0_12zip_iteratorINS5_IJN6thrust23THRUST_200600_302600_NS6detail15normal_iteratorINSC_10device_ptrIKyEEEESI_EEEEESK_NSA_INS5_IJNSE_INSF_IyEEEESM_EEEEEPS7_SP_SP_NSC_11hip_rocprim7__merge17predicate_wrapperIyyNSC_7greaterImEEEEEE10hipError_tPvRmT0_T1_T2_T3_T4_T5_mmT6_P12ihipStream_tbEUlT_E0_NS1_11comp_targetILNS1_3genE10ELNS1_11target_archE1200ELNS1_3gpuE4ELNS1_3repE0EEENS1_30default_config_static_selectorELNS0_4arch9wavefront6targetE0EEEvS10_: ; @_ZN7rocprim17ROCPRIM_400000_NS6detail17trampoline_kernelINS0_14default_configENS1_21merge_config_selectorINS0_5tupleIJyyEEENS0_10empty_typeEEEZNS1_10merge_implIS3_NS0_12zip_iteratorINS5_IJN6thrust23THRUST_200600_302600_NS6detail15normal_iteratorINSC_10device_ptrIKyEEEESI_EEEEESK_NSA_INS5_IJNSE_INSF_IyEEEESM_EEEEEPS7_SP_SP_NSC_11hip_rocprim7__merge17predicate_wrapperIyyNSC_7greaterImEEEEEE10hipError_tPvRmT0_T1_T2_T3_T4_T5_mmT6_P12ihipStream_tbEUlT_E0_NS1_11comp_targetILNS1_3genE10ELNS1_11target_archE1200ELNS1_3gpuE4ELNS1_3repE0EEENS1_30default_config_static_selectorELNS0_4arch9wavefront6targetE0EEEvS10_
; %bb.0:
	.section	.rodata,"a",@progbits
	.p2align	6, 0x0
	.amdhsa_kernel _ZN7rocprim17ROCPRIM_400000_NS6detail17trampoline_kernelINS0_14default_configENS1_21merge_config_selectorINS0_5tupleIJyyEEENS0_10empty_typeEEEZNS1_10merge_implIS3_NS0_12zip_iteratorINS5_IJN6thrust23THRUST_200600_302600_NS6detail15normal_iteratorINSC_10device_ptrIKyEEEESI_EEEEESK_NSA_INS5_IJNSE_INSF_IyEEEESM_EEEEEPS7_SP_SP_NSC_11hip_rocprim7__merge17predicate_wrapperIyyNSC_7greaterImEEEEEE10hipError_tPvRmT0_T1_T2_T3_T4_T5_mmT6_P12ihipStream_tbEUlT_E0_NS1_11comp_targetILNS1_3genE10ELNS1_11target_archE1200ELNS1_3gpuE4ELNS1_3repE0EEENS1_30default_config_static_selectorELNS0_4arch9wavefront6targetE0EEEvS10_
		.amdhsa_group_segment_fixed_size 0
		.amdhsa_private_segment_fixed_size 0
		.amdhsa_kernarg_size 112
		.amdhsa_user_sgpr_count 6
		.amdhsa_user_sgpr_private_segment_buffer 1
		.amdhsa_user_sgpr_dispatch_ptr 0
		.amdhsa_user_sgpr_queue_ptr 0
		.amdhsa_user_sgpr_kernarg_segment_ptr 1
		.amdhsa_user_sgpr_dispatch_id 0
		.amdhsa_user_sgpr_flat_scratch_init 0
		.amdhsa_user_sgpr_private_segment_size 0
		.amdhsa_wavefront_size32 1
		.amdhsa_uses_dynamic_stack 0
		.amdhsa_system_sgpr_private_segment_wavefront_offset 0
		.amdhsa_system_sgpr_workgroup_id_x 1
		.amdhsa_system_sgpr_workgroup_id_y 0
		.amdhsa_system_sgpr_workgroup_id_z 0
		.amdhsa_system_sgpr_workgroup_info 0
		.amdhsa_system_vgpr_workitem_id 0
		.amdhsa_next_free_vgpr 1
		.amdhsa_next_free_sgpr 1
		.amdhsa_reserve_vcc 0
		.amdhsa_reserve_flat_scratch 0
		.amdhsa_float_round_mode_32 0
		.amdhsa_float_round_mode_16_64 0
		.amdhsa_float_denorm_mode_32 3
		.amdhsa_float_denorm_mode_16_64 3
		.amdhsa_dx10_clamp 1
		.amdhsa_ieee_mode 1
		.amdhsa_fp16_overflow 0
		.amdhsa_workgroup_processor_mode 1
		.amdhsa_memory_ordered 1
		.amdhsa_forward_progress 1
		.amdhsa_shared_vgpr_count 0
		.amdhsa_exception_fp_ieee_invalid_op 0
		.amdhsa_exception_fp_denorm_src 0
		.amdhsa_exception_fp_ieee_div_zero 0
		.amdhsa_exception_fp_ieee_overflow 0
		.amdhsa_exception_fp_ieee_underflow 0
		.amdhsa_exception_fp_ieee_inexact 0
		.amdhsa_exception_int_div_zero 0
	.end_amdhsa_kernel
	.section	.text._ZN7rocprim17ROCPRIM_400000_NS6detail17trampoline_kernelINS0_14default_configENS1_21merge_config_selectorINS0_5tupleIJyyEEENS0_10empty_typeEEEZNS1_10merge_implIS3_NS0_12zip_iteratorINS5_IJN6thrust23THRUST_200600_302600_NS6detail15normal_iteratorINSC_10device_ptrIKyEEEESI_EEEEESK_NSA_INS5_IJNSE_INSF_IyEEEESM_EEEEEPS7_SP_SP_NSC_11hip_rocprim7__merge17predicate_wrapperIyyNSC_7greaterImEEEEEE10hipError_tPvRmT0_T1_T2_T3_T4_T5_mmT6_P12ihipStream_tbEUlT_E0_NS1_11comp_targetILNS1_3genE10ELNS1_11target_archE1200ELNS1_3gpuE4ELNS1_3repE0EEENS1_30default_config_static_selectorELNS0_4arch9wavefront6targetE0EEEvS10_,"axG",@progbits,_ZN7rocprim17ROCPRIM_400000_NS6detail17trampoline_kernelINS0_14default_configENS1_21merge_config_selectorINS0_5tupleIJyyEEENS0_10empty_typeEEEZNS1_10merge_implIS3_NS0_12zip_iteratorINS5_IJN6thrust23THRUST_200600_302600_NS6detail15normal_iteratorINSC_10device_ptrIKyEEEESI_EEEEESK_NSA_INS5_IJNSE_INSF_IyEEEESM_EEEEEPS7_SP_SP_NSC_11hip_rocprim7__merge17predicate_wrapperIyyNSC_7greaterImEEEEEE10hipError_tPvRmT0_T1_T2_T3_T4_T5_mmT6_P12ihipStream_tbEUlT_E0_NS1_11comp_targetILNS1_3genE10ELNS1_11target_archE1200ELNS1_3gpuE4ELNS1_3repE0EEENS1_30default_config_static_selectorELNS0_4arch9wavefront6targetE0EEEvS10_,comdat
.Lfunc_end368:
	.size	_ZN7rocprim17ROCPRIM_400000_NS6detail17trampoline_kernelINS0_14default_configENS1_21merge_config_selectorINS0_5tupleIJyyEEENS0_10empty_typeEEEZNS1_10merge_implIS3_NS0_12zip_iteratorINS5_IJN6thrust23THRUST_200600_302600_NS6detail15normal_iteratorINSC_10device_ptrIKyEEEESI_EEEEESK_NSA_INS5_IJNSE_INSF_IyEEEESM_EEEEEPS7_SP_SP_NSC_11hip_rocprim7__merge17predicate_wrapperIyyNSC_7greaterImEEEEEE10hipError_tPvRmT0_T1_T2_T3_T4_T5_mmT6_P12ihipStream_tbEUlT_E0_NS1_11comp_targetILNS1_3genE10ELNS1_11target_archE1200ELNS1_3gpuE4ELNS1_3repE0EEENS1_30default_config_static_selectorELNS0_4arch9wavefront6targetE0EEEvS10_, .Lfunc_end368-_ZN7rocprim17ROCPRIM_400000_NS6detail17trampoline_kernelINS0_14default_configENS1_21merge_config_selectorINS0_5tupleIJyyEEENS0_10empty_typeEEEZNS1_10merge_implIS3_NS0_12zip_iteratorINS5_IJN6thrust23THRUST_200600_302600_NS6detail15normal_iteratorINSC_10device_ptrIKyEEEESI_EEEEESK_NSA_INS5_IJNSE_INSF_IyEEEESM_EEEEEPS7_SP_SP_NSC_11hip_rocprim7__merge17predicate_wrapperIyyNSC_7greaterImEEEEEE10hipError_tPvRmT0_T1_T2_T3_T4_T5_mmT6_P12ihipStream_tbEUlT_E0_NS1_11comp_targetILNS1_3genE10ELNS1_11target_archE1200ELNS1_3gpuE4ELNS1_3repE0EEENS1_30default_config_static_selectorELNS0_4arch9wavefront6targetE0EEEvS10_
                                        ; -- End function
	.set _ZN7rocprim17ROCPRIM_400000_NS6detail17trampoline_kernelINS0_14default_configENS1_21merge_config_selectorINS0_5tupleIJyyEEENS0_10empty_typeEEEZNS1_10merge_implIS3_NS0_12zip_iteratorINS5_IJN6thrust23THRUST_200600_302600_NS6detail15normal_iteratorINSC_10device_ptrIKyEEEESI_EEEEESK_NSA_INS5_IJNSE_INSF_IyEEEESM_EEEEEPS7_SP_SP_NSC_11hip_rocprim7__merge17predicate_wrapperIyyNSC_7greaterImEEEEEE10hipError_tPvRmT0_T1_T2_T3_T4_T5_mmT6_P12ihipStream_tbEUlT_E0_NS1_11comp_targetILNS1_3genE10ELNS1_11target_archE1200ELNS1_3gpuE4ELNS1_3repE0EEENS1_30default_config_static_selectorELNS0_4arch9wavefront6targetE0EEEvS10_.num_vgpr, 0
	.set _ZN7rocprim17ROCPRIM_400000_NS6detail17trampoline_kernelINS0_14default_configENS1_21merge_config_selectorINS0_5tupleIJyyEEENS0_10empty_typeEEEZNS1_10merge_implIS3_NS0_12zip_iteratorINS5_IJN6thrust23THRUST_200600_302600_NS6detail15normal_iteratorINSC_10device_ptrIKyEEEESI_EEEEESK_NSA_INS5_IJNSE_INSF_IyEEEESM_EEEEEPS7_SP_SP_NSC_11hip_rocprim7__merge17predicate_wrapperIyyNSC_7greaterImEEEEEE10hipError_tPvRmT0_T1_T2_T3_T4_T5_mmT6_P12ihipStream_tbEUlT_E0_NS1_11comp_targetILNS1_3genE10ELNS1_11target_archE1200ELNS1_3gpuE4ELNS1_3repE0EEENS1_30default_config_static_selectorELNS0_4arch9wavefront6targetE0EEEvS10_.num_agpr, 0
	.set _ZN7rocprim17ROCPRIM_400000_NS6detail17trampoline_kernelINS0_14default_configENS1_21merge_config_selectorINS0_5tupleIJyyEEENS0_10empty_typeEEEZNS1_10merge_implIS3_NS0_12zip_iteratorINS5_IJN6thrust23THRUST_200600_302600_NS6detail15normal_iteratorINSC_10device_ptrIKyEEEESI_EEEEESK_NSA_INS5_IJNSE_INSF_IyEEEESM_EEEEEPS7_SP_SP_NSC_11hip_rocprim7__merge17predicate_wrapperIyyNSC_7greaterImEEEEEE10hipError_tPvRmT0_T1_T2_T3_T4_T5_mmT6_P12ihipStream_tbEUlT_E0_NS1_11comp_targetILNS1_3genE10ELNS1_11target_archE1200ELNS1_3gpuE4ELNS1_3repE0EEENS1_30default_config_static_selectorELNS0_4arch9wavefront6targetE0EEEvS10_.numbered_sgpr, 0
	.set _ZN7rocprim17ROCPRIM_400000_NS6detail17trampoline_kernelINS0_14default_configENS1_21merge_config_selectorINS0_5tupleIJyyEEENS0_10empty_typeEEEZNS1_10merge_implIS3_NS0_12zip_iteratorINS5_IJN6thrust23THRUST_200600_302600_NS6detail15normal_iteratorINSC_10device_ptrIKyEEEESI_EEEEESK_NSA_INS5_IJNSE_INSF_IyEEEESM_EEEEEPS7_SP_SP_NSC_11hip_rocprim7__merge17predicate_wrapperIyyNSC_7greaterImEEEEEE10hipError_tPvRmT0_T1_T2_T3_T4_T5_mmT6_P12ihipStream_tbEUlT_E0_NS1_11comp_targetILNS1_3genE10ELNS1_11target_archE1200ELNS1_3gpuE4ELNS1_3repE0EEENS1_30default_config_static_selectorELNS0_4arch9wavefront6targetE0EEEvS10_.num_named_barrier, 0
	.set _ZN7rocprim17ROCPRIM_400000_NS6detail17trampoline_kernelINS0_14default_configENS1_21merge_config_selectorINS0_5tupleIJyyEEENS0_10empty_typeEEEZNS1_10merge_implIS3_NS0_12zip_iteratorINS5_IJN6thrust23THRUST_200600_302600_NS6detail15normal_iteratorINSC_10device_ptrIKyEEEESI_EEEEESK_NSA_INS5_IJNSE_INSF_IyEEEESM_EEEEEPS7_SP_SP_NSC_11hip_rocprim7__merge17predicate_wrapperIyyNSC_7greaterImEEEEEE10hipError_tPvRmT0_T1_T2_T3_T4_T5_mmT6_P12ihipStream_tbEUlT_E0_NS1_11comp_targetILNS1_3genE10ELNS1_11target_archE1200ELNS1_3gpuE4ELNS1_3repE0EEENS1_30default_config_static_selectorELNS0_4arch9wavefront6targetE0EEEvS10_.private_seg_size, 0
	.set _ZN7rocprim17ROCPRIM_400000_NS6detail17trampoline_kernelINS0_14default_configENS1_21merge_config_selectorINS0_5tupleIJyyEEENS0_10empty_typeEEEZNS1_10merge_implIS3_NS0_12zip_iteratorINS5_IJN6thrust23THRUST_200600_302600_NS6detail15normal_iteratorINSC_10device_ptrIKyEEEESI_EEEEESK_NSA_INS5_IJNSE_INSF_IyEEEESM_EEEEEPS7_SP_SP_NSC_11hip_rocprim7__merge17predicate_wrapperIyyNSC_7greaterImEEEEEE10hipError_tPvRmT0_T1_T2_T3_T4_T5_mmT6_P12ihipStream_tbEUlT_E0_NS1_11comp_targetILNS1_3genE10ELNS1_11target_archE1200ELNS1_3gpuE4ELNS1_3repE0EEENS1_30default_config_static_selectorELNS0_4arch9wavefront6targetE0EEEvS10_.uses_vcc, 0
	.set _ZN7rocprim17ROCPRIM_400000_NS6detail17trampoline_kernelINS0_14default_configENS1_21merge_config_selectorINS0_5tupleIJyyEEENS0_10empty_typeEEEZNS1_10merge_implIS3_NS0_12zip_iteratorINS5_IJN6thrust23THRUST_200600_302600_NS6detail15normal_iteratorINSC_10device_ptrIKyEEEESI_EEEEESK_NSA_INS5_IJNSE_INSF_IyEEEESM_EEEEEPS7_SP_SP_NSC_11hip_rocprim7__merge17predicate_wrapperIyyNSC_7greaterImEEEEEE10hipError_tPvRmT0_T1_T2_T3_T4_T5_mmT6_P12ihipStream_tbEUlT_E0_NS1_11comp_targetILNS1_3genE10ELNS1_11target_archE1200ELNS1_3gpuE4ELNS1_3repE0EEENS1_30default_config_static_selectorELNS0_4arch9wavefront6targetE0EEEvS10_.uses_flat_scratch, 0
	.set _ZN7rocprim17ROCPRIM_400000_NS6detail17trampoline_kernelINS0_14default_configENS1_21merge_config_selectorINS0_5tupleIJyyEEENS0_10empty_typeEEEZNS1_10merge_implIS3_NS0_12zip_iteratorINS5_IJN6thrust23THRUST_200600_302600_NS6detail15normal_iteratorINSC_10device_ptrIKyEEEESI_EEEEESK_NSA_INS5_IJNSE_INSF_IyEEEESM_EEEEEPS7_SP_SP_NSC_11hip_rocprim7__merge17predicate_wrapperIyyNSC_7greaterImEEEEEE10hipError_tPvRmT0_T1_T2_T3_T4_T5_mmT6_P12ihipStream_tbEUlT_E0_NS1_11comp_targetILNS1_3genE10ELNS1_11target_archE1200ELNS1_3gpuE4ELNS1_3repE0EEENS1_30default_config_static_selectorELNS0_4arch9wavefront6targetE0EEEvS10_.has_dyn_sized_stack, 0
	.set _ZN7rocprim17ROCPRIM_400000_NS6detail17trampoline_kernelINS0_14default_configENS1_21merge_config_selectorINS0_5tupleIJyyEEENS0_10empty_typeEEEZNS1_10merge_implIS3_NS0_12zip_iteratorINS5_IJN6thrust23THRUST_200600_302600_NS6detail15normal_iteratorINSC_10device_ptrIKyEEEESI_EEEEESK_NSA_INS5_IJNSE_INSF_IyEEEESM_EEEEEPS7_SP_SP_NSC_11hip_rocprim7__merge17predicate_wrapperIyyNSC_7greaterImEEEEEE10hipError_tPvRmT0_T1_T2_T3_T4_T5_mmT6_P12ihipStream_tbEUlT_E0_NS1_11comp_targetILNS1_3genE10ELNS1_11target_archE1200ELNS1_3gpuE4ELNS1_3repE0EEENS1_30default_config_static_selectorELNS0_4arch9wavefront6targetE0EEEvS10_.has_recursion, 0
	.set _ZN7rocprim17ROCPRIM_400000_NS6detail17trampoline_kernelINS0_14default_configENS1_21merge_config_selectorINS0_5tupleIJyyEEENS0_10empty_typeEEEZNS1_10merge_implIS3_NS0_12zip_iteratorINS5_IJN6thrust23THRUST_200600_302600_NS6detail15normal_iteratorINSC_10device_ptrIKyEEEESI_EEEEESK_NSA_INS5_IJNSE_INSF_IyEEEESM_EEEEEPS7_SP_SP_NSC_11hip_rocprim7__merge17predicate_wrapperIyyNSC_7greaterImEEEEEE10hipError_tPvRmT0_T1_T2_T3_T4_T5_mmT6_P12ihipStream_tbEUlT_E0_NS1_11comp_targetILNS1_3genE10ELNS1_11target_archE1200ELNS1_3gpuE4ELNS1_3repE0EEENS1_30default_config_static_selectorELNS0_4arch9wavefront6targetE0EEEvS10_.has_indirect_call, 0
	.section	.AMDGPU.csdata,"",@progbits
; Kernel info:
; codeLenInByte = 0
; TotalNumSgprs: 0
; NumVgprs: 0
; ScratchSize: 0
; MemoryBound: 0
; FloatMode: 240
; IeeeMode: 1
; LDSByteSize: 0 bytes/workgroup (compile time only)
; SGPRBlocks: 0
; VGPRBlocks: 0
; NumSGPRsForWavesPerEU: 1
; NumVGPRsForWavesPerEU: 1
; Occupancy: 16
; WaveLimiterHint : 0
; COMPUTE_PGM_RSRC2:SCRATCH_EN: 0
; COMPUTE_PGM_RSRC2:USER_SGPR: 6
; COMPUTE_PGM_RSRC2:TRAP_HANDLER: 0
; COMPUTE_PGM_RSRC2:TGID_X_EN: 1
; COMPUTE_PGM_RSRC2:TGID_Y_EN: 0
; COMPUTE_PGM_RSRC2:TGID_Z_EN: 0
; COMPUTE_PGM_RSRC2:TIDIG_COMP_CNT: 0
	.section	.text._ZN7rocprim17ROCPRIM_400000_NS6detail17trampoline_kernelINS0_14default_configENS1_21merge_config_selectorINS0_5tupleIJyyEEENS0_10empty_typeEEEZNS1_10merge_implIS3_NS0_12zip_iteratorINS5_IJN6thrust23THRUST_200600_302600_NS6detail15normal_iteratorINSC_10device_ptrIKyEEEESI_EEEEESK_NSA_INS5_IJNSE_INSF_IyEEEESM_EEEEEPS7_SP_SP_NSC_11hip_rocprim7__merge17predicate_wrapperIyyNSC_7greaterImEEEEEE10hipError_tPvRmT0_T1_T2_T3_T4_T5_mmT6_P12ihipStream_tbEUlT_E0_NS1_11comp_targetILNS1_3genE9ELNS1_11target_archE1100ELNS1_3gpuE3ELNS1_3repE0EEENS1_30default_config_static_selectorELNS0_4arch9wavefront6targetE0EEEvS10_,"axG",@progbits,_ZN7rocprim17ROCPRIM_400000_NS6detail17trampoline_kernelINS0_14default_configENS1_21merge_config_selectorINS0_5tupleIJyyEEENS0_10empty_typeEEEZNS1_10merge_implIS3_NS0_12zip_iteratorINS5_IJN6thrust23THRUST_200600_302600_NS6detail15normal_iteratorINSC_10device_ptrIKyEEEESI_EEEEESK_NSA_INS5_IJNSE_INSF_IyEEEESM_EEEEEPS7_SP_SP_NSC_11hip_rocprim7__merge17predicate_wrapperIyyNSC_7greaterImEEEEEE10hipError_tPvRmT0_T1_T2_T3_T4_T5_mmT6_P12ihipStream_tbEUlT_E0_NS1_11comp_targetILNS1_3genE9ELNS1_11target_archE1100ELNS1_3gpuE3ELNS1_3repE0EEENS1_30default_config_static_selectorELNS0_4arch9wavefront6targetE0EEEvS10_,comdat
	.protected	_ZN7rocprim17ROCPRIM_400000_NS6detail17trampoline_kernelINS0_14default_configENS1_21merge_config_selectorINS0_5tupleIJyyEEENS0_10empty_typeEEEZNS1_10merge_implIS3_NS0_12zip_iteratorINS5_IJN6thrust23THRUST_200600_302600_NS6detail15normal_iteratorINSC_10device_ptrIKyEEEESI_EEEEESK_NSA_INS5_IJNSE_INSF_IyEEEESM_EEEEEPS7_SP_SP_NSC_11hip_rocprim7__merge17predicate_wrapperIyyNSC_7greaterImEEEEEE10hipError_tPvRmT0_T1_T2_T3_T4_T5_mmT6_P12ihipStream_tbEUlT_E0_NS1_11comp_targetILNS1_3genE9ELNS1_11target_archE1100ELNS1_3gpuE3ELNS1_3repE0EEENS1_30default_config_static_selectorELNS0_4arch9wavefront6targetE0EEEvS10_ ; -- Begin function _ZN7rocprim17ROCPRIM_400000_NS6detail17trampoline_kernelINS0_14default_configENS1_21merge_config_selectorINS0_5tupleIJyyEEENS0_10empty_typeEEEZNS1_10merge_implIS3_NS0_12zip_iteratorINS5_IJN6thrust23THRUST_200600_302600_NS6detail15normal_iteratorINSC_10device_ptrIKyEEEESI_EEEEESK_NSA_INS5_IJNSE_INSF_IyEEEESM_EEEEEPS7_SP_SP_NSC_11hip_rocprim7__merge17predicate_wrapperIyyNSC_7greaterImEEEEEE10hipError_tPvRmT0_T1_T2_T3_T4_T5_mmT6_P12ihipStream_tbEUlT_E0_NS1_11comp_targetILNS1_3genE9ELNS1_11target_archE1100ELNS1_3gpuE3ELNS1_3repE0EEENS1_30default_config_static_selectorELNS0_4arch9wavefront6targetE0EEEvS10_
	.globl	_ZN7rocprim17ROCPRIM_400000_NS6detail17trampoline_kernelINS0_14default_configENS1_21merge_config_selectorINS0_5tupleIJyyEEENS0_10empty_typeEEEZNS1_10merge_implIS3_NS0_12zip_iteratorINS5_IJN6thrust23THRUST_200600_302600_NS6detail15normal_iteratorINSC_10device_ptrIKyEEEESI_EEEEESK_NSA_INS5_IJNSE_INSF_IyEEEESM_EEEEEPS7_SP_SP_NSC_11hip_rocprim7__merge17predicate_wrapperIyyNSC_7greaterImEEEEEE10hipError_tPvRmT0_T1_T2_T3_T4_T5_mmT6_P12ihipStream_tbEUlT_E0_NS1_11comp_targetILNS1_3genE9ELNS1_11target_archE1100ELNS1_3gpuE3ELNS1_3repE0EEENS1_30default_config_static_selectorELNS0_4arch9wavefront6targetE0EEEvS10_
	.p2align	8
	.type	_ZN7rocprim17ROCPRIM_400000_NS6detail17trampoline_kernelINS0_14default_configENS1_21merge_config_selectorINS0_5tupleIJyyEEENS0_10empty_typeEEEZNS1_10merge_implIS3_NS0_12zip_iteratorINS5_IJN6thrust23THRUST_200600_302600_NS6detail15normal_iteratorINSC_10device_ptrIKyEEEESI_EEEEESK_NSA_INS5_IJNSE_INSF_IyEEEESM_EEEEEPS7_SP_SP_NSC_11hip_rocprim7__merge17predicate_wrapperIyyNSC_7greaterImEEEEEE10hipError_tPvRmT0_T1_T2_T3_T4_T5_mmT6_P12ihipStream_tbEUlT_E0_NS1_11comp_targetILNS1_3genE9ELNS1_11target_archE1100ELNS1_3gpuE3ELNS1_3repE0EEENS1_30default_config_static_selectorELNS0_4arch9wavefront6targetE0EEEvS10_,@function
_ZN7rocprim17ROCPRIM_400000_NS6detail17trampoline_kernelINS0_14default_configENS1_21merge_config_selectorINS0_5tupleIJyyEEENS0_10empty_typeEEEZNS1_10merge_implIS3_NS0_12zip_iteratorINS5_IJN6thrust23THRUST_200600_302600_NS6detail15normal_iteratorINSC_10device_ptrIKyEEEESI_EEEEESK_NSA_INS5_IJNSE_INSF_IyEEEESM_EEEEEPS7_SP_SP_NSC_11hip_rocprim7__merge17predicate_wrapperIyyNSC_7greaterImEEEEEE10hipError_tPvRmT0_T1_T2_T3_T4_T5_mmT6_P12ihipStream_tbEUlT_E0_NS1_11comp_targetILNS1_3genE9ELNS1_11target_archE1100ELNS1_3gpuE3ELNS1_3repE0EEENS1_30default_config_static_selectorELNS0_4arch9wavefront6targetE0EEEvS10_: ; @_ZN7rocprim17ROCPRIM_400000_NS6detail17trampoline_kernelINS0_14default_configENS1_21merge_config_selectorINS0_5tupleIJyyEEENS0_10empty_typeEEEZNS1_10merge_implIS3_NS0_12zip_iteratorINS5_IJN6thrust23THRUST_200600_302600_NS6detail15normal_iteratorINSC_10device_ptrIKyEEEESI_EEEEESK_NSA_INS5_IJNSE_INSF_IyEEEESM_EEEEEPS7_SP_SP_NSC_11hip_rocprim7__merge17predicate_wrapperIyyNSC_7greaterImEEEEEE10hipError_tPvRmT0_T1_T2_T3_T4_T5_mmT6_P12ihipStream_tbEUlT_E0_NS1_11comp_targetILNS1_3genE9ELNS1_11target_archE1100ELNS1_3gpuE3ELNS1_3repE0EEENS1_30default_config_static_selectorELNS0_4arch9wavefront6targetE0EEEvS10_
; %bb.0:
	.section	.rodata,"a",@progbits
	.p2align	6, 0x0
	.amdhsa_kernel _ZN7rocprim17ROCPRIM_400000_NS6detail17trampoline_kernelINS0_14default_configENS1_21merge_config_selectorINS0_5tupleIJyyEEENS0_10empty_typeEEEZNS1_10merge_implIS3_NS0_12zip_iteratorINS5_IJN6thrust23THRUST_200600_302600_NS6detail15normal_iteratorINSC_10device_ptrIKyEEEESI_EEEEESK_NSA_INS5_IJNSE_INSF_IyEEEESM_EEEEEPS7_SP_SP_NSC_11hip_rocprim7__merge17predicate_wrapperIyyNSC_7greaterImEEEEEE10hipError_tPvRmT0_T1_T2_T3_T4_T5_mmT6_P12ihipStream_tbEUlT_E0_NS1_11comp_targetILNS1_3genE9ELNS1_11target_archE1100ELNS1_3gpuE3ELNS1_3repE0EEENS1_30default_config_static_selectorELNS0_4arch9wavefront6targetE0EEEvS10_
		.amdhsa_group_segment_fixed_size 0
		.amdhsa_private_segment_fixed_size 0
		.amdhsa_kernarg_size 112
		.amdhsa_user_sgpr_count 6
		.amdhsa_user_sgpr_private_segment_buffer 1
		.amdhsa_user_sgpr_dispatch_ptr 0
		.amdhsa_user_sgpr_queue_ptr 0
		.amdhsa_user_sgpr_kernarg_segment_ptr 1
		.amdhsa_user_sgpr_dispatch_id 0
		.amdhsa_user_sgpr_flat_scratch_init 0
		.amdhsa_user_sgpr_private_segment_size 0
		.amdhsa_wavefront_size32 1
		.amdhsa_uses_dynamic_stack 0
		.amdhsa_system_sgpr_private_segment_wavefront_offset 0
		.amdhsa_system_sgpr_workgroup_id_x 1
		.amdhsa_system_sgpr_workgroup_id_y 0
		.amdhsa_system_sgpr_workgroup_id_z 0
		.amdhsa_system_sgpr_workgroup_info 0
		.amdhsa_system_vgpr_workitem_id 0
		.amdhsa_next_free_vgpr 1
		.amdhsa_next_free_sgpr 1
		.amdhsa_reserve_vcc 0
		.amdhsa_reserve_flat_scratch 0
		.amdhsa_float_round_mode_32 0
		.amdhsa_float_round_mode_16_64 0
		.amdhsa_float_denorm_mode_32 3
		.amdhsa_float_denorm_mode_16_64 3
		.amdhsa_dx10_clamp 1
		.amdhsa_ieee_mode 1
		.amdhsa_fp16_overflow 0
		.amdhsa_workgroup_processor_mode 1
		.amdhsa_memory_ordered 1
		.amdhsa_forward_progress 1
		.amdhsa_shared_vgpr_count 0
		.amdhsa_exception_fp_ieee_invalid_op 0
		.amdhsa_exception_fp_denorm_src 0
		.amdhsa_exception_fp_ieee_div_zero 0
		.amdhsa_exception_fp_ieee_overflow 0
		.amdhsa_exception_fp_ieee_underflow 0
		.amdhsa_exception_fp_ieee_inexact 0
		.amdhsa_exception_int_div_zero 0
	.end_amdhsa_kernel
	.section	.text._ZN7rocprim17ROCPRIM_400000_NS6detail17trampoline_kernelINS0_14default_configENS1_21merge_config_selectorINS0_5tupleIJyyEEENS0_10empty_typeEEEZNS1_10merge_implIS3_NS0_12zip_iteratorINS5_IJN6thrust23THRUST_200600_302600_NS6detail15normal_iteratorINSC_10device_ptrIKyEEEESI_EEEEESK_NSA_INS5_IJNSE_INSF_IyEEEESM_EEEEEPS7_SP_SP_NSC_11hip_rocprim7__merge17predicate_wrapperIyyNSC_7greaterImEEEEEE10hipError_tPvRmT0_T1_T2_T3_T4_T5_mmT6_P12ihipStream_tbEUlT_E0_NS1_11comp_targetILNS1_3genE9ELNS1_11target_archE1100ELNS1_3gpuE3ELNS1_3repE0EEENS1_30default_config_static_selectorELNS0_4arch9wavefront6targetE0EEEvS10_,"axG",@progbits,_ZN7rocprim17ROCPRIM_400000_NS6detail17trampoline_kernelINS0_14default_configENS1_21merge_config_selectorINS0_5tupleIJyyEEENS0_10empty_typeEEEZNS1_10merge_implIS3_NS0_12zip_iteratorINS5_IJN6thrust23THRUST_200600_302600_NS6detail15normal_iteratorINSC_10device_ptrIKyEEEESI_EEEEESK_NSA_INS5_IJNSE_INSF_IyEEEESM_EEEEEPS7_SP_SP_NSC_11hip_rocprim7__merge17predicate_wrapperIyyNSC_7greaterImEEEEEE10hipError_tPvRmT0_T1_T2_T3_T4_T5_mmT6_P12ihipStream_tbEUlT_E0_NS1_11comp_targetILNS1_3genE9ELNS1_11target_archE1100ELNS1_3gpuE3ELNS1_3repE0EEENS1_30default_config_static_selectorELNS0_4arch9wavefront6targetE0EEEvS10_,comdat
.Lfunc_end369:
	.size	_ZN7rocprim17ROCPRIM_400000_NS6detail17trampoline_kernelINS0_14default_configENS1_21merge_config_selectorINS0_5tupleIJyyEEENS0_10empty_typeEEEZNS1_10merge_implIS3_NS0_12zip_iteratorINS5_IJN6thrust23THRUST_200600_302600_NS6detail15normal_iteratorINSC_10device_ptrIKyEEEESI_EEEEESK_NSA_INS5_IJNSE_INSF_IyEEEESM_EEEEEPS7_SP_SP_NSC_11hip_rocprim7__merge17predicate_wrapperIyyNSC_7greaterImEEEEEE10hipError_tPvRmT0_T1_T2_T3_T4_T5_mmT6_P12ihipStream_tbEUlT_E0_NS1_11comp_targetILNS1_3genE9ELNS1_11target_archE1100ELNS1_3gpuE3ELNS1_3repE0EEENS1_30default_config_static_selectorELNS0_4arch9wavefront6targetE0EEEvS10_, .Lfunc_end369-_ZN7rocprim17ROCPRIM_400000_NS6detail17trampoline_kernelINS0_14default_configENS1_21merge_config_selectorINS0_5tupleIJyyEEENS0_10empty_typeEEEZNS1_10merge_implIS3_NS0_12zip_iteratorINS5_IJN6thrust23THRUST_200600_302600_NS6detail15normal_iteratorINSC_10device_ptrIKyEEEESI_EEEEESK_NSA_INS5_IJNSE_INSF_IyEEEESM_EEEEEPS7_SP_SP_NSC_11hip_rocprim7__merge17predicate_wrapperIyyNSC_7greaterImEEEEEE10hipError_tPvRmT0_T1_T2_T3_T4_T5_mmT6_P12ihipStream_tbEUlT_E0_NS1_11comp_targetILNS1_3genE9ELNS1_11target_archE1100ELNS1_3gpuE3ELNS1_3repE0EEENS1_30default_config_static_selectorELNS0_4arch9wavefront6targetE0EEEvS10_
                                        ; -- End function
	.set _ZN7rocprim17ROCPRIM_400000_NS6detail17trampoline_kernelINS0_14default_configENS1_21merge_config_selectorINS0_5tupleIJyyEEENS0_10empty_typeEEEZNS1_10merge_implIS3_NS0_12zip_iteratorINS5_IJN6thrust23THRUST_200600_302600_NS6detail15normal_iteratorINSC_10device_ptrIKyEEEESI_EEEEESK_NSA_INS5_IJNSE_INSF_IyEEEESM_EEEEEPS7_SP_SP_NSC_11hip_rocprim7__merge17predicate_wrapperIyyNSC_7greaterImEEEEEE10hipError_tPvRmT0_T1_T2_T3_T4_T5_mmT6_P12ihipStream_tbEUlT_E0_NS1_11comp_targetILNS1_3genE9ELNS1_11target_archE1100ELNS1_3gpuE3ELNS1_3repE0EEENS1_30default_config_static_selectorELNS0_4arch9wavefront6targetE0EEEvS10_.num_vgpr, 0
	.set _ZN7rocprim17ROCPRIM_400000_NS6detail17trampoline_kernelINS0_14default_configENS1_21merge_config_selectorINS0_5tupleIJyyEEENS0_10empty_typeEEEZNS1_10merge_implIS3_NS0_12zip_iteratorINS5_IJN6thrust23THRUST_200600_302600_NS6detail15normal_iteratorINSC_10device_ptrIKyEEEESI_EEEEESK_NSA_INS5_IJNSE_INSF_IyEEEESM_EEEEEPS7_SP_SP_NSC_11hip_rocprim7__merge17predicate_wrapperIyyNSC_7greaterImEEEEEE10hipError_tPvRmT0_T1_T2_T3_T4_T5_mmT6_P12ihipStream_tbEUlT_E0_NS1_11comp_targetILNS1_3genE9ELNS1_11target_archE1100ELNS1_3gpuE3ELNS1_3repE0EEENS1_30default_config_static_selectorELNS0_4arch9wavefront6targetE0EEEvS10_.num_agpr, 0
	.set _ZN7rocprim17ROCPRIM_400000_NS6detail17trampoline_kernelINS0_14default_configENS1_21merge_config_selectorINS0_5tupleIJyyEEENS0_10empty_typeEEEZNS1_10merge_implIS3_NS0_12zip_iteratorINS5_IJN6thrust23THRUST_200600_302600_NS6detail15normal_iteratorINSC_10device_ptrIKyEEEESI_EEEEESK_NSA_INS5_IJNSE_INSF_IyEEEESM_EEEEEPS7_SP_SP_NSC_11hip_rocprim7__merge17predicate_wrapperIyyNSC_7greaterImEEEEEE10hipError_tPvRmT0_T1_T2_T3_T4_T5_mmT6_P12ihipStream_tbEUlT_E0_NS1_11comp_targetILNS1_3genE9ELNS1_11target_archE1100ELNS1_3gpuE3ELNS1_3repE0EEENS1_30default_config_static_selectorELNS0_4arch9wavefront6targetE0EEEvS10_.numbered_sgpr, 0
	.set _ZN7rocprim17ROCPRIM_400000_NS6detail17trampoline_kernelINS0_14default_configENS1_21merge_config_selectorINS0_5tupleIJyyEEENS0_10empty_typeEEEZNS1_10merge_implIS3_NS0_12zip_iteratorINS5_IJN6thrust23THRUST_200600_302600_NS6detail15normal_iteratorINSC_10device_ptrIKyEEEESI_EEEEESK_NSA_INS5_IJNSE_INSF_IyEEEESM_EEEEEPS7_SP_SP_NSC_11hip_rocprim7__merge17predicate_wrapperIyyNSC_7greaterImEEEEEE10hipError_tPvRmT0_T1_T2_T3_T4_T5_mmT6_P12ihipStream_tbEUlT_E0_NS1_11comp_targetILNS1_3genE9ELNS1_11target_archE1100ELNS1_3gpuE3ELNS1_3repE0EEENS1_30default_config_static_selectorELNS0_4arch9wavefront6targetE0EEEvS10_.num_named_barrier, 0
	.set _ZN7rocprim17ROCPRIM_400000_NS6detail17trampoline_kernelINS0_14default_configENS1_21merge_config_selectorINS0_5tupleIJyyEEENS0_10empty_typeEEEZNS1_10merge_implIS3_NS0_12zip_iteratorINS5_IJN6thrust23THRUST_200600_302600_NS6detail15normal_iteratorINSC_10device_ptrIKyEEEESI_EEEEESK_NSA_INS5_IJNSE_INSF_IyEEEESM_EEEEEPS7_SP_SP_NSC_11hip_rocprim7__merge17predicate_wrapperIyyNSC_7greaterImEEEEEE10hipError_tPvRmT0_T1_T2_T3_T4_T5_mmT6_P12ihipStream_tbEUlT_E0_NS1_11comp_targetILNS1_3genE9ELNS1_11target_archE1100ELNS1_3gpuE3ELNS1_3repE0EEENS1_30default_config_static_selectorELNS0_4arch9wavefront6targetE0EEEvS10_.private_seg_size, 0
	.set _ZN7rocprim17ROCPRIM_400000_NS6detail17trampoline_kernelINS0_14default_configENS1_21merge_config_selectorINS0_5tupleIJyyEEENS0_10empty_typeEEEZNS1_10merge_implIS3_NS0_12zip_iteratorINS5_IJN6thrust23THRUST_200600_302600_NS6detail15normal_iteratorINSC_10device_ptrIKyEEEESI_EEEEESK_NSA_INS5_IJNSE_INSF_IyEEEESM_EEEEEPS7_SP_SP_NSC_11hip_rocprim7__merge17predicate_wrapperIyyNSC_7greaterImEEEEEE10hipError_tPvRmT0_T1_T2_T3_T4_T5_mmT6_P12ihipStream_tbEUlT_E0_NS1_11comp_targetILNS1_3genE9ELNS1_11target_archE1100ELNS1_3gpuE3ELNS1_3repE0EEENS1_30default_config_static_selectorELNS0_4arch9wavefront6targetE0EEEvS10_.uses_vcc, 0
	.set _ZN7rocprim17ROCPRIM_400000_NS6detail17trampoline_kernelINS0_14default_configENS1_21merge_config_selectorINS0_5tupleIJyyEEENS0_10empty_typeEEEZNS1_10merge_implIS3_NS0_12zip_iteratorINS5_IJN6thrust23THRUST_200600_302600_NS6detail15normal_iteratorINSC_10device_ptrIKyEEEESI_EEEEESK_NSA_INS5_IJNSE_INSF_IyEEEESM_EEEEEPS7_SP_SP_NSC_11hip_rocprim7__merge17predicate_wrapperIyyNSC_7greaterImEEEEEE10hipError_tPvRmT0_T1_T2_T3_T4_T5_mmT6_P12ihipStream_tbEUlT_E0_NS1_11comp_targetILNS1_3genE9ELNS1_11target_archE1100ELNS1_3gpuE3ELNS1_3repE0EEENS1_30default_config_static_selectorELNS0_4arch9wavefront6targetE0EEEvS10_.uses_flat_scratch, 0
	.set _ZN7rocprim17ROCPRIM_400000_NS6detail17trampoline_kernelINS0_14default_configENS1_21merge_config_selectorINS0_5tupleIJyyEEENS0_10empty_typeEEEZNS1_10merge_implIS3_NS0_12zip_iteratorINS5_IJN6thrust23THRUST_200600_302600_NS6detail15normal_iteratorINSC_10device_ptrIKyEEEESI_EEEEESK_NSA_INS5_IJNSE_INSF_IyEEEESM_EEEEEPS7_SP_SP_NSC_11hip_rocprim7__merge17predicate_wrapperIyyNSC_7greaterImEEEEEE10hipError_tPvRmT0_T1_T2_T3_T4_T5_mmT6_P12ihipStream_tbEUlT_E0_NS1_11comp_targetILNS1_3genE9ELNS1_11target_archE1100ELNS1_3gpuE3ELNS1_3repE0EEENS1_30default_config_static_selectorELNS0_4arch9wavefront6targetE0EEEvS10_.has_dyn_sized_stack, 0
	.set _ZN7rocprim17ROCPRIM_400000_NS6detail17trampoline_kernelINS0_14default_configENS1_21merge_config_selectorINS0_5tupleIJyyEEENS0_10empty_typeEEEZNS1_10merge_implIS3_NS0_12zip_iteratorINS5_IJN6thrust23THRUST_200600_302600_NS6detail15normal_iteratorINSC_10device_ptrIKyEEEESI_EEEEESK_NSA_INS5_IJNSE_INSF_IyEEEESM_EEEEEPS7_SP_SP_NSC_11hip_rocprim7__merge17predicate_wrapperIyyNSC_7greaterImEEEEEE10hipError_tPvRmT0_T1_T2_T3_T4_T5_mmT6_P12ihipStream_tbEUlT_E0_NS1_11comp_targetILNS1_3genE9ELNS1_11target_archE1100ELNS1_3gpuE3ELNS1_3repE0EEENS1_30default_config_static_selectorELNS0_4arch9wavefront6targetE0EEEvS10_.has_recursion, 0
	.set _ZN7rocprim17ROCPRIM_400000_NS6detail17trampoline_kernelINS0_14default_configENS1_21merge_config_selectorINS0_5tupleIJyyEEENS0_10empty_typeEEEZNS1_10merge_implIS3_NS0_12zip_iteratorINS5_IJN6thrust23THRUST_200600_302600_NS6detail15normal_iteratorINSC_10device_ptrIKyEEEESI_EEEEESK_NSA_INS5_IJNSE_INSF_IyEEEESM_EEEEEPS7_SP_SP_NSC_11hip_rocprim7__merge17predicate_wrapperIyyNSC_7greaterImEEEEEE10hipError_tPvRmT0_T1_T2_T3_T4_T5_mmT6_P12ihipStream_tbEUlT_E0_NS1_11comp_targetILNS1_3genE9ELNS1_11target_archE1100ELNS1_3gpuE3ELNS1_3repE0EEENS1_30default_config_static_selectorELNS0_4arch9wavefront6targetE0EEEvS10_.has_indirect_call, 0
	.section	.AMDGPU.csdata,"",@progbits
; Kernel info:
; codeLenInByte = 0
; TotalNumSgprs: 0
; NumVgprs: 0
; ScratchSize: 0
; MemoryBound: 0
; FloatMode: 240
; IeeeMode: 1
; LDSByteSize: 0 bytes/workgroup (compile time only)
; SGPRBlocks: 0
; VGPRBlocks: 0
; NumSGPRsForWavesPerEU: 1
; NumVGPRsForWavesPerEU: 1
; Occupancy: 16
; WaveLimiterHint : 0
; COMPUTE_PGM_RSRC2:SCRATCH_EN: 0
; COMPUTE_PGM_RSRC2:USER_SGPR: 6
; COMPUTE_PGM_RSRC2:TRAP_HANDLER: 0
; COMPUTE_PGM_RSRC2:TGID_X_EN: 1
; COMPUTE_PGM_RSRC2:TGID_Y_EN: 0
; COMPUTE_PGM_RSRC2:TGID_Z_EN: 0
; COMPUTE_PGM_RSRC2:TIDIG_COMP_CNT: 0
	.section	.text._ZN7rocprim17ROCPRIM_400000_NS6detail17trampoline_kernelINS0_14default_configENS1_21merge_config_selectorINS0_5tupleIJyyEEENS0_10empty_typeEEEZNS1_10merge_implIS3_NS0_12zip_iteratorINS5_IJN6thrust23THRUST_200600_302600_NS6detail15normal_iteratorINSC_10device_ptrIKyEEEESI_EEEEESK_NSA_INS5_IJNSE_INSF_IyEEEESM_EEEEEPS7_SP_SP_NSC_11hip_rocprim7__merge17predicate_wrapperIyyNSC_7greaterImEEEEEE10hipError_tPvRmT0_T1_T2_T3_T4_T5_mmT6_P12ihipStream_tbEUlT_E0_NS1_11comp_targetILNS1_3genE8ELNS1_11target_archE1030ELNS1_3gpuE2ELNS1_3repE0EEENS1_30default_config_static_selectorELNS0_4arch9wavefront6targetE0EEEvS10_,"axG",@progbits,_ZN7rocprim17ROCPRIM_400000_NS6detail17trampoline_kernelINS0_14default_configENS1_21merge_config_selectorINS0_5tupleIJyyEEENS0_10empty_typeEEEZNS1_10merge_implIS3_NS0_12zip_iteratorINS5_IJN6thrust23THRUST_200600_302600_NS6detail15normal_iteratorINSC_10device_ptrIKyEEEESI_EEEEESK_NSA_INS5_IJNSE_INSF_IyEEEESM_EEEEEPS7_SP_SP_NSC_11hip_rocprim7__merge17predicate_wrapperIyyNSC_7greaterImEEEEEE10hipError_tPvRmT0_T1_T2_T3_T4_T5_mmT6_P12ihipStream_tbEUlT_E0_NS1_11comp_targetILNS1_3genE8ELNS1_11target_archE1030ELNS1_3gpuE2ELNS1_3repE0EEENS1_30default_config_static_selectorELNS0_4arch9wavefront6targetE0EEEvS10_,comdat
	.protected	_ZN7rocprim17ROCPRIM_400000_NS6detail17trampoline_kernelINS0_14default_configENS1_21merge_config_selectorINS0_5tupleIJyyEEENS0_10empty_typeEEEZNS1_10merge_implIS3_NS0_12zip_iteratorINS5_IJN6thrust23THRUST_200600_302600_NS6detail15normal_iteratorINSC_10device_ptrIKyEEEESI_EEEEESK_NSA_INS5_IJNSE_INSF_IyEEEESM_EEEEEPS7_SP_SP_NSC_11hip_rocprim7__merge17predicate_wrapperIyyNSC_7greaterImEEEEEE10hipError_tPvRmT0_T1_T2_T3_T4_T5_mmT6_P12ihipStream_tbEUlT_E0_NS1_11comp_targetILNS1_3genE8ELNS1_11target_archE1030ELNS1_3gpuE2ELNS1_3repE0EEENS1_30default_config_static_selectorELNS0_4arch9wavefront6targetE0EEEvS10_ ; -- Begin function _ZN7rocprim17ROCPRIM_400000_NS6detail17trampoline_kernelINS0_14default_configENS1_21merge_config_selectorINS0_5tupleIJyyEEENS0_10empty_typeEEEZNS1_10merge_implIS3_NS0_12zip_iteratorINS5_IJN6thrust23THRUST_200600_302600_NS6detail15normal_iteratorINSC_10device_ptrIKyEEEESI_EEEEESK_NSA_INS5_IJNSE_INSF_IyEEEESM_EEEEEPS7_SP_SP_NSC_11hip_rocprim7__merge17predicate_wrapperIyyNSC_7greaterImEEEEEE10hipError_tPvRmT0_T1_T2_T3_T4_T5_mmT6_P12ihipStream_tbEUlT_E0_NS1_11comp_targetILNS1_3genE8ELNS1_11target_archE1030ELNS1_3gpuE2ELNS1_3repE0EEENS1_30default_config_static_selectorELNS0_4arch9wavefront6targetE0EEEvS10_
	.globl	_ZN7rocprim17ROCPRIM_400000_NS6detail17trampoline_kernelINS0_14default_configENS1_21merge_config_selectorINS0_5tupleIJyyEEENS0_10empty_typeEEEZNS1_10merge_implIS3_NS0_12zip_iteratorINS5_IJN6thrust23THRUST_200600_302600_NS6detail15normal_iteratorINSC_10device_ptrIKyEEEESI_EEEEESK_NSA_INS5_IJNSE_INSF_IyEEEESM_EEEEEPS7_SP_SP_NSC_11hip_rocprim7__merge17predicate_wrapperIyyNSC_7greaterImEEEEEE10hipError_tPvRmT0_T1_T2_T3_T4_T5_mmT6_P12ihipStream_tbEUlT_E0_NS1_11comp_targetILNS1_3genE8ELNS1_11target_archE1030ELNS1_3gpuE2ELNS1_3repE0EEENS1_30default_config_static_selectorELNS0_4arch9wavefront6targetE0EEEvS10_
	.p2align	8
	.type	_ZN7rocprim17ROCPRIM_400000_NS6detail17trampoline_kernelINS0_14default_configENS1_21merge_config_selectorINS0_5tupleIJyyEEENS0_10empty_typeEEEZNS1_10merge_implIS3_NS0_12zip_iteratorINS5_IJN6thrust23THRUST_200600_302600_NS6detail15normal_iteratorINSC_10device_ptrIKyEEEESI_EEEEESK_NSA_INS5_IJNSE_INSF_IyEEEESM_EEEEEPS7_SP_SP_NSC_11hip_rocprim7__merge17predicate_wrapperIyyNSC_7greaterImEEEEEE10hipError_tPvRmT0_T1_T2_T3_T4_T5_mmT6_P12ihipStream_tbEUlT_E0_NS1_11comp_targetILNS1_3genE8ELNS1_11target_archE1030ELNS1_3gpuE2ELNS1_3repE0EEENS1_30default_config_static_selectorELNS0_4arch9wavefront6targetE0EEEvS10_,@function
_ZN7rocprim17ROCPRIM_400000_NS6detail17trampoline_kernelINS0_14default_configENS1_21merge_config_selectorINS0_5tupleIJyyEEENS0_10empty_typeEEEZNS1_10merge_implIS3_NS0_12zip_iteratorINS5_IJN6thrust23THRUST_200600_302600_NS6detail15normal_iteratorINSC_10device_ptrIKyEEEESI_EEEEESK_NSA_INS5_IJNSE_INSF_IyEEEESM_EEEEEPS7_SP_SP_NSC_11hip_rocprim7__merge17predicate_wrapperIyyNSC_7greaterImEEEEEE10hipError_tPvRmT0_T1_T2_T3_T4_T5_mmT6_P12ihipStream_tbEUlT_E0_NS1_11comp_targetILNS1_3genE8ELNS1_11target_archE1030ELNS1_3gpuE2ELNS1_3repE0EEENS1_30default_config_static_selectorELNS0_4arch9wavefront6targetE0EEEvS10_: ; @_ZN7rocprim17ROCPRIM_400000_NS6detail17trampoline_kernelINS0_14default_configENS1_21merge_config_selectorINS0_5tupleIJyyEEENS0_10empty_typeEEEZNS1_10merge_implIS3_NS0_12zip_iteratorINS5_IJN6thrust23THRUST_200600_302600_NS6detail15normal_iteratorINSC_10device_ptrIKyEEEESI_EEEEESK_NSA_INS5_IJNSE_INSF_IyEEEESM_EEEEEPS7_SP_SP_NSC_11hip_rocprim7__merge17predicate_wrapperIyyNSC_7greaterImEEEEEE10hipError_tPvRmT0_T1_T2_T3_T4_T5_mmT6_P12ihipStream_tbEUlT_E0_NS1_11comp_targetILNS1_3genE8ELNS1_11target_archE1030ELNS1_3gpuE2ELNS1_3repE0EEENS1_30default_config_static_selectorELNS0_4arch9wavefront6targetE0EEEvS10_
; %bb.0:
	s_clause 0x2
	s_load_dwordx4 s[0:3], s[4:5], 0x58
	s_load_dwordx8 s[8:15], s[4:5], 0x8
	s_load_dwordx4 s[16:19], s[4:5], 0x28
	s_mov_b32 s23, 0
	v_mov_b32_e32 v1, 0
	s_mov_b32 s25, s23
	s_waitcnt lgkmcnt(0)
	s_add_i32 s20, s2, s0
	s_add_i32 s0, s20, 0x7ff
	s_lshr_b32 s0, s0, 11
	s_min_u32 s1, s6, s0
	s_lshl_b32 s1, s1, 2
	s_load_dword s22, s[8:9], s1 offset:0x0
	s_add_i32 s1, s6, 1
	s_min_u32 s0, s1, s0
	s_lshl_b32 s0, s0, 2
	s_load_dword s9, s[8:9], s0 offset:0x0
	s_lshl_b32 s8, s6, 11
	s_add_i32 s0, s8, 0x800
	s_min_u32 s21, s20, s0
	s_waitcnt lgkmcnt(0)
	s_lshl_b64 s[2:3], s[22:23], 3
	s_sub_i32 s24, s8, s22
	s_add_u32 s0, s10, s2
	s_addc_u32 s1, s11, s3
	s_add_u32 s2, s12, s2
	s_addc_u32 s3, s13, s3
	s_lshl_b64 s[10:11], s[24:25], 3
	s_add_u32 s6, s14, s10
	s_addc_u32 s7, s15, s11
	s_add_u32 s10, s16, s10
	s_addc_u32 s11, s17, s11
	s_add_i32 s12, s24, s9
	s_sub_i32 s9, s9, s22
	s_sub_i32 s14, s21, s12
	s_mov_b32 s15, exec_lo
	s_add_u32 s12, s14, s9
	s_addc_u32 s13, 0, 0
	v_cmpx_le_u32_e64 s9, v0
	s_xor_b32 s15, exec_lo, s15
	s_cbranch_execz .LBB370_4
; %bb.1:
	s_mov_b32 s16, exec_lo
	v_cmpx_gt_u64_e64 s[12:13], v[0:1]
	s_cbranch_execz .LBB370_3
; %bb.2:
	v_subrev_nc_u32_e32 v1, s9, v0
	v_lshlrev_b32_e32 v5, 4, v0
	v_lshlrev_b32_e32 v3, 3, v1
	s_clause 0x1
	global_load_dwordx2 v[1:2], v3, s[6:7]
	global_load_dwordx2 v[3:4], v3, s[10:11]
	s_waitcnt vmcnt(0)
	ds_write_b128 v5, v[1:4]
.LBB370_3:
	s_or_b32 exec_lo, exec_lo, s16
.LBB370_4:
	s_or_saveexec_b32 s15, s15
	v_lshlrev_b32_e32 v41, 3, v0
	v_lshlrev_b32_e32 v42, 4, v0
	s_xor_b32 exec_lo, exec_lo, s15
	s_cbranch_execz .LBB370_6
; %bb.5:
	s_clause 0x1
	global_load_dwordx2 v[1:2], v41, s[0:1]
	global_load_dwordx2 v[3:4], v41, s[2:3]
	s_waitcnt vmcnt(0)
	ds_write_b128 v42, v[1:4]
.LBB370_6:
	s_or_b32 exec_lo, exec_lo, s15
	v_or_b32_e32 v33, 0x100, v0
	v_mov_b32_e32 v34, 0
	s_mov_b32 s15, exec_lo
	v_cmpx_le_u32_e64 s9, v33
	s_xor_b32 s15, exec_lo, s15
	s_cbranch_execz .LBB370_10
; %bb.7:
	s_mov_b32 s16, exec_lo
	v_cmpx_gt_u64_e64 s[12:13], v[33:34]
	s_cbranch_execz .LBB370_9
; %bb.8:
	v_subrev_nc_u32_e32 v1, s9, v33
	v_lshlrev_b32_e32 v3, 3, v1
	s_clause 0x1
	global_load_dwordx2 v[1:2], v3, s[6:7]
	global_load_dwordx2 v[3:4], v3, s[10:11]
	s_waitcnt vmcnt(0)
	ds_write_b128 v42, v[1:4] offset:4096
.LBB370_9:
	s_or_b32 exec_lo, exec_lo, s16
.LBB370_10:
	s_andn2_saveexec_b32 s15, s15
	s_cbranch_execz .LBB370_12
; %bb.11:
	v_lshlrev_b32_e32 v3, 3, v33
	s_clause 0x1
	global_load_dwordx2 v[1:2], v3, s[0:1]
	global_load_dwordx2 v[3:4], v3, s[2:3]
	s_waitcnt vmcnt(0)
	ds_write_b128 v42, v[1:4] offset:4096
.LBB370_12:
	s_or_b32 exec_lo, exec_lo, s15
	v_or_b32_e32 v34, 0x200, v0
	v_mov_b32_e32 v35, 0
	s_mov_b32 s15, exec_lo
	v_cmpx_le_u32_e64 s9, v34
	s_xor_b32 s15, exec_lo, s15
	s_cbranch_execz .LBB370_16
; %bb.13:
	s_mov_b32 s16, exec_lo
	v_cmpx_gt_u64_e64 s[12:13], v[34:35]
	s_cbranch_execz .LBB370_15
; %bb.14:
	v_subrev_nc_u32_e32 v1, s9, v34
	v_lshlrev_b32_e32 v3, 3, v1
	s_clause 0x1
	global_load_dwordx2 v[1:2], v3, s[6:7]
	global_load_dwordx2 v[3:4], v3, s[10:11]
	s_waitcnt vmcnt(0)
	ds_write_b128 v42, v[1:4] offset:8192
.LBB370_15:
	s_or_b32 exec_lo, exec_lo, s16
.LBB370_16:
	s_andn2_saveexec_b32 s15, s15
	s_cbranch_execz .LBB370_18
; %bb.17:
	v_lshlrev_b32_e32 v3, 3, v34
	s_clause 0x1
	global_load_dwordx2 v[1:2], v3, s[0:1]
	global_load_dwordx2 v[3:4], v3, s[2:3]
	s_waitcnt vmcnt(0)
	ds_write_b128 v42, v[1:4] offset:8192
.LBB370_18:
	s_or_b32 exec_lo, exec_lo, s15
	v_or_b32_e32 v35, 0x300, v0
	v_mov_b32_e32 v36, 0
	s_mov_b32 s15, exec_lo
	v_cmpx_le_u32_e64 s9, v35
	s_xor_b32 s15, exec_lo, s15
	s_cbranch_execz .LBB370_22
; %bb.19:
	s_mov_b32 s16, exec_lo
	v_cmpx_gt_u64_e64 s[12:13], v[35:36]
	s_cbranch_execz .LBB370_21
; %bb.20:
	v_subrev_nc_u32_e32 v1, s9, v35
	v_lshlrev_b32_e32 v3, 3, v1
	s_clause 0x1
	global_load_dwordx2 v[1:2], v3, s[6:7]
	global_load_dwordx2 v[3:4], v3, s[10:11]
	s_waitcnt vmcnt(0)
	ds_write_b128 v42, v[1:4] offset:12288
.LBB370_21:
	s_or_b32 exec_lo, exec_lo, s16
.LBB370_22:
	s_andn2_saveexec_b32 s15, s15
	s_cbranch_execz .LBB370_24
; %bb.23:
	v_lshlrev_b32_e32 v3, 3, v35
	s_clause 0x1
	global_load_dwordx2 v[1:2], v3, s[0:1]
	global_load_dwordx2 v[3:4], v3, s[2:3]
	s_waitcnt vmcnt(0)
	ds_write_b128 v42, v[1:4] offset:12288
.LBB370_24:
	s_or_b32 exec_lo, exec_lo, s15
	v_or_b32_e32 v36, 0x400, v0
	v_mov_b32_e32 v37, 0
	s_mov_b32 s15, exec_lo
	v_cmpx_le_u32_e64 s9, v36
	s_xor_b32 s15, exec_lo, s15
	s_cbranch_execz .LBB370_28
; %bb.25:
	s_mov_b32 s16, exec_lo
	v_cmpx_gt_u64_e64 s[12:13], v[36:37]
	s_cbranch_execz .LBB370_27
; %bb.26:
	v_subrev_nc_u32_e32 v1, s9, v36
	v_lshlrev_b32_e32 v3, 3, v1
	s_clause 0x1
	global_load_dwordx2 v[1:2], v3, s[6:7]
	global_load_dwordx2 v[3:4], v3, s[10:11]
	s_waitcnt vmcnt(0)
	ds_write_b128 v42, v[1:4] offset:16384
.LBB370_27:
	s_or_b32 exec_lo, exec_lo, s16
.LBB370_28:
	s_andn2_saveexec_b32 s15, s15
	s_cbranch_execz .LBB370_30
; %bb.29:
	v_lshlrev_b32_e32 v3, 3, v36
	s_clause 0x1
	global_load_dwordx2 v[1:2], v3, s[0:1]
	global_load_dwordx2 v[3:4], v3, s[2:3]
	s_waitcnt vmcnt(0)
	ds_write_b128 v42, v[1:4] offset:16384
.LBB370_30:
	s_or_b32 exec_lo, exec_lo, s15
	v_or_b32_e32 v37, 0x500, v0
	v_mov_b32_e32 v38, 0
	s_mov_b32 s15, exec_lo
	v_cmpx_le_u32_e64 s9, v37
	s_xor_b32 s15, exec_lo, s15
	s_cbranch_execz .LBB370_34
; %bb.31:
	s_mov_b32 s16, exec_lo
	v_cmpx_gt_u64_e64 s[12:13], v[37:38]
	s_cbranch_execz .LBB370_33
; %bb.32:
	v_subrev_nc_u32_e32 v1, s9, v37
	v_lshlrev_b32_e32 v3, 3, v1
	s_clause 0x1
	global_load_dwordx2 v[1:2], v3, s[6:7]
	global_load_dwordx2 v[3:4], v3, s[10:11]
	s_waitcnt vmcnt(0)
	ds_write_b128 v42, v[1:4] offset:20480
.LBB370_33:
	s_or_b32 exec_lo, exec_lo, s16
.LBB370_34:
	s_andn2_saveexec_b32 s15, s15
	s_cbranch_execz .LBB370_36
; %bb.35:
	v_lshlrev_b32_e32 v3, 3, v37
	s_clause 0x1
	global_load_dwordx2 v[1:2], v3, s[0:1]
	global_load_dwordx2 v[3:4], v3, s[2:3]
	s_waitcnt vmcnt(0)
	ds_write_b128 v42, v[1:4] offset:20480
.LBB370_36:
	s_or_b32 exec_lo, exec_lo, s15
	v_or_b32_e32 v38, 0x600, v0
	v_mov_b32_e32 v39, 0
	s_mov_b32 s15, exec_lo
	v_cmpx_le_u32_e64 s9, v38
	s_xor_b32 s15, exec_lo, s15
	s_cbranch_execz .LBB370_40
; %bb.37:
	s_mov_b32 s16, exec_lo
	v_cmpx_gt_u64_e64 s[12:13], v[38:39]
	s_cbranch_execz .LBB370_39
; %bb.38:
	v_subrev_nc_u32_e32 v1, s9, v38
	v_lshlrev_b32_e32 v3, 3, v1
	s_clause 0x1
	global_load_dwordx2 v[1:2], v3, s[6:7]
	global_load_dwordx2 v[3:4], v3, s[10:11]
	s_waitcnt vmcnt(0)
	ds_write_b128 v42, v[1:4] offset:24576
.LBB370_39:
	s_or_b32 exec_lo, exec_lo, s16
.LBB370_40:
	s_andn2_saveexec_b32 s15, s15
	s_cbranch_execz .LBB370_42
; %bb.41:
	v_lshlrev_b32_e32 v3, 3, v38
	s_clause 0x1
	global_load_dwordx2 v[1:2], v3, s[0:1]
	global_load_dwordx2 v[3:4], v3, s[2:3]
	s_waitcnt vmcnt(0)
	ds_write_b128 v42, v[1:4] offset:24576
.LBB370_42:
	s_or_b32 exec_lo, exec_lo, s15
	v_or_b32_e32 v39, 0x700, v0
	v_mov_b32_e32 v40, 0
	s_mov_b32 s15, exec_lo
	v_cmpx_le_u32_e64 s9, v39
	s_xor_b32 s15, exec_lo, s15
	s_cbranch_execz .LBB370_46
; %bb.43:
	v_cmp_gt_u64_e32 vcc_lo, s[12:13], v[39:40]
	s_and_saveexec_b32 s12, vcc_lo
	s_cbranch_execz .LBB370_45
; %bb.44:
	v_subrev_nc_u32_e32 v1, s9, v39
	v_lshlrev_b32_e32 v3, 3, v1
	s_clause 0x1
	global_load_dwordx2 v[1:2], v3, s[6:7]
	global_load_dwordx2 v[3:4], v3, s[10:11]
	s_waitcnt vmcnt(0)
	ds_write_b128 v42, v[1:4] offset:28672
.LBB370_45:
	s_or_b32 exec_lo, exec_lo, s12
.LBB370_46:
	s_or_saveexec_b32 s6, s15
	s_load_dwordx2 s[10:11], s[4:5], 0x38
	s_xor_b32 exec_lo, exec_lo, s6
	s_cbranch_execz .LBB370_48
; %bb.47:
	v_lshlrev_b32_e32 v3, 3, v39
	s_clause 0x1
	global_load_dwordx2 v[1:2], v3, s[0:1]
	global_load_dwordx2 v[3:4], v3, s[2:3]
	s_waitcnt vmcnt(0)
	ds_write_b128 v42, v[1:4] offset:28672
.LBB370_48:
	s_or_b32 exec_lo, exec_lo, s6
	v_sub_nc_u32_e64 v40, v41, s14 clamp
	v_min_u32_e32 v1, s9, v41
	s_mov_b32 s0, exec_lo
	s_waitcnt lgkmcnt(0)
	s_barrier
	buffer_gl0_inv
	v_cmpx_lt_u32_e64 v40, v1
	s_cbranch_execz .LBB370_52
; %bb.49:
	v_lshlrev_b32_e32 v2, 4, v41
	s_mov_b32 s1, 0
	v_lshl_add_u32 v2, s9, 4, v2
	.p2align	6
.LBB370_50:                             ; =>This Inner Loop Header: Depth=1
	v_add_nc_u32_e32 v3, v1, v40
	v_lshrrev_b32_e32 v7, 1, v3
	v_not_b32_e32 v3, v7
	v_lshlrev_b32_e32 v4, 4, v7
	v_lshl_add_u32 v5, v3, 4, v2
	ds_read_b64 v[3:4], v4
	ds_read_b64 v[5:6], v5
	s_waitcnt lgkmcnt(0)
	v_cmp_gt_u64_e32 vcc_lo, v[5:6], v[3:4]
	v_add_nc_u32_e32 v3, 1, v7
	v_cndmask_b32_e32 v1, v1, v7, vcc_lo
	v_cndmask_b32_e32 v40, v3, v40, vcc_lo
	v_cmp_ge_u32_e32 vcc_lo, v40, v1
	s_or_b32 s1, vcc_lo, s1
	s_andn2_b32 exec_lo, exec_lo, s1
	s_cbranch_execnz .LBB370_50
; %bb.51:
	s_or_b32 exec_lo, exec_lo, s1
.LBB370_52:
	s_or_b32 exec_lo, exec_lo, s0
	v_add_nc_u32_e32 v1, s9, v41
	s_add_i32 s14, s14, s9
	v_cmp_ge_u32_e32 vcc_lo, s9, v40
	v_mov_b32_e32 v11, 0
	v_mov_b32_e32 v3, 0
	v_sub_nc_u32_e32 v43, v1, v40
	v_mov_b32_e32 v7, 0
	v_mov_b32_e32 v23, 0
	;; [unrolled: 1-line block ×4, first 2 shown]
	v_cmp_ge_u32_e64 s0, s14, v43
	v_mov_b32_e32 v19, 0
	v_mov_b32_e32 v31, 0
	;; [unrolled: 1-line block ×26, first 2 shown]
	s_or_b32 s0, vcc_lo, s0
	s_and_saveexec_b32 s7, s0
	s_cbranch_execz .LBB370_58
; %bb.53:
	v_mov_b32_e32 v7, 0
	v_mov_b32_e32 v3, 0
	;; [unrolled: 1-line block ×6, first 2 shown]
	v_cmp_gt_u32_e32 vcc_lo, s9, v40
	s_and_saveexec_b32 s0, vcc_lo
; %bb.54:
	v_lshlrev_b32_e32 v1, 4, v40
	ds_read_b128 v[1:4], v1
; %bb.55:
	s_or_b32 exec_lo, exec_lo, s0
	v_mov_b32_e32 v5, 0
	v_cmp_le_u32_e64 s0, s14, v43
	v_mov_b32_e32 v6, 0
	s_mov_b32 s2, exec_lo
	v_cmpx_gt_u32_e64 s14, v43
; %bb.56:
	v_lshlrev_b32_e32 v5, 4, v43
	ds_read_b128 v[5:8], v5
; %bb.57:
	s_or_b32 exec_lo, exec_lo, s2
	s_waitcnt lgkmcnt(0)
	v_cmp_le_u64_e64 s1, v[5:6], v[1:2]
	v_mov_b32_e32 v61, s9
	s_and_b32 s1, vcc_lo, s1
	s_or_b32 vcc_lo, s0, s1
	v_cndmask_b32_e32 v9, v43, v40, vcc_lo
	v_cndmask_b32_e32 v10, s14, v61, vcc_lo
	v_add_nc_u32_e32 v9, 1, v9
	v_add_nc_u32_e32 v10, -1, v10
	v_min_u32_e32 v10, v9, v10
	v_lshlrev_b32_e32 v10, 4, v10
	ds_read_b128 v[11:14], v10
	v_cndmask_b32_e32 v10, v40, v9, vcc_lo
	v_cndmask_b32_e32 v9, v9, v43, vcc_lo
	v_cmp_gt_u32_e64 s1, s9, v10
	v_cmp_le_u32_e64 s2, s14, v9
	s_waitcnt lgkmcnt(0)
	v_cndmask_b32_e32 v32, v12, v6, vcc_lo
	v_cndmask_b32_e32 v31, v11, v5, vcc_lo
	;; [unrolled: 1-line block ×4, first 2 shown]
	v_cmp_le_u64_e64 s0, v[31:32], v[47:48]
	s_and_b32 s0, s1, s0
	s_or_b32 s0, s2, s0
	v_cndmask_b32_e64 v11, v9, v10, s0
	v_cndmask_b32_e64 v12, s14, v61, s0
	v_add_nc_u32_e32 v11, 1, v11
	v_add_nc_u32_e32 v12, -1, v12
	v_cndmask_b32_e64 v10, v10, v11, s0
	v_min_u32_e32 v12, v11, v12
	v_cndmask_b32_e64 v9, v11, v9, s0
	v_cmp_gt_u32_e64 s2, s9, v10
	v_lshlrev_b32_e32 v12, 4, v12
	v_cmp_le_u32_e64 s3, s14, v9
	ds_read_b128 v[15:18], v12
	s_waitcnt lgkmcnt(0)
	v_cndmask_b32_e64 v50, v16, v32, s0
	v_cndmask_b32_e64 v49, v15, v31, s0
	v_cndmask_b32_e64 v16, v48, v16, s0
	v_cndmask_b32_e64 v15, v47, v15, s0
	v_cmp_le_u64_e64 s1, v[49:50], v[15:16]
	s_and_b32 s1, s2, s1
	s_or_b32 s1, s3, s1
	v_cndmask_b32_e64 v11, v9, v10, s1
	v_cndmask_b32_e64 v12, s14, v61, s1
	v_add_nc_u32_e32 v11, 1, v11
	v_add_nc_u32_e32 v12, -1, v12
	v_cndmask_b32_e64 v10, v10, v11, s1
	v_min_u32_e32 v12, v11, v12
	v_cndmask_b32_e64 v9, v11, v9, s1
	v_cmp_gt_u32_e64 s3, s9, v10
	v_lshlrev_b32_e32 v12, 4, v12
	v_cmp_le_u32_e64 s4, s14, v9
	ds_read_b128 v[19:22], v12
	s_waitcnt lgkmcnt(0)
	v_cndmask_b32_e64 v52, v20, v50, s1
	v_cndmask_b32_e64 v51, v19, v49, s1
	v_cndmask_b32_e64 v20, v16, v20, s1
	v_cndmask_b32_e64 v19, v15, v19, s1
	;; [unrolled: 19-line block ×3, first 2 shown]
	v_cmp_le_u64_e64 s3, v[53:54], v[55:56]
	s_and_b32 s3, s4, s3
	s_or_b32 s3, s5, s3
	v_cndmask_b32_e64 v11, v9, v10, s3
	v_cndmask_b32_e64 v12, s14, v61, s3
	v_add_nc_u32_e32 v11, 1, v11
	v_add_nc_u32_e32 v12, -1, v12
	v_cndmask_b32_e64 v23, v10, v11, s3
	v_min_u32_e32 v12, v11, v12
	v_cndmask_b32_e64 v24, v11, v9, s3
	v_cndmask_b32_e32 v11, v7, v3, vcc_lo
	v_cmp_gt_u32_e64 s5, s9, v23
	v_lshlrev_b32_e32 v12, 4, v12
	v_cmp_le_u32_e64 s6, s14, v24
	ds_read_b128 v[27:30], v12
	v_cndmask_b32_e32 v12, v8, v4, vcc_lo
	s_waitcnt lgkmcnt(0)
	v_cndmask_b32_e64 v58, v28, v54, s3
	v_cndmask_b32_e64 v57, v27, v53, s3
	;; [unrolled: 1-line block ×4, first 2 shown]
	v_cmp_le_u64_e64 s4, v[57:58], v[59:60]
	s_and_b32 s4, s5, s4
	s_or_b32 s4, s6, s4
	v_cndmask_b32_e64 v9, v24, v23, s4
	v_cndmask_b32_e64 v10, s14, v61, s4
	v_add_nc_u32_e32 v27, 1, v9
	v_add_nc_u32_e32 v9, -1, v10
	v_cndmask_b32_e32 v10, v6, v2, vcc_lo
	v_cndmask_b32_e64 v2, v32, v48, s0
	v_cndmask_b32_e32 v6, v14, v8, vcc_lo
	v_cndmask_b32_e64 v40, v23, v27, s4
	v_min_u32_e32 v9, v27, v9
	v_cndmask_b32_e64 v62, v27, v24, s4
	v_cndmask_b32_e32 v8, v4, v14, vcc_lo
	v_cndmask_b32_e64 v14, v18, v6, s0
	v_cmp_gt_u32_e64 s5, s9, v40
	v_lshlrev_b32_e32 v9, 4, v9
	v_cmp_le_u32_e64 s6, s14, v62
	v_cndmask_b32_e64 v4, v6, v8, s0
	v_cndmask_b32_e64 v18, v8, v18, s0
	;; [unrolled: 1-line block ×3, first 2 shown]
	ds_read_b128 v[43:46], v9
	v_cndmask_b32_e32 v9, v5, v1, vcc_lo
	v_cndmask_b32_e64 v1, v31, v47, s0
	v_cndmask_b32_e32 v5, v13, v7, vcc_lo
	v_cndmask_b32_e32 v7, v3, v13, vcc_lo
	v_cndmask_b32_e64 v8, v14, v18, s1
	v_cndmask_b32_e64 v14, v22, v14, s1
	;; [unrolled: 1-line block ×14, first 2 shown]
	s_waitcnt lgkmcnt(0)
	v_cndmask_b32_e64 v32, v44, v58, s4
	v_cndmask_b32_e64 v31, v43, v57, s4
	;; [unrolled: 1-line block ×6, first 2 shown]
	v_cmp_le_u64_e32 vcc_lo, v[31:32], v[43:44]
	s_and_b32 s5, s5, vcc_lo
	s_or_b32 vcc_lo, s6, s5
	v_cndmask_b32_e32 v7, v62, v40, vcc_lo
	v_cndmask_b32_e32 v23, s14, v61, vcc_lo
	v_add_nc_u32_e32 v61, 1, v7
	v_add_nc_u32_e32 v15, -1, v23
	v_cndmask_b32_e64 v7, v13, v17, s1
	v_cndmask_b32_e64 v13, v21, v13, s1
	;; [unrolled: 1-line block ×4, first 2 shown]
	v_min_u32_e32 v15, v61, v15
	v_cndmask_b32_e64 v19, v16, v30, s3
	v_cndmask_b32_e32 v40, v40, v61, vcc_lo
	v_cndmask_b32_e64 v23, v13, v17, s2
	v_cndmask_b32_e64 v13, v25, v13, s2
	v_lshlrev_b32_e32 v15, 4, v15
	v_cndmask_b32_e64 v16, v18, v19, s4
	v_cndmask_b32_e32 v18, v32, v44, vcc_lo
	v_cndmask_b32_e64 v46, v19, v46, s4
	v_cmp_gt_u32_e64 s1, s9, v40
	ds_read_b128 v[47:50], v15
	v_cndmask_b32_e64 v15, v17, v25, s2
	v_cndmask_b32_e64 v17, v29, v13, s3
	v_cndmask_b32_e64 v25, v53, v55, s3
	v_cndmask_b32_e64 v20, v15, v29, s3
	v_cndmask_b32_e64 v27, v13, v15, s3
	v_cndmask_b32_e64 v51, v45, v17, s4
	v_cndmask_b32_e64 v13, v57, v59, s4
	v_cndmask_b32_e64 v15, v17, v20, s4
	v_cndmask_b32_e32 v17, v31, v43, vcc_lo
	v_cndmask_b32_e64 v45, v20, v45, s4
	v_cndmask_b32_e32 v20, v52, v46, vcc_lo
	v_cndmask_b32_e32 v19, v51, v45, vcc_lo
	s_waitcnt lgkmcnt(0)
	v_cndmask_b32_e32 v30, v48, v32, vcc_lo
	v_cndmask_b32_e32 v29, v47, v31, vcc_lo
	;; [unrolled: 1-line block ×8, first 2 shown]
	v_cmp_le_u64_e64 s0, v[29:30], v[31:32]
	v_cmp_le_u32_e64 s2, s14, v43
	v_cndmask_b32_e32 v43, v50, v52, vcc_lo
	s_and_b32 s0, s1, s0
	s_or_b32 vcc_lo, s2, s0
	v_cndmask_b32_e32 v30, v30, v32, vcc_lo
	v_cndmask_b32_e32 v29, v29, v31, vcc_lo
	;; [unrolled: 1-line block ×4, first 2 shown]
.LBB370_58:
	s_or_b32 exec_lo, exec_lo, s7
	v_lshlrev_b32_e32 v40, 2, v0
	s_mov_b32 s9, 0
	s_sub_i32 s4, s20, s8
	s_lshl_b64 s[2:3], s[8:9], 3
	v_and_b32_e32 v40, 0x3f0, v40
	s_add_u32 s0, s18, s2
	s_barrier
	buffer_gl0_inv
	s_addc_u32 s1, s19, s3
	v_lshl_add_u32 v40, v41, 4, v40
	s_add_u32 s2, s10, s2
	s_addc_u32 s3, s11, s3
	s_cmpk_gt_u32 s4, 0x7ff
	ds_write_b128 v40, v[9:12]
	ds_write_b128 v40, v[1:4] offset:16
	ds_write_b128 v40, v[5:8] offset:32
	;; [unrolled: 1-line block ×4, first 2 shown]
	v_lshrrev_b32_e32 v11, 1, v33
	v_lshrrev_b32_e32 v10, 1, v34
	;; [unrolled: 1-line block ×7, first 2 shown]
	ds_write_b128 v40, v[13:16] offset:80
	ds_write_b128 v40, v[17:20] offset:96
	;; [unrolled: 1-line block ×3, first 2 shown]
	s_waitcnt lgkmcnt(0)
	s_cbranch_scc0 .LBB370_60
; %bb.59:
	v_lshrrev_b32_e32 v1, 1, v0
	s_barrier
	buffer_gl0_inv
	v_and_b32_e32 v2, 0xf0, v11
	v_and_b32_e32 v3, 0x1f0, v10
	;; [unrolled: 1-line block ×7, first 2 shown]
	v_add_nc_u32_e32 v1, v1, v42
	v_and_b32_e32 v19, 0x3f0, v5
	v_add_co_u32 v32, s5, s0, v41
	v_add_nc_u32_e32 v43, v17, v42
	ds_read_b128 v[12:15], v1
	v_add_nc_u32_e32 v1, v2, v42
	v_add_nc_u32_e32 v2, v3, v42
	;; [unrolled: 1-line block ×6, first 2 shown]
	ds_read_b128 v[16:19], v2 offset:8192
	ds_read_b128 v[20:23], v3 offset:12288
	;; [unrolled: 1-line block ×7, first 2 shown]
	v_add_co_ci_u32_e64 v40, null, s1, 0, s5
	v_add_co_u32 v53, s5, s2, v41
	v_add_co_ci_u32_e64 v54, null, s3, 0, s5
	s_mov_b32 s9, -1
	s_waitcnt lgkmcnt(7)
	global_store_dwordx2 v41, v[12:13], s[0:1]
	global_store_dwordx2 v41, v[14:15], s[2:3]
	v_add_co_u32 v12, vcc_lo, v32, 0x1000
	v_add_co_ci_u32_e64 v13, null, 0, v40, vcc_lo
	v_add_co_u32 v14, vcc_lo, v53, 0x1000
	v_add_co_ci_u32_e64 v15, null, 0, v54, vcc_lo
	;; [unrolled: 2-line block ×3, first 2 shown]
	s_waitcnt lgkmcnt(4)
	global_store_dwordx2 v[12:13], v[24:25], off offset:-2048
	global_store_dwordx2 v[14:15], v[26:27], off offset:-2048
	global_store_dwordx2 v[12:13], v[16:17], off
	global_store_dwordx2 v[14:15], v[18:19], off
	global_store_dwordx2 v[51:52], v[20:21], off offset:-2048
	v_add_co_u32 v12, vcc_lo, v53, 0x2000
	v_add_co_ci_u32_e64 v13, null, 0, v54, vcc_lo
	v_add_co_u32 v14, vcc_lo, v32, 0x3000
	v_add_co_ci_u32_e64 v15, null, 0, v40, vcc_lo
	;; [unrolled: 2-line block ×3, first 2 shown]
	global_store_dwordx2 v[12:13], v[22:23], off offset:-2048
	s_waitcnt lgkmcnt(3)
	global_store_dwordx2 v[51:52], v[28:29], off
	global_store_dwordx2 v[12:13], v[30:31], off
	s_waitcnt lgkmcnt(2)
	global_store_dwordx2 v[14:15], v[43:44], off offset:-2048
	global_store_dwordx2 v[16:17], v[45:46], off offset:-2048
	s_waitcnt lgkmcnt(1)
	global_store_dwordx2 v[14:15], v[47:48], off
	global_store_dwordx2 v[16:17], v[49:50], off
	s_cbranch_execz .LBB370_61
	s_branch .LBB370_70
.LBB370_60:
                                        ; implicit-def: $vgpr3_vgpr4
.LBB370_61:
	s_waitcnt lgkmcnt(0)
	v_and_b32_e32 v1, 0xf0, v11
	v_and_b32_e32 v2, 0x1f0, v10
	;; [unrolled: 1-line block ×5, first 2 shown]
	v_add_nc_u32_e32 v1, v1, v42
	v_add_nc_u32_e32 v2, v2, v42
	s_barrier
	s_waitcnt_vscnt null, 0x0
	buffer_gl0_inv
	v_add_nc_u32_e32 v3, v3, v42
	ds_read_b128 v[25:28], v1 offset:4096
	ds_read_b128 v[21:24], v2 offset:8192
	v_and_b32_e32 v1, 0x3f0, v6
	v_and_b32_e32 v2, 0x3f0, v5
	v_add_nc_u32_e32 v4, v4, v42
	v_add_nc_u32_e32 v5, v7, v42
	v_add_co_u32 v31, s5, s0, v41
	v_add_nc_u32_e32 v1, v1, v42
	v_add_nc_u32_e32 v2, v2, v42
	ds_read_b128 v[17:20], v3 offset:12288
	ds_read_b128 v[13:16], v4 offset:16384
	;; [unrolled: 1-line block ×5, first 2 shown]
	v_add_co_ci_u32_e64 v32, null, s1, 0, s5
	v_add_co_u32 v29, s5, s2, v41
	v_add_co_ci_u32_e64 v30, null, s3, 0, s5
	s_mov_b32 s5, exec_lo
	v_cmpx_gt_u32_e64 s4, v0
	s_cbranch_execnz .LBB370_73
; %bb.62:
	s_or_b32 exec_lo, exec_lo, s5
	s_mov_b32 s5, exec_lo
	v_cmpx_gt_u32_e64 s4, v33
	s_cbranch_execnz .LBB370_74
.LBB370_63:
	s_or_b32 exec_lo, exec_lo, s5
	s_mov_b32 s5, exec_lo
	v_cmpx_gt_u32_e64 s4, v34
	s_cbranch_execnz .LBB370_75
.LBB370_64:
	s_or_b32 exec_lo, exec_lo, s5
	s_mov_b32 s5, exec_lo
	v_cmpx_gt_u32_e64 s4, v35
	s_cbranch_execnz .LBB370_76
.LBB370_65:
	s_or_b32 exec_lo, exec_lo, s5
	s_mov_b32 s5, exec_lo
	v_cmpx_gt_u32_e64 s4, v36
	s_cbranch_execnz .LBB370_77
.LBB370_66:
	s_or_b32 exec_lo, exec_lo, s5
	s_mov_b32 s5, exec_lo
	v_cmpx_gt_u32_e64 s4, v37
	s_cbranch_execnz .LBB370_78
.LBB370_67:
	s_or_b32 exec_lo, exec_lo, s5
	s_mov_b32 s5, exec_lo
	v_cmpx_gt_u32_e64 s4, v38
	s_cbranch_execz .LBB370_69
.LBB370_68:
	s_waitcnt lgkmcnt(2)
	v_add_co_u32 v9, vcc_lo, 0x3000, v31
	v_add_co_ci_u32_e64 v10, null, 0, v32, vcc_lo
	v_add_co_u32 v11, vcc_lo, 0x3000, v29
	v_add_co_ci_u32_e64 v12, null, 0, v30, vcc_lo
	s_waitcnt lgkmcnt(1)
	global_store_dwordx2 v[9:10], v[5:6], off
	global_store_dwordx2 v[11:12], v[7:8], off
.LBB370_69:
	s_or_b32 exec_lo, exec_lo, s5
	v_cmp_gt_u32_e64 s9, s4, v39
.LBB370_70:
	s_and_saveexec_b32 s4, s9
	s_cbranch_execnz .LBB370_72
; %bb.71:
	s_endpgm
.LBB370_72:
	v_add_co_u32 v0, s0, s0, v41
	s_waitcnt lgkmcnt(1)
	v_add_co_ci_u32_e64 v6, null, s1, 0, s0
	v_add_co_u32 v7, s0, s2, v41
	v_add_co_ci_u32_e64 v8, null, s3, 0, s0
	v_add_co_u32 v5, vcc_lo, 0x3800, v0
	v_add_co_ci_u32_e64 v6, null, 0, v6, vcc_lo
	v_add_co_u32 v7, vcc_lo, 0x3800, v7
	v_add_co_ci_u32_e64 v8, null, 0, v8, vcc_lo
	s_waitcnt lgkmcnt(0)
	global_store_dwordx2 v[5:6], v[1:2], off
	global_store_dwordx2 v[7:8], v[3:4], off
	s_endpgm
.LBB370_73:
	v_lshrrev_b32_e32 v40, 1, v0
	v_and_b32_e32 v40, 0x70, v40
	v_lshl_add_u32 v0, v0, 4, v40
	ds_read_b128 v[42:45], v0
	s_waitcnt lgkmcnt(0)
	global_store_dwordx2 v[31:32], v[42:43], off
	global_store_dwordx2 v[29:30], v[44:45], off
	s_or_b32 exec_lo, exec_lo, s5
	s_mov_b32 s5, exec_lo
	v_cmpx_gt_u32_e64 s4, v33
	s_cbranch_execz .LBB370_63
.LBB370_74:
	v_add_co_u32 v42, vcc_lo, 0x800, v31
	v_add_co_ci_u32_e64 v43, null, 0, v32, vcc_lo
	v_add_co_u32 v44, vcc_lo, 0x800, v29
	v_add_co_ci_u32_e64 v45, null, 0, v30, vcc_lo
	s_waitcnt lgkmcnt(6)
	global_store_dwordx2 v[42:43], v[25:26], off
	global_store_dwordx2 v[44:45], v[27:28], off
	s_or_b32 exec_lo, exec_lo, s5
	s_mov_b32 s5, exec_lo
	v_cmpx_gt_u32_e64 s4, v34
	s_cbranch_execz .LBB370_64
.LBB370_75:
	s_waitcnt lgkmcnt(6)
	v_add_co_u32 v25, vcc_lo, 0x1000, v31
	v_add_co_ci_u32_e64 v26, null, 0, v32, vcc_lo
	v_add_co_u32 v27, vcc_lo, 0x1000, v29
	v_add_co_ci_u32_e64 v28, null, 0, v30, vcc_lo
	s_waitcnt lgkmcnt(5)
	global_store_dwordx2 v[25:26], v[21:22], off
	global_store_dwordx2 v[27:28], v[23:24], off
	s_or_b32 exec_lo, exec_lo, s5
	s_mov_b32 s5, exec_lo
	v_cmpx_gt_u32_e64 s4, v35
	s_cbranch_execz .LBB370_65
.LBB370_76:
	s_waitcnt lgkmcnt(5)
	v_add_co_u32 v21, vcc_lo, 0x1800, v31
	v_add_co_ci_u32_e64 v22, null, 0, v32, vcc_lo
	v_add_co_u32 v23, vcc_lo, 0x1800, v29
	v_add_co_ci_u32_e64 v24, null, 0, v30, vcc_lo
	s_waitcnt lgkmcnt(4)
	global_store_dwordx2 v[21:22], v[17:18], off
	global_store_dwordx2 v[23:24], v[19:20], off
	s_or_b32 exec_lo, exec_lo, s5
	s_mov_b32 s5, exec_lo
	v_cmpx_gt_u32_e64 s4, v36
	s_cbranch_execz .LBB370_66
.LBB370_77:
	s_waitcnt lgkmcnt(4)
	v_add_co_u32 v17, vcc_lo, 0x2000, v31
	v_add_co_ci_u32_e64 v18, null, 0, v32, vcc_lo
	v_add_co_u32 v19, vcc_lo, 0x2000, v29
	v_add_co_ci_u32_e64 v20, null, 0, v30, vcc_lo
	s_waitcnt lgkmcnt(3)
	global_store_dwordx2 v[17:18], v[13:14], off
	global_store_dwordx2 v[19:20], v[15:16], off
	s_or_b32 exec_lo, exec_lo, s5
	s_mov_b32 s5, exec_lo
	v_cmpx_gt_u32_e64 s4, v37
	s_cbranch_execz .LBB370_67
.LBB370_78:
	s_waitcnt lgkmcnt(3)
	v_add_co_u32 v13, vcc_lo, 0x2800, v31
	v_add_co_ci_u32_e64 v14, null, 0, v32, vcc_lo
	v_add_co_u32 v15, vcc_lo, 0x2800, v29
	v_add_co_ci_u32_e64 v16, null, 0, v30, vcc_lo
	s_waitcnt lgkmcnt(2)
	global_store_dwordx2 v[13:14], v[9:10], off
	global_store_dwordx2 v[15:16], v[11:12], off
	s_or_b32 exec_lo, exec_lo, s5
	s_mov_b32 s5, exec_lo
	v_cmpx_gt_u32_e64 s4, v38
	s_cbranch_execnz .LBB370_68
	s_branch .LBB370_69
	.section	.rodata,"a",@progbits
	.p2align	6, 0x0
	.amdhsa_kernel _ZN7rocprim17ROCPRIM_400000_NS6detail17trampoline_kernelINS0_14default_configENS1_21merge_config_selectorINS0_5tupleIJyyEEENS0_10empty_typeEEEZNS1_10merge_implIS3_NS0_12zip_iteratorINS5_IJN6thrust23THRUST_200600_302600_NS6detail15normal_iteratorINSC_10device_ptrIKyEEEESI_EEEEESK_NSA_INS5_IJNSE_INSF_IyEEEESM_EEEEEPS7_SP_SP_NSC_11hip_rocprim7__merge17predicate_wrapperIyyNSC_7greaterImEEEEEE10hipError_tPvRmT0_T1_T2_T3_T4_T5_mmT6_P12ihipStream_tbEUlT_E0_NS1_11comp_targetILNS1_3genE8ELNS1_11target_archE1030ELNS1_3gpuE2ELNS1_3repE0EEENS1_30default_config_static_selectorELNS0_4arch9wavefront6targetE0EEEvS10_
		.amdhsa_group_segment_fixed_size 33792
		.amdhsa_private_segment_fixed_size 0
		.amdhsa_kernarg_size 112
		.amdhsa_user_sgpr_count 6
		.amdhsa_user_sgpr_private_segment_buffer 1
		.amdhsa_user_sgpr_dispatch_ptr 0
		.amdhsa_user_sgpr_queue_ptr 0
		.amdhsa_user_sgpr_kernarg_segment_ptr 1
		.amdhsa_user_sgpr_dispatch_id 0
		.amdhsa_user_sgpr_flat_scratch_init 0
		.amdhsa_user_sgpr_private_segment_size 0
		.amdhsa_wavefront_size32 1
		.amdhsa_uses_dynamic_stack 0
		.amdhsa_system_sgpr_private_segment_wavefront_offset 0
		.amdhsa_system_sgpr_workgroup_id_x 1
		.amdhsa_system_sgpr_workgroup_id_y 0
		.amdhsa_system_sgpr_workgroup_id_z 0
		.amdhsa_system_sgpr_workgroup_info 0
		.amdhsa_system_vgpr_workitem_id 0
		.amdhsa_next_free_vgpr 145
		.amdhsa_next_free_sgpr 26
		.amdhsa_reserve_vcc 1
		.amdhsa_reserve_flat_scratch 0
		.amdhsa_float_round_mode_32 0
		.amdhsa_float_round_mode_16_64 0
		.amdhsa_float_denorm_mode_32 3
		.amdhsa_float_denorm_mode_16_64 3
		.amdhsa_dx10_clamp 1
		.amdhsa_ieee_mode 1
		.amdhsa_fp16_overflow 0
		.amdhsa_workgroup_processor_mode 1
		.amdhsa_memory_ordered 1
		.amdhsa_forward_progress 1
		.amdhsa_shared_vgpr_count 0
		.amdhsa_exception_fp_ieee_invalid_op 0
		.amdhsa_exception_fp_denorm_src 0
		.amdhsa_exception_fp_ieee_div_zero 0
		.amdhsa_exception_fp_ieee_overflow 0
		.amdhsa_exception_fp_ieee_underflow 0
		.amdhsa_exception_fp_ieee_inexact 0
		.amdhsa_exception_int_div_zero 0
	.end_amdhsa_kernel
	.section	.text._ZN7rocprim17ROCPRIM_400000_NS6detail17trampoline_kernelINS0_14default_configENS1_21merge_config_selectorINS0_5tupleIJyyEEENS0_10empty_typeEEEZNS1_10merge_implIS3_NS0_12zip_iteratorINS5_IJN6thrust23THRUST_200600_302600_NS6detail15normal_iteratorINSC_10device_ptrIKyEEEESI_EEEEESK_NSA_INS5_IJNSE_INSF_IyEEEESM_EEEEEPS7_SP_SP_NSC_11hip_rocprim7__merge17predicate_wrapperIyyNSC_7greaterImEEEEEE10hipError_tPvRmT0_T1_T2_T3_T4_T5_mmT6_P12ihipStream_tbEUlT_E0_NS1_11comp_targetILNS1_3genE8ELNS1_11target_archE1030ELNS1_3gpuE2ELNS1_3repE0EEENS1_30default_config_static_selectorELNS0_4arch9wavefront6targetE0EEEvS10_,"axG",@progbits,_ZN7rocprim17ROCPRIM_400000_NS6detail17trampoline_kernelINS0_14default_configENS1_21merge_config_selectorINS0_5tupleIJyyEEENS0_10empty_typeEEEZNS1_10merge_implIS3_NS0_12zip_iteratorINS5_IJN6thrust23THRUST_200600_302600_NS6detail15normal_iteratorINSC_10device_ptrIKyEEEESI_EEEEESK_NSA_INS5_IJNSE_INSF_IyEEEESM_EEEEEPS7_SP_SP_NSC_11hip_rocprim7__merge17predicate_wrapperIyyNSC_7greaterImEEEEEE10hipError_tPvRmT0_T1_T2_T3_T4_T5_mmT6_P12ihipStream_tbEUlT_E0_NS1_11comp_targetILNS1_3genE8ELNS1_11target_archE1030ELNS1_3gpuE2ELNS1_3repE0EEENS1_30default_config_static_selectorELNS0_4arch9wavefront6targetE0EEEvS10_,comdat
.Lfunc_end370:
	.size	_ZN7rocprim17ROCPRIM_400000_NS6detail17trampoline_kernelINS0_14default_configENS1_21merge_config_selectorINS0_5tupleIJyyEEENS0_10empty_typeEEEZNS1_10merge_implIS3_NS0_12zip_iteratorINS5_IJN6thrust23THRUST_200600_302600_NS6detail15normal_iteratorINSC_10device_ptrIKyEEEESI_EEEEESK_NSA_INS5_IJNSE_INSF_IyEEEESM_EEEEEPS7_SP_SP_NSC_11hip_rocprim7__merge17predicate_wrapperIyyNSC_7greaterImEEEEEE10hipError_tPvRmT0_T1_T2_T3_T4_T5_mmT6_P12ihipStream_tbEUlT_E0_NS1_11comp_targetILNS1_3genE8ELNS1_11target_archE1030ELNS1_3gpuE2ELNS1_3repE0EEENS1_30default_config_static_selectorELNS0_4arch9wavefront6targetE0EEEvS10_, .Lfunc_end370-_ZN7rocprim17ROCPRIM_400000_NS6detail17trampoline_kernelINS0_14default_configENS1_21merge_config_selectorINS0_5tupleIJyyEEENS0_10empty_typeEEEZNS1_10merge_implIS3_NS0_12zip_iteratorINS5_IJN6thrust23THRUST_200600_302600_NS6detail15normal_iteratorINSC_10device_ptrIKyEEEESI_EEEEESK_NSA_INS5_IJNSE_INSF_IyEEEESM_EEEEEPS7_SP_SP_NSC_11hip_rocprim7__merge17predicate_wrapperIyyNSC_7greaterImEEEEEE10hipError_tPvRmT0_T1_T2_T3_T4_T5_mmT6_P12ihipStream_tbEUlT_E0_NS1_11comp_targetILNS1_3genE8ELNS1_11target_archE1030ELNS1_3gpuE2ELNS1_3repE0EEENS1_30default_config_static_selectorELNS0_4arch9wavefront6targetE0EEEvS10_
                                        ; -- End function
	.set _ZN7rocprim17ROCPRIM_400000_NS6detail17trampoline_kernelINS0_14default_configENS1_21merge_config_selectorINS0_5tupleIJyyEEENS0_10empty_typeEEEZNS1_10merge_implIS3_NS0_12zip_iteratorINS5_IJN6thrust23THRUST_200600_302600_NS6detail15normal_iteratorINSC_10device_ptrIKyEEEESI_EEEEESK_NSA_INS5_IJNSE_INSF_IyEEEESM_EEEEEPS7_SP_SP_NSC_11hip_rocprim7__merge17predicate_wrapperIyyNSC_7greaterImEEEEEE10hipError_tPvRmT0_T1_T2_T3_T4_T5_mmT6_P12ihipStream_tbEUlT_E0_NS1_11comp_targetILNS1_3genE8ELNS1_11target_archE1030ELNS1_3gpuE2ELNS1_3repE0EEENS1_30default_config_static_selectorELNS0_4arch9wavefront6targetE0EEEvS10_.num_vgpr, 63
	.set _ZN7rocprim17ROCPRIM_400000_NS6detail17trampoline_kernelINS0_14default_configENS1_21merge_config_selectorINS0_5tupleIJyyEEENS0_10empty_typeEEEZNS1_10merge_implIS3_NS0_12zip_iteratorINS5_IJN6thrust23THRUST_200600_302600_NS6detail15normal_iteratorINSC_10device_ptrIKyEEEESI_EEEEESK_NSA_INS5_IJNSE_INSF_IyEEEESM_EEEEEPS7_SP_SP_NSC_11hip_rocprim7__merge17predicate_wrapperIyyNSC_7greaterImEEEEEE10hipError_tPvRmT0_T1_T2_T3_T4_T5_mmT6_P12ihipStream_tbEUlT_E0_NS1_11comp_targetILNS1_3genE8ELNS1_11target_archE1030ELNS1_3gpuE2ELNS1_3repE0EEENS1_30default_config_static_selectorELNS0_4arch9wavefront6targetE0EEEvS10_.num_agpr, 0
	.set _ZN7rocprim17ROCPRIM_400000_NS6detail17trampoline_kernelINS0_14default_configENS1_21merge_config_selectorINS0_5tupleIJyyEEENS0_10empty_typeEEEZNS1_10merge_implIS3_NS0_12zip_iteratorINS5_IJN6thrust23THRUST_200600_302600_NS6detail15normal_iteratorINSC_10device_ptrIKyEEEESI_EEEEESK_NSA_INS5_IJNSE_INSF_IyEEEESM_EEEEEPS7_SP_SP_NSC_11hip_rocprim7__merge17predicate_wrapperIyyNSC_7greaterImEEEEEE10hipError_tPvRmT0_T1_T2_T3_T4_T5_mmT6_P12ihipStream_tbEUlT_E0_NS1_11comp_targetILNS1_3genE8ELNS1_11target_archE1030ELNS1_3gpuE2ELNS1_3repE0EEENS1_30default_config_static_selectorELNS0_4arch9wavefront6targetE0EEEvS10_.numbered_sgpr, 26
	.set _ZN7rocprim17ROCPRIM_400000_NS6detail17trampoline_kernelINS0_14default_configENS1_21merge_config_selectorINS0_5tupleIJyyEEENS0_10empty_typeEEEZNS1_10merge_implIS3_NS0_12zip_iteratorINS5_IJN6thrust23THRUST_200600_302600_NS6detail15normal_iteratorINSC_10device_ptrIKyEEEESI_EEEEESK_NSA_INS5_IJNSE_INSF_IyEEEESM_EEEEEPS7_SP_SP_NSC_11hip_rocprim7__merge17predicate_wrapperIyyNSC_7greaterImEEEEEE10hipError_tPvRmT0_T1_T2_T3_T4_T5_mmT6_P12ihipStream_tbEUlT_E0_NS1_11comp_targetILNS1_3genE8ELNS1_11target_archE1030ELNS1_3gpuE2ELNS1_3repE0EEENS1_30default_config_static_selectorELNS0_4arch9wavefront6targetE0EEEvS10_.num_named_barrier, 0
	.set _ZN7rocprim17ROCPRIM_400000_NS6detail17trampoline_kernelINS0_14default_configENS1_21merge_config_selectorINS0_5tupleIJyyEEENS0_10empty_typeEEEZNS1_10merge_implIS3_NS0_12zip_iteratorINS5_IJN6thrust23THRUST_200600_302600_NS6detail15normal_iteratorINSC_10device_ptrIKyEEEESI_EEEEESK_NSA_INS5_IJNSE_INSF_IyEEEESM_EEEEEPS7_SP_SP_NSC_11hip_rocprim7__merge17predicate_wrapperIyyNSC_7greaterImEEEEEE10hipError_tPvRmT0_T1_T2_T3_T4_T5_mmT6_P12ihipStream_tbEUlT_E0_NS1_11comp_targetILNS1_3genE8ELNS1_11target_archE1030ELNS1_3gpuE2ELNS1_3repE0EEENS1_30default_config_static_selectorELNS0_4arch9wavefront6targetE0EEEvS10_.private_seg_size, 0
	.set _ZN7rocprim17ROCPRIM_400000_NS6detail17trampoline_kernelINS0_14default_configENS1_21merge_config_selectorINS0_5tupleIJyyEEENS0_10empty_typeEEEZNS1_10merge_implIS3_NS0_12zip_iteratorINS5_IJN6thrust23THRUST_200600_302600_NS6detail15normal_iteratorINSC_10device_ptrIKyEEEESI_EEEEESK_NSA_INS5_IJNSE_INSF_IyEEEESM_EEEEEPS7_SP_SP_NSC_11hip_rocprim7__merge17predicate_wrapperIyyNSC_7greaterImEEEEEE10hipError_tPvRmT0_T1_T2_T3_T4_T5_mmT6_P12ihipStream_tbEUlT_E0_NS1_11comp_targetILNS1_3genE8ELNS1_11target_archE1030ELNS1_3gpuE2ELNS1_3repE0EEENS1_30default_config_static_selectorELNS0_4arch9wavefront6targetE0EEEvS10_.uses_vcc, 1
	.set _ZN7rocprim17ROCPRIM_400000_NS6detail17trampoline_kernelINS0_14default_configENS1_21merge_config_selectorINS0_5tupleIJyyEEENS0_10empty_typeEEEZNS1_10merge_implIS3_NS0_12zip_iteratorINS5_IJN6thrust23THRUST_200600_302600_NS6detail15normal_iteratorINSC_10device_ptrIKyEEEESI_EEEEESK_NSA_INS5_IJNSE_INSF_IyEEEESM_EEEEEPS7_SP_SP_NSC_11hip_rocprim7__merge17predicate_wrapperIyyNSC_7greaterImEEEEEE10hipError_tPvRmT0_T1_T2_T3_T4_T5_mmT6_P12ihipStream_tbEUlT_E0_NS1_11comp_targetILNS1_3genE8ELNS1_11target_archE1030ELNS1_3gpuE2ELNS1_3repE0EEENS1_30default_config_static_selectorELNS0_4arch9wavefront6targetE0EEEvS10_.uses_flat_scratch, 0
	.set _ZN7rocprim17ROCPRIM_400000_NS6detail17trampoline_kernelINS0_14default_configENS1_21merge_config_selectorINS0_5tupleIJyyEEENS0_10empty_typeEEEZNS1_10merge_implIS3_NS0_12zip_iteratorINS5_IJN6thrust23THRUST_200600_302600_NS6detail15normal_iteratorINSC_10device_ptrIKyEEEESI_EEEEESK_NSA_INS5_IJNSE_INSF_IyEEEESM_EEEEEPS7_SP_SP_NSC_11hip_rocprim7__merge17predicate_wrapperIyyNSC_7greaterImEEEEEE10hipError_tPvRmT0_T1_T2_T3_T4_T5_mmT6_P12ihipStream_tbEUlT_E0_NS1_11comp_targetILNS1_3genE8ELNS1_11target_archE1030ELNS1_3gpuE2ELNS1_3repE0EEENS1_30default_config_static_selectorELNS0_4arch9wavefront6targetE0EEEvS10_.has_dyn_sized_stack, 0
	.set _ZN7rocprim17ROCPRIM_400000_NS6detail17trampoline_kernelINS0_14default_configENS1_21merge_config_selectorINS0_5tupleIJyyEEENS0_10empty_typeEEEZNS1_10merge_implIS3_NS0_12zip_iteratorINS5_IJN6thrust23THRUST_200600_302600_NS6detail15normal_iteratorINSC_10device_ptrIKyEEEESI_EEEEESK_NSA_INS5_IJNSE_INSF_IyEEEESM_EEEEEPS7_SP_SP_NSC_11hip_rocprim7__merge17predicate_wrapperIyyNSC_7greaterImEEEEEE10hipError_tPvRmT0_T1_T2_T3_T4_T5_mmT6_P12ihipStream_tbEUlT_E0_NS1_11comp_targetILNS1_3genE8ELNS1_11target_archE1030ELNS1_3gpuE2ELNS1_3repE0EEENS1_30default_config_static_selectorELNS0_4arch9wavefront6targetE0EEEvS10_.has_recursion, 0
	.set _ZN7rocprim17ROCPRIM_400000_NS6detail17trampoline_kernelINS0_14default_configENS1_21merge_config_selectorINS0_5tupleIJyyEEENS0_10empty_typeEEEZNS1_10merge_implIS3_NS0_12zip_iteratorINS5_IJN6thrust23THRUST_200600_302600_NS6detail15normal_iteratorINSC_10device_ptrIKyEEEESI_EEEEESK_NSA_INS5_IJNSE_INSF_IyEEEESM_EEEEEPS7_SP_SP_NSC_11hip_rocprim7__merge17predicate_wrapperIyyNSC_7greaterImEEEEEE10hipError_tPvRmT0_T1_T2_T3_T4_T5_mmT6_P12ihipStream_tbEUlT_E0_NS1_11comp_targetILNS1_3genE8ELNS1_11target_archE1030ELNS1_3gpuE2ELNS1_3repE0EEENS1_30default_config_static_selectorELNS0_4arch9wavefront6targetE0EEEvS10_.has_indirect_call, 0
	.section	.AMDGPU.csdata,"",@progbits
; Kernel info:
; codeLenInByte = 4616
; TotalNumSgprs: 28
; NumVgprs: 63
; ScratchSize: 0
; MemoryBound: 0
; FloatMode: 240
; IeeeMode: 1
; LDSByteSize: 33792 bytes/workgroup (compile time only)
; SGPRBlocks: 0
; VGPRBlocks: 18
; NumSGPRsForWavesPerEU: 28
; NumVGPRsForWavesPerEU: 145
; Occupancy: 6
; WaveLimiterHint : 1
; COMPUTE_PGM_RSRC2:SCRATCH_EN: 0
; COMPUTE_PGM_RSRC2:USER_SGPR: 6
; COMPUTE_PGM_RSRC2:TRAP_HANDLER: 0
; COMPUTE_PGM_RSRC2:TGID_X_EN: 1
; COMPUTE_PGM_RSRC2:TGID_Y_EN: 0
; COMPUTE_PGM_RSRC2:TGID_Z_EN: 0
; COMPUTE_PGM_RSRC2:TIDIG_COMP_CNT: 0
	.section	.text._ZN7rocprim17ROCPRIM_400000_NS6detail17trampoline_kernelINS0_14default_configENS1_21merge_config_selectorINS0_5tupleIJjjEEENS0_10empty_typeEEEZNS1_10merge_implIS3_NS0_12zip_iteratorINS5_IJN6thrust23THRUST_200600_302600_NS6detail15normal_iteratorINSC_10device_ptrIKjEEEESI_EEEEESK_NSA_INS5_IJNSE_INSF_IjEEEESM_EEEEEPS7_SP_SP_NSC_11hip_rocprim7__merge17predicate_wrapperIjjNSC_7greaterIjEEEEEE10hipError_tPvRmT0_T1_T2_T3_T4_T5_mmT6_P12ihipStream_tbEUlT_E_NS1_11comp_targetILNS1_3genE0ELNS1_11target_archE4294967295ELNS1_3gpuE0ELNS1_3repE0EEENS1_30default_config_static_selectorELNS0_4arch9wavefront6targetE0EEEvS10_,"axG",@progbits,_ZN7rocprim17ROCPRIM_400000_NS6detail17trampoline_kernelINS0_14default_configENS1_21merge_config_selectorINS0_5tupleIJjjEEENS0_10empty_typeEEEZNS1_10merge_implIS3_NS0_12zip_iteratorINS5_IJN6thrust23THRUST_200600_302600_NS6detail15normal_iteratorINSC_10device_ptrIKjEEEESI_EEEEESK_NSA_INS5_IJNSE_INSF_IjEEEESM_EEEEEPS7_SP_SP_NSC_11hip_rocprim7__merge17predicate_wrapperIjjNSC_7greaterIjEEEEEE10hipError_tPvRmT0_T1_T2_T3_T4_T5_mmT6_P12ihipStream_tbEUlT_E_NS1_11comp_targetILNS1_3genE0ELNS1_11target_archE4294967295ELNS1_3gpuE0ELNS1_3repE0EEENS1_30default_config_static_selectorELNS0_4arch9wavefront6targetE0EEEvS10_,comdat
	.protected	_ZN7rocprim17ROCPRIM_400000_NS6detail17trampoline_kernelINS0_14default_configENS1_21merge_config_selectorINS0_5tupleIJjjEEENS0_10empty_typeEEEZNS1_10merge_implIS3_NS0_12zip_iteratorINS5_IJN6thrust23THRUST_200600_302600_NS6detail15normal_iteratorINSC_10device_ptrIKjEEEESI_EEEEESK_NSA_INS5_IJNSE_INSF_IjEEEESM_EEEEEPS7_SP_SP_NSC_11hip_rocprim7__merge17predicate_wrapperIjjNSC_7greaterIjEEEEEE10hipError_tPvRmT0_T1_T2_T3_T4_T5_mmT6_P12ihipStream_tbEUlT_E_NS1_11comp_targetILNS1_3genE0ELNS1_11target_archE4294967295ELNS1_3gpuE0ELNS1_3repE0EEENS1_30default_config_static_selectorELNS0_4arch9wavefront6targetE0EEEvS10_ ; -- Begin function _ZN7rocprim17ROCPRIM_400000_NS6detail17trampoline_kernelINS0_14default_configENS1_21merge_config_selectorINS0_5tupleIJjjEEENS0_10empty_typeEEEZNS1_10merge_implIS3_NS0_12zip_iteratorINS5_IJN6thrust23THRUST_200600_302600_NS6detail15normal_iteratorINSC_10device_ptrIKjEEEESI_EEEEESK_NSA_INS5_IJNSE_INSF_IjEEEESM_EEEEEPS7_SP_SP_NSC_11hip_rocprim7__merge17predicate_wrapperIjjNSC_7greaterIjEEEEEE10hipError_tPvRmT0_T1_T2_T3_T4_T5_mmT6_P12ihipStream_tbEUlT_E_NS1_11comp_targetILNS1_3genE0ELNS1_11target_archE4294967295ELNS1_3gpuE0ELNS1_3repE0EEENS1_30default_config_static_selectorELNS0_4arch9wavefront6targetE0EEEvS10_
	.globl	_ZN7rocprim17ROCPRIM_400000_NS6detail17trampoline_kernelINS0_14default_configENS1_21merge_config_selectorINS0_5tupleIJjjEEENS0_10empty_typeEEEZNS1_10merge_implIS3_NS0_12zip_iteratorINS5_IJN6thrust23THRUST_200600_302600_NS6detail15normal_iteratorINSC_10device_ptrIKjEEEESI_EEEEESK_NSA_INS5_IJNSE_INSF_IjEEEESM_EEEEEPS7_SP_SP_NSC_11hip_rocprim7__merge17predicate_wrapperIjjNSC_7greaterIjEEEEEE10hipError_tPvRmT0_T1_T2_T3_T4_T5_mmT6_P12ihipStream_tbEUlT_E_NS1_11comp_targetILNS1_3genE0ELNS1_11target_archE4294967295ELNS1_3gpuE0ELNS1_3repE0EEENS1_30default_config_static_selectorELNS0_4arch9wavefront6targetE0EEEvS10_
	.p2align	8
	.type	_ZN7rocprim17ROCPRIM_400000_NS6detail17trampoline_kernelINS0_14default_configENS1_21merge_config_selectorINS0_5tupleIJjjEEENS0_10empty_typeEEEZNS1_10merge_implIS3_NS0_12zip_iteratorINS5_IJN6thrust23THRUST_200600_302600_NS6detail15normal_iteratorINSC_10device_ptrIKjEEEESI_EEEEESK_NSA_INS5_IJNSE_INSF_IjEEEESM_EEEEEPS7_SP_SP_NSC_11hip_rocprim7__merge17predicate_wrapperIjjNSC_7greaterIjEEEEEE10hipError_tPvRmT0_T1_T2_T3_T4_T5_mmT6_P12ihipStream_tbEUlT_E_NS1_11comp_targetILNS1_3genE0ELNS1_11target_archE4294967295ELNS1_3gpuE0ELNS1_3repE0EEENS1_30default_config_static_selectorELNS0_4arch9wavefront6targetE0EEEvS10_,@function
_ZN7rocprim17ROCPRIM_400000_NS6detail17trampoline_kernelINS0_14default_configENS1_21merge_config_selectorINS0_5tupleIJjjEEENS0_10empty_typeEEEZNS1_10merge_implIS3_NS0_12zip_iteratorINS5_IJN6thrust23THRUST_200600_302600_NS6detail15normal_iteratorINSC_10device_ptrIKjEEEESI_EEEEESK_NSA_INS5_IJNSE_INSF_IjEEEESM_EEEEEPS7_SP_SP_NSC_11hip_rocprim7__merge17predicate_wrapperIjjNSC_7greaterIjEEEEEE10hipError_tPvRmT0_T1_T2_T3_T4_T5_mmT6_P12ihipStream_tbEUlT_E_NS1_11comp_targetILNS1_3genE0ELNS1_11target_archE4294967295ELNS1_3gpuE0ELNS1_3repE0EEENS1_30default_config_static_selectorELNS0_4arch9wavefront6targetE0EEEvS10_: ; @_ZN7rocprim17ROCPRIM_400000_NS6detail17trampoline_kernelINS0_14default_configENS1_21merge_config_selectorINS0_5tupleIJjjEEENS0_10empty_typeEEEZNS1_10merge_implIS3_NS0_12zip_iteratorINS5_IJN6thrust23THRUST_200600_302600_NS6detail15normal_iteratorINSC_10device_ptrIKjEEEESI_EEEEESK_NSA_INS5_IJNSE_INSF_IjEEEESM_EEEEEPS7_SP_SP_NSC_11hip_rocprim7__merge17predicate_wrapperIjjNSC_7greaterIjEEEEEE10hipError_tPvRmT0_T1_T2_T3_T4_T5_mmT6_P12ihipStream_tbEUlT_E_NS1_11comp_targetILNS1_3genE0ELNS1_11target_archE4294967295ELNS1_3gpuE0ELNS1_3repE0EEENS1_30default_config_static_selectorELNS0_4arch9wavefront6targetE0EEEvS10_
; %bb.0:
	.section	.rodata,"a",@progbits
	.p2align	6, 0x0
	.amdhsa_kernel _ZN7rocprim17ROCPRIM_400000_NS6detail17trampoline_kernelINS0_14default_configENS1_21merge_config_selectorINS0_5tupleIJjjEEENS0_10empty_typeEEEZNS1_10merge_implIS3_NS0_12zip_iteratorINS5_IJN6thrust23THRUST_200600_302600_NS6detail15normal_iteratorINSC_10device_ptrIKjEEEESI_EEEEESK_NSA_INS5_IJNSE_INSF_IjEEEESM_EEEEEPS7_SP_SP_NSC_11hip_rocprim7__merge17predicate_wrapperIjjNSC_7greaterIjEEEEEE10hipError_tPvRmT0_T1_T2_T3_T4_T5_mmT6_P12ihipStream_tbEUlT_E_NS1_11comp_targetILNS1_3genE0ELNS1_11target_archE4294967295ELNS1_3gpuE0ELNS1_3repE0EEENS1_30default_config_static_selectorELNS0_4arch9wavefront6targetE0EEEvS10_
		.amdhsa_group_segment_fixed_size 0
		.amdhsa_private_segment_fixed_size 0
		.amdhsa_kernarg_size 64
		.amdhsa_user_sgpr_count 6
		.amdhsa_user_sgpr_private_segment_buffer 1
		.amdhsa_user_sgpr_dispatch_ptr 0
		.amdhsa_user_sgpr_queue_ptr 0
		.amdhsa_user_sgpr_kernarg_segment_ptr 1
		.amdhsa_user_sgpr_dispatch_id 0
		.amdhsa_user_sgpr_flat_scratch_init 0
		.amdhsa_user_sgpr_private_segment_size 0
		.amdhsa_wavefront_size32 1
		.amdhsa_uses_dynamic_stack 0
		.amdhsa_system_sgpr_private_segment_wavefront_offset 0
		.amdhsa_system_sgpr_workgroup_id_x 1
		.amdhsa_system_sgpr_workgroup_id_y 0
		.amdhsa_system_sgpr_workgroup_id_z 0
		.amdhsa_system_sgpr_workgroup_info 0
		.amdhsa_system_vgpr_workitem_id 0
		.amdhsa_next_free_vgpr 1
		.amdhsa_next_free_sgpr 1
		.amdhsa_reserve_vcc 0
		.amdhsa_reserve_flat_scratch 0
		.amdhsa_float_round_mode_32 0
		.amdhsa_float_round_mode_16_64 0
		.amdhsa_float_denorm_mode_32 3
		.amdhsa_float_denorm_mode_16_64 3
		.amdhsa_dx10_clamp 1
		.amdhsa_ieee_mode 1
		.amdhsa_fp16_overflow 0
		.amdhsa_workgroup_processor_mode 1
		.amdhsa_memory_ordered 1
		.amdhsa_forward_progress 1
		.amdhsa_shared_vgpr_count 0
		.amdhsa_exception_fp_ieee_invalid_op 0
		.amdhsa_exception_fp_denorm_src 0
		.amdhsa_exception_fp_ieee_div_zero 0
		.amdhsa_exception_fp_ieee_overflow 0
		.amdhsa_exception_fp_ieee_underflow 0
		.amdhsa_exception_fp_ieee_inexact 0
		.amdhsa_exception_int_div_zero 0
	.end_amdhsa_kernel
	.section	.text._ZN7rocprim17ROCPRIM_400000_NS6detail17trampoline_kernelINS0_14default_configENS1_21merge_config_selectorINS0_5tupleIJjjEEENS0_10empty_typeEEEZNS1_10merge_implIS3_NS0_12zip_iteratorINS5_IJN6thrust23THRUST_200600_302600_NS6detail15normal_iteratorINSC_10device_ptrIKjEEEESI_EEEEESK_NSA_INS5_IJNSE_INSF_IjEEEESM_EEEEEPS7_SP_SP_NSC_11hip_rocprim7__merge17predicate_wrapperIjjNSC_7greaterIjEEEEEE10hipError_tPvRmT0_T1_T2_T3_T4_T5_mmT6_P12ihipStream_tbEUlT_E_NS1_11comp_targetILNS1_3genE0ELNS1_11target_archE4294967295ELNS1_3gpuE0ELNS1_3repE0EEENS1_30default_config_static_selectorELNS0_4arch9wavefront6targetE0EEEvS10_,"axG",@progbits,_ZN7rocprim17ROCPRIM_400000_NS6detail17trampoline_kernelINS0_14default_configENS1_21merge_config_selectorINS0_5tupleIJjjEEENS0_10empty_typeEEEZNS1_10merge_implIS3_NS0_12zip_iteratorINS5_IJN6thrust23THRUST_200600_302600_NS6detail15normal_iteratorINSC_10device_ptrIKjEEEESI_EEEEESK_NSA_INS5_IJNSE_INSF_IjEEEESM_EEEEEPS7_SP_SP_NSC_11hip_rocprim7__merge17predicate_wrapperIjjNSC_7greaterIjEEEEEE10hipError_tPvRmT0_T1_T2_T3_T4_T5_mmT6_P12ihipStream_tbEUlT_E_NS1_11comp_targetILNS1_3genE0ELNS1_11target_archE4294967295ELNS1_3gpuE0ELNS1_3repE0EEENS1_30default_config_static_selectorELNS0_4arch9wavefront6targetE0EEEvS10_,comdat
.Lfunc_end371:
	.size	_ZN7rocprim17ROCPRIM_400000_NS6detail17trampoline_kernelINS0_14default_configENS1_21merge_config_selectorINS0_5tupleIJjjEEENS0_10empty_typeEEEZNS1_10merge_implIS3_NS0_12zip_iteratorINS5_IJN6thrust23THRUST_200600_302600_NS6detail15normal_iteratorINSC_10device_ptrIKjEEEESI_EEEEESK_NSA_INS5_IJNSE_INSF_IjEEEESM_EEEEEPS7_SP_SP_NSC_11hip_rocprim7__merge17predicate_wrapperIjjNSC_7greaterIjEEEEEE10hipError_tPvRmT0_T1_T2_T3_T4_T5_mmT6_P12ihipStream_tbEUlT_E_NS1_11comp_targetILNS1_3genE0ELNS1_11target_archE4294967295ELNS1_3gpuE0ELNS1_3repE0EEENS1_30default_config_static_selectorELNS0_4arch9wavefront6targetE0EEEvS10_, .Lfunc_end371-_ZN7rocprim17ROCPRIM_400000_NS6detail17trampoline_kernelINS0_14default_configENS1_21merge_config_selectorINS0_5tupleIJjjEEENS0_10empty_typeEEEZNS1_10merge_implIS3_NS0_12zip_iteratorINS5_IJN6thrust23THRUST_200600_302600_NS6detail15normal_iteratorINSC_10device_ptrIKjEEEESI_EEEEESK_NSA_INS5_IJNSE_INSF_IjEEEESM_EEEEEPS7_SP_SP_NSC_11hip_rocprim7__merge17predicate_wrapperIjjNSC_7greaterIjEEEEEE10hipError_tPvRmT0_T1_T2_T3_T4_T5_mmT6_P12ihipStream_tbEUlT_E_NS1_11comp_targetILNS1_3genE0ELNS1_11target_archE4294967295ELNS1_3gpuE0ELNS1_3repE0EEENS1_30default_config_static_selectorELNS0_4arch9wavefront6targetE0EEEvS10_
                                        ; -- End function
	.set _ZN7rocprim17ROCPRIM_400000_NS6detail17trampoline_kernelINS0_14default_configENS1_21merge_config_selectorINS0_5tupleIJjjEEENS0_10empty_typeEEEZNS1_10merge_implIS3_NS0_12zip_iteratorINS5_IJN6thrust23THRUST_200600_302600_NS6detail15normal_iteratorINSC_10device_ptrIKjEEEESI_EEEEESK_NSA_INS5_IJNSE_INSF_IjEEEESM_EEEEEPS7_SP_SP_NSC_11hip_rocprim7__merge17predicate_wrapperIjjNSC_7greaterIjEEEEEE10hipError_tPvRmT0_T1_T2_T3_T4_T5_mmT6_P12ihipStream_tbEUlT_E_NS1_11comp_targetILNS1_3genE0ELNS1_11target_archE4294967295ELNS1_3gpuE0ELNS1_3repE0EEENS1_30default_config_static_selectorELNS0_4arch9wavefront6targetE0EEEvS10_.num_vgpr, 0
	.set _ZN7rocprim17ROCPRIM_400000_NS6detail17trampoline_kernelINS0_14default_configENS1_21merge_config_selectorINS0_5tupleIJjjEEENS0_10empty_typeEEEZNS1_10merge_implIS3_NS0_12zip_iteratorINS5_IJN6thrust23THRUST_200600_302600_NS6detail15normal_iteratorINSC_10device_ptrIKjEEEESI_EEEEESK_NSA_INS5_IJNSE_INSF_IjEEEESM_EEEEEPS7_SP_SP_NSC_11hip_rocprim7__merge17predicate_wrapperIjjNSC_7greaterIjEEEEEE10hipError_tPvRmT0_T1_T2_T3_T4_T5_mmT6_P12ihipStream_tbEUlT_E_NS1_11comp_targetILNS1_3genE0ELNS1_11target_archE4294967295ELNS1_3gpuE0ELNS1_3repE0EEENS1_30default_config_static_selectorELNS0_4arch9wavefront6targetE0EEEvS10_.num_agpr, 0
	.set _ZN7rocprim17ROCPRIM_400000_NS6detail17trampoline_kernelINS0_14default_configENS1_21merge_config_selectorINS0_5tupleIJjjEEENS0_10empty_typeEEEZNS1_10merge_implIS3_NS0_12zip_iteratorINS5_IJN6thrust23THRUST_200600_302600_NS6detail15normal_iteratorINSC_10device_ptrIKjEEEESI_EEEEESK_NSA_INS5_IJNSE_INSF_IjEEEESM_EEEEEPS7_SP_SP_NSC_11hip_rocprim7__merge17predicate_wrapperIjjNSC_7greaterIjEEEEEE10hipError_tPvRmT0_T1_T2_T3_T4_T5_mmT6_P12ihipStream_tbEUlT_E_NS1_11comp_targetILNS1_3genE0ELNS1_11target_archE4294967295ELNS1_3gpuE0ELNS1_3repE0EEENS1_30default_config_static_selectorELNS0_4arch9wavefront6targetE0EEEvS10_.numbered_sgpr, 0
	.set _ZN7rocprim17ROCPRIM_400000_NS6detail17trampoline_kernelINS0_14default_configENS1_21merge_config_selectorINS0_5tupleIJjjEEENS0_10empty_typeEEEZNS1_10merge_implIS3_NS0_12zip_iteratorINS5_IJN6thrust23THRUST_200600_302600_NS6detail15normal_iteratorINSC_10device_ptrIKjEEEESI_EEEEESK_NSA_INS5_IJNSE_INSF_IjEEEESM_EEEEEPS7_SP_SP_NSC_11hip_rocprim7__merge17predicate_wrapperIjjNSC_7greaterIjEEEEEE10hipError_tPvRmT0_T1_T2_T3_T4_T5_mmT6_P12ihipStream_tbEUlT_E_NS1_11comp_targetILNS1_3genE0ELNS1_11target_archE4294967295ELNS1_3gpuE0ELNS1_3repE0EEENS1_30default_config_static_selectorELNS0_4arch9wavefront6targetE0EEEvS10_.num_named_barrier, 0
	.set _ZN7rocprim17ROCPRIM_400000_NS6detail17trampoline_kernelINS0_14default_configENS1_21merge_config_selectorINS0_5tupleIJjjEEENS0_10empty_typeEEEZNS1_10merge_implIS3_NS0_12zip_iteratorINS5_IJN6thrust23THRUST_200600_302600_NS6detail15normal_iteratorINSC_10device_ptrIKjEEEESI_EEEEESK_NSA_INS5_IJNSE_INSF_IjEEEESM_EEEEEPS7_SP_SP_NSC_11hip_rocprim7__merge17predicate_wrapperIjjNSC_7greaterIjEEEEEE10hipError_tPvRmT0_T1_T2_T3_T4_T5_mmT6_P12ihipStream_tbEUlT_E_NS1_11comp_targetILNS1_3genE0ELNS1_11target_archE4294967295ELNS1_3gpuE0ELNS1_3repE0EEENS1_30default_config_static_selectorELNS0_4arch9wavefront6targetE0EEEvS10_.private_seg_size, 0
	.set _ZN7rocprim17ROCPRIM_400000_NS6detail17trampoline_kernelINS0_14default_configENS1_21merge_config_selectorINS0_5tupleIJjjEEENS0_10empty_typeEEEZNS1_10merge_implIS3_NS0_12zip_iteratorINS5_IJN6thrust23THRUST_200600_302600_NS6detail15normal_iteratorINSC_10device_ptrIKjEEEESI_EEEEESK_NSA_INS5_IJNSE_INSF_IjEEEESM_EEEEEPS7_SP_SP_NSC_11hip_rocprim7__merge17predicate_wrapperIjjNSC_7greaterIjEEEEEE10hipError_tPvRmT0_T1_T2_T3_T4_T5_mmT6_P12ihipStream_tbEUlT_E_NS1_11comp_targetILNS1_3genE0ELNS1_11target_archE4294967295ELNS1_3gpuE0ELNS1_3repE0EEENS1_30default_config_static_selectorELNS0_4arch9wavefront6targetE0EEEvS10_.uses_vcc, 0
	.set _ZN7rocprim17ROCPRIM_400000_NS6detail17trampoline_kernelINS0_14default_configENS1_21merge_config_selectorINS0_5tupleIJjjEEENS0_10empty_typeEEEZNS1_10merge_implIS3_NS0_12zip_iteratorINS5_IJN6thrust23THRUST_200600_302600_NS6detail15normal_iteratorINSC_10device_ptrIKjEEEESI_EEEEESK_NSA_INS5_IJNSE_INSF_IjEEEESM_EEEEEPS7_SP_SP_NSC_11hip_rocprim7__merge17predicate_wrapperIjjNSC_7greaterIjEEEEEE10hipError_tPvRmT0_T1_T2_T3_T4_T5_mmT6_P12ihipStream_tbEUlT_E_NS1_11comp_targetILNS1_3genE0ELNS1_11target_archE4294967295ELNS1_3gpuE0ELNS1_3repE0EEENS1_30default_config_static_selectorELNS0_4arch9wavefront6targetE0EEEvS10_.uses_flat_scratch, 0
	.set _ZN7rocprim17ROCPRIM_400000_NS6detail17trampoline_kernelINS0_14default_configENS1_21merge_config_selectorINS0_5tupleIJjjEEENS0_10empty_typeEEEZNS1_10merge_implIS3_NS0_12zip_iteratorINS5_IJN6thrust23THRUST_200600_302600_NS6detail15normal_iteratorINSC_10device_ptrIKjEEEESI_EEEEESK_NSA_INS5_IJNSE_INSF_IjEEEESM_EEEEEPS7_SP_SP_NSC_11hip_rocprim7__merge17predicate_wrapperIjjNSC_7greaterIjEEEEEE10hipError_tPvRmT0_T1_T2_T3_T4_T5_mmT6_P12ihipStream_tbEUlT_E_NS1_11comp_targetILNS1_3genE0ELNS1_11target_archE4294967295ELNS1_3gpuE0ELNS1_3repE0EEENS1_30default_config_static_selectorELNS0_4arch9wavefront6targetE0EEEvS10_.has_dyn_sized_stack, 0
	.set _ZN7rocprim17ROCPRIM_400000_NS6detail17trampoline_kernelINS0_14default_configENS1_21merge_config_selectorINS0_5tupleIJjjEEENS0_10empty_typeEEEZNS1_10merge_implIS3_NS0_12zip_iteratorINS5_IJN6thrust23THRUST_200600_302600_NS6detail15normal_iteratorINSC_10device_ptrIKjEEEESI_EEEEESK_NSA_INS5_IJNSE_INSF_IjEEEESM_EEEEEPS7_SP_SP_NSC_11hip_rocprim7__merge17predicate_wrapperIjjNSC_7greaterIjEEEEEE10hipError_tPvRmT0_T1_T2_T3_T4_T5_mmT6_P12ihipStream_tbEUlT_E_NS1_11comp_targetILNS1_3genE0ELNS1_11target_archE4294967295ELNS1_3gpuE0ELNS1_3repE0EEENS1_30default_config_static_selectorELNS0_4arch9wavefront6targetE0EEEvS10_.has_recursion, 0
	.set _ZN7rocprim17ROCPRIM_400000_NS6detail17trampoline_kernelINS0_14default_configENS1_21merge_config_selectorINS0_5tupleIJjjEEENS0_10empty_typeEEEZNS1_10merge_implIS3_NS0_12zip_iteratorINS5_IJN6thrust23THRUST_200600_302600_NS6detail15normal_iteratorINSC_10device_ptrIKjEEEESI_EEEEESK_NSA_INS5_IJNSE_INSF_IjEEEESM_EEEEEPS7_SP_SP_NSC_11hip_rocprim7__merge17predicate_wrapperIjjNSC_7greaterIjEEEEEE10hipError_tPvRmT0_T1_T2_T3_T4_T5_mmT6_P12ihipStream_tbEUlT_E_NS1_11comp_targetILNS1_3genE0ELNS1_11target_archE4294967295ELNS1_3gpuE0ELNS1_3repE0EEENS1_30default_config_static_selectorELNS0_4arch9wavefront6targetE0EEEvS10_.has_indirect_call, 0
	.section	.AMDGPU.csdata,"",@progbits
; Kernel info:
; codeLenInByte = 0
; TotalNumSgprs: 0
; NumVgprs: 0
; ScratchSize: 0
; MemoryBound: 0
; FloatMode: 240
; IeeeMode: 1
; LDSByteSize: 0 bytes/workgroup (compile time only)
; SGPRBlocks: 0
; VGPRBlocks: 0
; NumSGPRsForWavesPerEU: 1
; NumVGPRsForWavesPerEU: 1
; Occupancy: 16
; WaveLimiterHint : 0
; COMPUTE_PGM_RSRC2:SCRATCH_EN: 0
; COMPUTE_PGM_RSRC2:USER_SGPR: 6
; COMPUTE_PGM_RSRC2:TRAP_HANDLER: 0
; COMPUTE_PGM_RSRC2:TGID_X_EN: 1
; COMPUTE_PGM_RSRC2:TGID_Y_EN: 0
; COMPUTE_PGM_RSRC2:TGID_Z_EN: 0
; COMPUTE_PGM_RSRC2:TIDIG_COMP_CNT: 0
	.section	.text._ZN7rocprim17ROCPRIM_400000_NS6detail17trampoline_kernelINS0_14default_configENS1_21merge_config_selectorINS0_5tupleIJjjEEENS0_10empty_typeEEEZNS1_10merge_implIS3_NS0_12zip_iteratorINS5_IJN6thrust23THRUST_200600_302600_NS6detail15normal_iteratorINSC_10device_ptrIKjEEEESI_EEEEESK_NSA_INS5_IJNSE_INSF_IjEEEESM_EEEEEPS7_SP_SP_NSC_11hip_rocprim7__merge17predicate_wrapperIjjNSC_7greaterIjEEEEEE10hipError_tPvRmT0_T1_T2_T3_T4_T5_mmT6_P12ihipStream_tbEUlT_E_NS1_11comp_targetILNS1_3genE5ELNS1_11target_archE942ELNS1_3gpuE9ELNS1_3repE0EEENS1_30default_config_static_selectorELNS0_4arch9wavefront6targetE0EEEvS10_,"axG",@progbits,_ZN7rocprim17ROCPRIM_400000_NS6detail17trampoline_kernelINS0_14default_configENS1_21merge_config_selectorINS0_5tupleIJjjEEENS0_10empty_typeEEEZNS1_10merge_implIS3_NS0_12zip_iteratorINS5_IJN6thrust23THRUST_200600_302600_NS6detail15normal_iteratorINSC_10device_ptrIKjEEEESI_EEEEESK_NSA_INS5_IJNSE_INSF_IjEEEESM_EEEEEPS7_SP_SP_NSC_11hip_rocprim7__merge17predicate_wrapperIjjNSC_7greaterIjEEEEEE10hipError_tPvRmT0_T1_T2_T3_T4_T5_mmT6_P12ihipStream_tbEUlT_E_NS1_11comp_targetILNS1_3genE5ELNS1_11target_archE942ELNS1_3gpuE9ELNS1_3repE0EEENS1_30default_config_static_selectorELNS0_4arch9wavefront6targetE0EEEvS10_,comdat
	.protected	_ZN7rocprim17ROCPRIM_400000_NS6detail17trampoline_kernelINS0_14default_configENS1_21merge_config_selectorINS0_5tupleIJjjEEENS0_10empty_typeEEEZNS1_10merge_implIS3_NS0_12zip_iteratorINS5_IJN6thrust23THRUST_200600_302600_NS6detail15normal_iteratorINSC_10device_ptrIKjEEEESI_EEEEESK_NSA_INS5_IJNSE_INSF_IjEEEESM_EEEEEPS7_SP_SP_NSC_11hip_rocprim7__merge17predicate_wrapperIjjNSC_7greaterIjEEEEEE10hipError_tPvRmT0_T1_T2_T3_T4_T5_mmT6_P12ihipStream_tbEUlT_E_NS1_11comp_targetILNS1_3genE5ELNS1_11target_archE942ELNS1_3gpuE9ELNS1_3repE0EEENS1_30default_config_static_selectorELNS0_4arch9wavefront6targetE0EEEvS10_ ; -- Begin function _ZN7rocprim17ROCPRIM_400000_NS6detail17trampoline_kernelINS0_14default_configENS1_21merge_config_selectorINS0_5tupleIJjjEEENS0_10empty_typeEEEZNS1_10merge_implIS3_NS0_12zip_iteratorINS5_IJN6thrust23THRUST_200600_302600_NS6detail15normal_iteratorINSC_10device_ptrIKjEEEESI_EEEEESK_NSA_INS5_IJNSE_INSF_IjEEEESM_EEEEEPS7_SP_SP_NSC_11hip_rocprim7__merge17predicate_wrapperIjjNSC_7greaterIjEEEEEE10hipError_tPvRmT0_T1_T2_T3_T4_T5_mmT6_P12ihipStream_tbEUlT_E_NS1_11comp_targetILNS1_3genE5ELNS1_11target_archE942ELNS1_3gpuE9ELNS1_3repE0EEENS1_30default_config_static_selectorELNS0_4arch9wavefront6targetE0EEEvS10_
	.globl	_ZN7rocprim17ROCPRIM_400000_NS6detail17trampoline_kernelINS0_14default_configENS1_21merge_config_selectorINS0_5tupleIJjjEEENS0_10empty_typeEEEZNS1_10merge_implIS3_NS0_12zip_iteratorINS5_IJN6thrust23THRUST_200600_302600_NS6detail15normal_iteratorINSC_10device_ptrIKjEEEESI_EEEEESK_NSA_INS5_IJNSE_INSF_IjEEEESM_EEEEEPS7_SP_SP_NSC_11hip_rocprim7__merge17predicate_wrapperIjjNSC_7greaterIjEEEEEE10hipError_tPvRmT0_T1_T2_T3_T4_T5_mmT6_P12ihipStream_tbEUlT_E_NS1_11comp_targetILNS1_3genE5ELNS1_11target_archE942ELNS1_3gpuE9ELNS1_3repE0EEENS1_30default_config_static_selectorELNS0_4arch9wavefront6targetE0EEEvS10_
	.p2align	8
	.type	_ZN7rocprim17ROCPRIM_400000_NS6detail17trampoline_kernelINS0_14default_configENS1_21merge_config_selectorINS0_5tupleIJjjEEENS0_10empty_typeEEEZNS1_10merge_implIS3_NS0_12zip_iteratorINS5_IJN6thrust23THRUST_200600_302600_NS6detail15normal_iteratorINSC_10device_ptrIKjEEEESI_EEEEESK_NSA_INS5_IJNSE_INSF_IjEEEESM_EEEEEPS7_SP_SP_NSC_11hip_rocprim7__merge17predicate_wrapperIjjNSC_7greaterIjEEEEEE10hipError_tPvRmT0_T1_T2_T3_T4_T5_mmT6_P12ihipStream_tbEUlT_E_NS1_11comp_targetILNS1_3genE5ELNS1_11target_archE942ELNS1_3gpuE9ELNS1_3repE0EEENS1_30default_config_static_selectorELNS0_4arch9wavefront6targetE0EEEvS10_,@function
_ZN7rocprim17ROCPRIM_400000_NS6detail17trampoline_kernelINS0_14default_configENS1_21merge_config_selectorINS0_5tupleIJjjEEENS0_10empty_typeEEEZNS1_10merge_implIS3_NS0_12zip_iteratorINS5_IJN6thrust23THRUST_200600_302600_NS6detail15normal_iteratorINSC_10device_ptrIKjEEEESI_EEEEESK_NSA_INS5_IJNSE_INSF_IjEEEESM_EEEEEPS7_SP_SP_NSC_11hip_rocprim7__merge17predicate_wrapperIjjNSC_7greaterIjEEEEEE10hipError_tPvRmT0_T1_T2_T3_T4_T5_mmT6_P12ihipStream_tbEUlT_E_NS1_11comp_targetILNS1_3genE5ELNS1_11target_archE942ELNS1_3gpuE9ELNS1_3repE0EEENS1_30default_config_static_selectorELNS0_4arch9wavefront6targetE0EEEvS10_: ; @_ZN7rocprim17ROCPRIM_400000_NS6detail17trampoline_kernelINS0_14default_configENS1_21merge_config_selectorINS0_5tupleIJjjEEENS0_10empty_typeEEEZNS1_10merge_implIS3_NS0_12zip_iteratorINS5_IJN6thrust23THRUST_200600_302600_NS6detail15normal_iteratorINSC_10device_ptrIKjEEEESI_EEEEESK_NSA_INS5_IJNSE_INSF_IjEEEESM_EEEEEPS7_SP_SP_NSC_11hip_rocprim7__merge17predicate_wrapperIjjNSC_7greaterIjEEEEEE10hipError_tPvRmT0_T1_T2_T3_T4_T5_mmT6_P12ihipStream_tbEUlT_E_NS1_11comp_targetILNS1_3genE5ELNS1_11target_archE942ELNS1_3gpuE9ELNS1_3repE0EEENS1_30default_config_static_selectorELNS0_4arch9wavefront6targetE0EEEvS10_
; %bb.0:
	.section	.rodata,"a",@progbits
	.p2align	6, 0x0
	.amdhsa_kernel _ZN7rocprim17ROCPRIM_400000_NS6detail17trampoline_kernelINS0_14default_configENS1_21merge_config_selectorINS0_5tupleIJjjEEENS0_10empty_typeEEEZNS1_10merge_implIS3_NS0_12zip_iteratorINS5_IJN6thrust23THRUST_200600_302600_NS6detail15normal_iteratorINSC_10device_ptrIKjEEEESI_EEEEESK_NSA_INS5_IJNSE_INSF_IjEEEESM_EEEEEPS7_SP_SP_NSC_11hip_rocprim7__merge17predicate_wrapperIjjNSC_7greaterIjEEEEEE10hipError_tPvRmT0_T1_T2_T3_T4_T5_mmT6_P12ihipStream_tbEUlT_E_NS1_11comp_targetILNS1_3genE5ELNS1_11target_archE942ELNS1_3gpuE9ELNS1_3repE0EEENS1_30default_config_static_selectorELNS0_4arch9wavefront6targetE0EEEvS10_
		.amdhsa_group_segment_fixed_size 0
		.amdhsa_private_segment_fixed_size 0
		.amdhsa_kernarg_size 64
		.amdhsa_user_sgpr_count 6
		.amdhsa_user_sgpr_private_segment_buffer 1
		.amdhsa_user_sgpr_dispatch_ptr 0
		.amdhsa_user_sgpr_queue_ptr 0
		.amdhsa_user_sgpr_kernarg_segment_ptr 1
		.amdhsa_user_sgpr_dispatch_id 0
		.amdhsa_user_sgpr_flat_scratch_init 0
		.amdhsa_user_sgpr_private_segment_size 0
		.amdhsa_wavefront_size32 1
		.amdhsa_uses_dynamic_stack 0
		.amdhsa_system_sgpr_private_segment_wavefront_offset 0
		.amdhsa_system_sgpr_workgroup_id_x 1
		.amdhsa_system_sgpr_workgroup_id_y 0
		.amdhsa_system_sgpr_workgroup_id_z 0
		.amdhsa_system_sgpr_workgroup_info 0
		.amdhsa_system_vgpr_workitem_id 0
		.amdhsa_next_free_vgpr 1
		.amdhsa_next_free_sgpr 1
		.amdhsa_reserve_vcc 0
		.amdhsa_reserve_flat_scratch 0
		.amdhsa_float_round_mode_32 0
		.amdhsa_float_round_mode_16_64 0
		.amdhsa_float_denorm_mode_32 3
		.amdhsa_float_denorm_mode_16_64 3
		.amdhsa_dx10_clamp 1
		.amdhsa_ieee_mode 1
		.amdhsa_fp16_overflow 0
		.amdhsa_workgroup_processor_mode 1
		.amdhsa_memory_ordered 1
		.amdhsa_forward_progress 1
		.amdhsa_shared_vgpr_count 0
		.amdhsa_exception_fp_ieee_invalid_op 0
		.amdhsa_exception_fp_denorm_src 0
		.amdhsa_exception_fp_ieee_div_zero 0
		.amdhsa_exception_fp_ieee_overflow 0
		.amdhsa_exception_fp_ieee_underflow 0
		.amdhsa_exception_fp_ieee_inexact 0
		.amdhsa_exception_int_div_zero 0
	.end_amdhsa_kernel
	.section	.text._ZN7rocprim17ROCPRIM_400000_NS6detail17trampoline_kernelINS0_14default_configENS1_21merge_config_selectorINS0_5tupleIJjjEEENS0_10empty_typeEEEZNS1_10merge_implIS3_NS0_12zip_iteratorINS5_IJN6thrust23THRUST_200600_302600_NS6detail15normal_iteratorINSC_10device_ptrIKjEEEESI_EEEEESK_NSA_INS5_IJNSE_INSF_IjEEEESM_EEEEEPS7_SP_SP_NSC_11hip_rocprim7__merge17predicate_wrapperIjjNSC_7greaterIjEEEEEE10hipError_tPvRmT0_T1_T2_T3_T4_T5_mmT6_P12ihipStream_tbEUlT_E_NS1_11comp_targetILNS1_3genE5ELNS1_11target_archE942ELNS1_3gpuE9ELNS1_3repE0EEENS1_30default_config_static_selectorELNS0_4arch9wavefront6targetE0EEEvS10_,"axG",@progbits,_ZN7rocprim17ROCPRIM_400000_NS6detail17trampoline_kernelINS0_14default_configENS1_21merge_config_selectorINS0_5tupleIJjjEEENS0_10empty_typeEEEZNS1_10merge_implIS3_NS0_12zip_iteratorINS5_IJN6thrust23THRUST_200600_302600_NS6detail15normal_iteratorINSC_10device_ptrIKjEEEESI_EEEEESK_NSA_INS5_IJNSE_INSF_IjEEEESM_EEEEEPS7_SP_SP_NSC_11hip_rocprim7__merge17predicate_wrapperIjjNSC_7greaterIjEEEEEE10hipError_tPvRmT0_T1_T2_T3_T4_T5_mmT6_P12ihipStream_tbEUlT_E_NS1_11comp_targetILNS1_3genE5ELNS1_11target_archE942ELNS1_3gpuE9ELNS1_3repE0EEENS1_30default_config_static_selectorELNS0_4arch9wavefront6targetE0EEEvS10_,comdat
.Lfunc_end372:
	.size	_ZN7rocprim17ROCPRIM_400000_NS6detail17trampoline_kernelINS0_14default_configENS1_21merge_config_selectorINS0_5tupleIJjjEEENS0_10empty_typeEEEZNS1_10merge_implIS3_NS0_12zip_iteratorINS5_IJN6thrust23THRUST_200600_302600_NS6detail15normal_iteratorINSC_10device_ptrIKjEEEESI_EEEEESK_NSA_INS5_IJNSE_INSF_IjEEEESM_EEEEEPS7_SP_SP_NSC_11hip_rocprim7__merge17predicate_wrapperIjjNSC_7greaterIjEEEEEE10hipError_tPvRmT0_T1_T2_T3_T4_T5_mmT6_P12ihipStream_tbEUlT_E_NS1_11comp_targetILNS1_3genE5ELNS1_11target_archE942ELNS1_3gpuE9ELNS1_3repE0EEENS1_30default_config_static_selectorELNS0_4arch9wavefront6targetE0EEEvS10_, .Lfunc_end372-_ZN7rocprim17ROCPRIM_400000_NS6detail17trampoline_kernelINS0_14default_configENS1_21merge_config_selectorINS0_5tupleIJjjEEENS0_10empty_typeEEEZNS1_10merge_implIS3_NS0_12zip_iteratorINS5_IJN6thrust23THRUST_200600_302600_NS6detail15normal_iteratorINSC_10device_ptrIKjEEEESI_EEEEESK_NSA_INS5_IJNSE_INSF_IjEEEESM_EEEEEPS7_SP_SP_NSC_11hip_rocprim7__merge17predicate_wrapperIjjNSC_7greaterIjEEEEEE10hipError_tPvRmT0_T1_T2_T3_T4_T5_mmT6_P12ihipStream_tbEUlT_E_NS1_11comp_targetILNS1_3genE5ELNS1_11target_archE942ELNS1_3gpuE9ELNS1_3repE0EEENS1_30default_config_static_selectorELNS0_4arch9wavefront6targetE0EEEvS10_
                                        ; -- End function
	.set _ZN7rocprim17ROCPRIM_400000_NS6detail17trampoline_kernelINS0_14default_configENS1_21merge_config_selectorINS0_5tupleIJjjEEENS0_10empty_typeEEEZNS1_10merge_implIS3_NS0_12zip_iteratorINS5_IJN6thrust23THRUST_200600_302600_NS6detail15normal_iteratorINSC_10device_ptrIKjEEEESI_EEEEESK_NSA_INS5_IJNSE_INSF_IjEEEESM_EEEEEPS7_SP_SP_NSC_11hip_rocprim7__merge17predicate_wrapperIjjNSC_7greaterIjEEEEEE10hipError_tPvRmT0_T1_T2_T3_T4_T5_mmT6_P12ihipStream_tbEUlT_E_NS1_11comp_targetILNS1_3genE5ELNS1_11target_archE942ELNS1_3gpuE9ELNS1_3repE0EEENS1_30default_config_static_selectorELNS0_4arch9wavefront6targetE0EEEvS10_.num_vgpr, 0
	.set _ZN7rocprim17ROCPRIM_400000_NS6detail17trampoline_kernelINS0_14default_configENS1_21merge_config_selectorINS0_5tupleIJjjEEENS0_10empty_typeEEEZNS1_10merge_implIS3_NS0_12zip_iteratorINS5_IJN6thrust23THRUST_200600_302600_NS6detail15normal_iteratorINSC_10device_ptrIKjEEEESI_EEEEESK_NSA_INS5_IJNSE_INSF_IjEEEESM_EEEEEPS7_SP_SP_NSC_11hip_rocprim7__merge17predicate_wrapperIjjNSC_7greaterIjEEEEEE10hipError_tPvRmT0_T1_T2_T3_T4_T5_mmT6_P12ihipStream_tbEUlT_E_NS1_11comp_targetILNS1_3genE5ELNS1_11target_archE942ELNS1_3gpuE9ELNS1_3repE0EEENS1_30default_config_static_selectorELNS0_4arch9wavefront6targetE0EEEvS10_.num_agpr, 0
	.set _ZN7rocprim17ROCPRIM_400000_NS6detail17trampoline_kernelINS0_14default_configENS1_21merge_config_selectorINS0_5tupleIJjjEEENS0_10empty_typeEEEZNS1_10merge_implIS3_NS0_12zip_iteratorINS5_IJN6thrust23THRUST_200600_302600_NS6detail15normal_iteratorINSC_10device_ptrIKjEEEESI_EEEEESK_NSA_INS5_IJNSE_INSF_IjEEEESM_EEEEEPS7_SP_SP_NSC_11hip_rocprim7__merge17predicate_wrapperIjjNSC_7greaterIjEEEEEE10hipError_tPvRmT0_T1_T2_T3_T4_T5_mmT6_P12ihipStream_tbEUlT_E_NS1_11comp_targetILNS1_3genE5ELNS1_11target_archE942ELNS1_3gpuE9ELNS1_3repE0EEENS1_30default_config_static_selectorELNS0_4arch9wavefront6targetE0EEEvS10_.numbered_sgpr, 0
	.set _ZN7rocprim17ROCPRIM_400000_NS6detail17trampoline_kernelINS0_14default_configENS1_21merge_config_selectorINS0_5tupleIJjjEEENS0_10empty_typeEEEZNS1_10merge_implIS3_NS0_12zip_iteratorINS5_IJN6thrust23THRUST_200600_302600_NS6detail15normal_iteratorINSC_10device_ptrIKjEEEESI_EEEEESK_NSA_INS5_IJNSE_INSF_IjEEEESM_EEEEEPS7_SP_SP_NSC_11hip_rocprim7__merge17predicate_wrapperIjjNSC_7greaterIjEEEEEE10hipError_tPvRmT0_T1_T2_T3_T4_T5_mmT6_P12ihipStream_tbEUlT_E_NS1_11comp_targetILNS1_3genE5ELNS1_11target_archE942ELNS1_3gpuE9ELNS1_3repE0EEENS1_30default_config_static_selectorELNS0_4arch9wavefront6targetE0EEEvS10_.num_named_barrier, 0
	.set _ZN7rocprim17ROCPRIM_400000_NS6detail17trampoline_kernelINS0_14default_configENS1_21merge_config_selectorINS0_5tupleIJjjEEENS0_10empty_typeEEEZNS1_10merge_implIS3_NS0_12zip_iteratorINS5_IJN6thrust23THRUST_200600_302600_NS6detail15normal_iteratorINSC_10device_ptrIKjEEEESI_EEEEESK_NSA_INS5_IJNSE_INSF_IjEEEESM_EEEEEPS7_SP_SP_NSC_11hip_rocprim7__merge17predicate_wrapperIjjNSC_7greaterIjEEEEEE10hipError_tPvRmT0_T1_T2_T3_T4_T5_mmT6_P12ihipStream_tbEUlT_E_NS1_11comp_targetILNS1_3genE5ELNS1_11target_archE942ELNS1_3gpuE9ELNS1_3repE0EEENS1_30default_config_static_selectorELNS0_4arch9wavefront6targetE0EEEvS10_.private_seg_size, 0
	.set _ZN7rocprim17ROCPRIM_400000_NS6detail17trampoline_kernelINS0_14default_configENS1_21merge_config_selectorINS0_5tupleIJjjEEENS0_10empty_typeEEEZNS1_10merge_implIS3_NS0_12zip_iteratorINS5_IJN6thrust23THRUST_200600_302600_NS6detail15normal_iteratorINSC_10device_ptrIKjEEEESI_EEEEESK_NSA_INS5_IJNSE_INSF_IjEEEESM_EEEEEPS7_SP_SP_NSC_11hip_rocprim7__merge17predicate_wrapperIjjNSC_7greaterIjEEEEEE10hipError_tPvRmT0_T1_T2_T3_T4_T5_mmT6_P12ihipStream_tbEUlT_E_NS1_11comp_targetILNS1_3genE5ELNS1_11target_archE942ELNS1_3gpuE9ELNS1_3repE0EEENS1_30default_config_static_selectorELNS0_4arch9wavefront6targetE0EEEvS10_.uses_vcc, 0
	.set _ZN7rocprim17ROCPRIM_400000_NS6detail17trampoline_kernelINS0_14default_configENS1_21merge_config_selectorINS0_5tupleIJjjEEENS0_10empty_typeEEEZNS1_10merge_implIS3_NS0_12zip_iteratorINS5_IJN6thrust23THRUST_200600_302600_NS6detail15normal_iteratorINSC_10device_ptrIKjEEEESI_EEEEESK_NSA_INS5_IJNSE_INSF_IjEEEESM_EEEEEPS7_SP_SP_NSC_11hip_rocprim7__merge17predicate_wrapperIjjNSC_7greaterIjEEEEEE10hipError_tPvRmT0_T1_T2_T3_T4_T5_mmT6_P12ihipStream_tbEUlT_E_NS1_11comp_targetILNS1_3genE5ELNS1_11target_archE942ELNS1_3gpuE9ELNS1_3repE0EEENS1_30default_config_static_selectorELNS0_4arch9wavefront6targetE0EEEvS10_.uses_flat_scratch, 0
	.set _ZN7rocprim17ROCPRIM_400000_NS6detail17trampoline_kernelINS0_14default_configENS1_21merge_config_selectorINS0_5tupleIJjjEEENS0_10empty_typeEEEZNS1_10merge_implIS3_NS0_12zip_iteratorINS5_IJN6thrust23THRUST_200600_302600_NS6detail15normal_iteratorINSC_10device_ptrIKjEEEESI_EEEEESK_NSA_INS5_IJNSE_INSF_IjEEEESM_EEEEEPS7_SP_SP_NSC_11hip_rocprim7__merge17predicate_wrapperIjjNSC_7greaterIjEEEEEE10hipError_tPvRmT0_T1_T2_T3_T4_T5_mmT6_P12ihipStream_tbEUlT_E_NS1_11comp_targetILNS1_3genE5ELNS1_11target_archE942ELNS1_3gpuE9ELNS1_3repE0EEENS1_30default_config_static_selectorELNS0_4arch9wavefront6targetE0EEEvS10_.has_dyn_sized_stack, 0
	.set _ZN7rocprim17ROCPRIM_400000_NS6detail17trampoline_kernelINS0_14default_configENS1_21merge_config_selectorINS0_5tupleIJjjEEENS0_10empty_typeEEEZNS1_10merge_implIS3_NS0_12zip_iteratorINS5_IJN6thrust23THRUST_200600_302600_NS6detail15normal_iteratorINSC_10device_ptrIKjEEEESI_EEEEESK_NSA_INS5_IJNSE_INSF_IjEEEESM_EEEEEPS7_SP_SP_NSC_11hip_rocprim7__merge17predicate_wrapperIjjNSC_7greaterIjEEEEEE10hipError_tPvRmT0_T1_T2_T3_T4_T5_mmT6_P12ihipStream_tbEUlT_E_NS1_11comp_targetILNS1_3genE5ELNS1_11target_archE942ELNS1_3gpuE9ELNS1_3repE0EEENS1_30default_config_static_selectorELNS0_4arch9wavefront6targetE0EEEvS10_.has_recursion, 0
	.set _ZN7rocprim17ROCPRIM_400000_NS6detail17trampoline_kernelINS0_14default_configENS1_21merge_config_selectorINS0_5tupleIJjjEEENS0_10empty_typeEEEZNS1_10merge_implIS3_NS0_12zip_iteratorINS5_IJN6thrust23THRUST_200600_302600_NS6detail15normal_iteratorINSC_10device_ptrIKjEEEESI_EEEEESK_NSA_INS5_IJNSE_INSF_IjEEEESM_EEEEEPS7_SP_SP_NSC_11hip_rocprim7__merge17predicate_wrapperIjjNSC_7greaterIjEEEEEE10hipError_tPvRmT0_T1_T2_T3_T4_T5_mmT6_P12ihipStream_tbEUlT_E_NS1_11comp_targetILNS1_3genE5ELNS1_11target_archE942ELNS1_3gpuE9ELNS1_3repE0EEENS1_30default_config_static_selectorELNS0_4arch9wavefront6targetE0EEEvS10_.has_indirect_call, 0
	.section	.AMDGPU.csdata,"",@progbits
; Kernel info:
; codeLenInByte = 0
; TotalNumSgprs: 0
; NumVgprs: 0
; ScratchSize: 0
; MemoryBound: 0
; FloatMode: 240
; IeeeMode: 1
; LDSByteSize: 0 bytes/workgroup (compile time only)
; SGPRBlocks: 0
; VGPRBlocks: 0
; NumSGPRsForWavesPerEU: 1
; NumVGPRsForWavesPerEU: 1
; Occupancy: 16
; WaveLimiterHint : 0
; COMPUTE_PGM_RSRC2:SCRATCH_EN: 0
; COMPUTE_PGM_RSRC2:USER_SGPR: 6
; COMPUTE_PGM_RSRC2:TRAP_HANDLER: 0
; COMPUTE_PGM_RSRC2:TGID_X_EN: 1
; COMPUTE_PGM_RSRC2:TGID_Y_EN: 0
; COMPUTE_PGM_RSRC2:TGID_Z_EN: 0
; COMPUTE_PGM_RSRC2:TIDIG_COMP_CNT: 0
	.section	.text._ZN7rocprim17ROCPRIM_400000_NS6detail17trampoline_kernelINS0_14default_configENS1_21merge_config_selectorINS0_5tupleIJjjEEENS0_10empty_typeEEEZNS1_10merge_implIS3_NS0_12zip_iteratorINS5_IJN6thrust23THRUST_200600_302600_NS6detail15normal_iteratorINSC_10device_ptrIKjEEEESI_EEEEESK_NSA_INS5_IJNSE_INSF_IjEEEESM_EEEEEPS7_SP_SP_NSC_11hip_rocprim7__merge17predicate_wrapperIjjNSC_7greaterIjEEEEEE10hipError_tPvRmT0_T1_T2_T3_T4_T5_mmT6_P12ihipStream_tbEUlT_E_NS1_11comp_targetILNS1_3genE4ELNS1_11target_archE910ELNS1_3gpuE8ELNS1_3repE0EEENS1_30default_config_static_selectorELNS0_4arch9wavefront6targetE0EEEvS10_,"axG",@progbits,_ZN7rocprim17ROCPRIM_400000_NS6detail17trampoline_kernelINS0_14default_configENS1_21merge_config_selectorINS0_5tupleIJjjEEENS0_10empty_typeEEEZNS1_10merge_implIS3_NS0_12zip_iteratorINS5_IJN6thrust23THRUST_200600_302600_NS6detail15normal_iteratorINSC_10device_ptrIKjEEEESI_EEEEESK_NSA_INS5_IJNSE_INSF_IjEEEESM_EEEEEPS7_SP_SP_NSC_11hip_rocprim7__merge17predicate_wrapperIjjNSC_7greaterIjEEEEEE10hipError_tPvRmT0_T1_T2_T3_T4_T5_mmT6_P12ihipStream_tbEUlT_E_NS1_11comp_targetILNS1_3genE4ELNS1_11target_archE910ELNS1_3gpuE8ELNS1_3repE0EEENS1_30default_config_static_selectorELNS0_4arch9wavefront6targetE0EEEvS10_,comdat
	.protected	_ZN7rocprim17ROCPRIM_400000_NS6detail17trampoline_kernelINS0_14default_configENS1_21merge_config_selectorINS0_5tupleIJjjEEENS0_10empty_typeEEEZNS1_10merge_implIS3_NS0_12zip_iteratorINS5_IJN6thrust23THRUST_200600_302600_NS6detail15normal_iteratorINSC_10device_ptrIKjEEEESI_EEEEESK_NSA_INS5_IJNSE_INSF_IjEEEESM_EEEEEPS7_SP_SP_NSC_11hip_rocprim7__merge17predicate_wrapperIjjNSC_7greaterIjEEEEEE10hipError_tPvRmT0_T1_T2_T3_T4_T5_mmT6_P12ihipStream_tbEUlT_E_NS1_11comp_targetILNS1_3genE4ELNS1_11target_archE910ELNS1_3gpuE8ELNS1_3repE0EEENS1_30default_config_static_selectorELNS0_4arch9wavefront6targetE0EEEvS10_ ; -- Begin function _ZN7rocprim17ROCPRIM_400000_NS6detail17trampoline_kernelINS0_14default_configENS1_21merge_config_selectorINS0_5tupleIJjjEEENS0_10empty_typeEEEZNS1_10merge_implIS3_NS0_12zip_iteratorINS5_IJN6thrust23THRUST_200600_302600_NS6detail15normal_iteratorINSC_10device_ptrIKjEEEESI_EEEEESK_NSA_INS5_IJNSE_INSF_IjEEEESM_EEEEEPS7_SP_SP_NSC_11hip_rocprim7__merge17predicate_wrapperIjjNSC_7greaterIjEEEEEE10hipError_tPvRmT0_T1_T2_T3_T4_T5_mmT6_P12ihipStream_tbEUlT_E_NS1_11comp_targetILNS1_3genE4ELNS1_11target_archE910ELNS1_3gpuE8ELNS1_3repE0EEENS1_30default_config_static_selectorELNS0_4arch9wavefront6targetE0EEEvS10_
	.globl	_ZN7rocprim17ROCPRIM_400000_NS6detail17trampoline_kernelINS0_14default_configENS1_21merge_config_selectorINS0_5tupleIJjjEEENS0_10empty_typeEEEZNS1_10merge_implIS3_NS0_12zip_iteratorINS5_IJN6thrust23THRUST_200600_302600_NS6detail15normal_iteratorINSC_10device_ptrIKjEEEESI_EEEEESK_NSA_INS5_IJNSE_INSF_IjEEEESM_EEEEEPS7_SP_SP_NSC_11hip_rocprim7__merge17predicate_wrapperIjjNSC_7greaterIjEEEEEE10hipError_tPvRmT0_T1_T2_T3_T4_T5_mmT6_P12ihipStream_tbEUlT_E_NS1_11comp_targetILNS1_3genE4ELNS1_11target_archE910ELNS1_3gpuE8ELNS1_3repE0EEENS1_30default_config_static_selectorELNS0_4arch9wavefront6targetE0EEEvS10_
	.p2align	8
	.type	_ZN7rocprim17ROCPRIM_400000_NS6detail17trampoline_kernelINS0_14default_configENS1_21merge_config_selectorINS0_5tupleIJjjEEENS0_10empty_typeEEEZNS1_10merge_implIS3_NS0_12zip_iteratorINS5_IJN6thrust23THRUST_200600_302600_NS6detail15normal_iteratorINSC_10device_ptrIKjEEEESI_EEEEESK_NSA_INS5_IJNSE_INSF_IjEEEESM_EEEEEPS7_SP_SP_NSC_11hip_rocprim7__merge17predicate_wrapperIjjNSC_7greaterIjEEEEEE10hipError_tPvRmT0_T1_T2_T3_T4_T5_mmT6_P12ihipStream_tbEUlT_E_NS1_11comp_targetILNS1_3genE4ELNS1_11target_archE910ELNS1_3gpuE8ELNS1_3repE0EEENS1_30default_config_static_selectorELNS0_4arch9wavefront6targetE0EEEvS10_,@function
_ZN7rocprim17ROCPRIM_400000_NS6detail17trampoline_kernelINS0_14default_configENS1_21merge_config_selectorINS0_5tupleIJjjEEENS0_10empty_typeEEEZNS1_10merge_implIS3_NS0_12zip_iteratorINS5_IJN6thrust23THRUST_200600_302600_NS6detail15normal_iteratorINSC_10device_ptrIKjEEEESI_EEEEESK_NSA_INS5_IJNSE_INSF_IjEEEESM_EEEEEPS7_SP_SP_NSC_11hip_rocprim7__merge17predicate_wrapperIjjNSC_7greaterIjEEEEEE10hipError_tPvRmT0_T1_T2_T3_T4_T5_mmT6_P12ihipStream_tbEUlT_E_NS1_11comp_targetILNS1_3genE4ELNS1_11target_archE910ELNS1_3gpuE8ELNS1_3repE0EEENS1_30default_config_static_selectorELNS0_4arch9wavefront6targetE0EEEvS10_: ; @_ZN7rocprim17ROCPRIM_400000_NS6detail17trampoline_kernelINS0_14default_configENS1_21merge_config_selectorINS0_5tupleIJjjEEENS0_10empty_typeEEEZNS1_10merge_implIS3_NS0_12zip_iteratorINS5_IJN6thrust23THRUST_200600_302600_NS6detail15normal_iteratorINSC_10device_ptrIKjEEEESI_EEEEESK_NSA_INS5_IJNSE_INSF_IjEEEESM_EEEEEPS7_SP_SP_NSC_11hip_rocprim7__merge17predicate_wrapperIjjNSC_7greaterIjEEEEEE10hipError_tPvRmT0_T1_T2_T3_T4_T5_mmT6_P12ihipStream_tbEUlT_E_NS1_11comp_targetILNS1_3genE4ELNS1_11target_archE910ELNS1_3gpuE8ELNS1_3repE0EEENS1_30default_config_static_selectorELNS0_4arch9wavefront6targetE0EEEvS10_
; %bb.0:
	.section	.rodata,"a",@progbits
	.p2align	6, 0x0
	.amdhsa_kernel _ZN7rocprim17ROCPRIM_400000_NS6detail17trampoline_kernelINS0_14default_configENS1_21merge_config_selectorINS0_5tupleIJjjEEENS0_10empty_typeEEEZNS1_10merge_implIS3_NS0_12zip_iteratorINS5_IJN6thrust23THRUST_200600_302600_NS6detail15normal_iteratorINSC_10device_ptrIKjEEEESI_EEEEESK_NSA_INS5_IJNSE_INSF_IjEEEESM_EEEEEPS7_SP_SP_NSC_11hip_rocprim7__merge17predicate_wrapperIjjNSC_7greaterIjEEEEEE10hipError_tPvRmT0_T1_T2_T3_T4_T5_mmT6_P12ihipStream_tbEUlT_E_NS1_11comp_targetILNS1_3genE4ELNS1_11target_archE910ELNS1_3gpuE8ELNS1_3repE0EEENS1_30default_config_static_selectorELNS0_4arch9wavefront6targetE0EEEvS10_
		.amdhsa_group_segment_fixed_size 0
		.amdhsa_private_segment_fixed_size 0
		.amdhsa_kernarg_size 64
		.amdhsa_user_sgpr_count 6
		.amdhsa_user_sgpr_private_segment_buffer 1
		.amdhsa_user_sgpr_dispatch_ptr 0
		.amdhsa_user_sgpr_queue_ptr 0
		.amdhsa_user_sgpr_kernarg_segment_ptr 1
		.amdhsa_user_sgpr_dispatch_id 0
		.amdhsa_user_sgpr_flat_scratch_init 0
		.amdhsa_user_sgpr_private_segment_size 0
		.amdhsa_wavefront_size32 1
		.amdhsa_uses_dynamic_stack 0
		.amdhsa_system_sgpr_private_segment_wavefront_offset 0
		.amdhsa_system_sgpr_workgroup_id_x 1
		.amdhsa_system_sgpr_workgroup_id_y 0
		.amdhsa_system_sgpr_workgroup_id_z 0
		.amdhsa_system_sgpr_workgroup_info 0
		.amdhsa_system_vgpr_workitem_id 0
		.amdhsa_next_free_vgpr 1
		.amdhsa_next_free_sgpr 1
		.amdhsa_reserve_vcc 0
		.amdhsa_reserve_flat_scratch 0
		.amdhsa_float_round_mode_32 0
		.amdhsa_float_round_mode_16_64 0
		.amdhsa_float_denorm_mode_32 3
		.amdhsa_float_denorm_mode_16_64 3
		.amdhsa_dx10_clamp 1
		.amdhsa_ieee_mode 1
		.amdhsa_fp16_overflow 0
		.amdhsa_workgroup_processor_mode 1
		.amdhsa_memory_ordered 1
		.amdhsa_forward_progress 1
		.amdhsa_shared_vgpr_count 0
		.amdhsa_exception_fp_ieee_invalid_op 0
		.amdhsa_exception_fp_denorm_src 0
		.amdhsa_exception_fp_ieee_div_zero 0
		.amdhsa_exception_fp_ieee_overflow 0
		.amdhsa_exception_fp_ieee_underflow 0
		.amdhsa_exception_fp_ieee_inexact 0
		.amdhsa_exception_int_div_zero 0
	.end_amdhsa_kernel
	.section	.text._ZN7rocprim17ROCPRIM_400000_NS6detail17trampoline_kernelINS0_14default_configENS1_21merge_config_selectorINS0_5tupleIJjjEEENS0_10empty_typeEEEZNS1_10merge_implIS3_NS0_12zip_iteratorINS5_IJN6thrust23THRUST_200600_302600_NS6detail15normal_iteratorINSC_10device_ptrIKjEEEESI_EEEEESK_NSA_INS5_IJNSE_INSF_IjEEEESM_EEEEEPS7_SP_SP_NSC_11hip_rocprim7__merge17predicate_wrapperIjjNSC_7greaterIjEEEEEE10hipError_tPvRmT0_T1_T2_T3_T4_T5_mmT6_P12ihipStream_tbEUlT_E_NS1_11comp_targetILNS1_3genE4ELNS1_11target_archE910ELNS1_3gpuE8ELNS1_3repE0EEENS1_30default_config_static_selectorELNS0_4arch9wavefront6targetE0EEEvS10_,"axG",@progbits,_ZN7rocprim17ROCPRIM_400000_NS6detail17trampoline_kernelINS0_14default_configENS1_21merge_config_selectorINS0_5tupleIJjjEEENS0_10empty_typeEEEZNS1_10merge_implIS3_NS0_12zip_iteratorINS5_IJN6thrust23THRUST_200600_302600_NS6detail15normal_iteratorINSC_10device_ptrIKjEEEESI_EEEEESK_NSA_INS5_IJNSE_INSF_IjEEEESM_EEEEEPS7_SP_SP_NSC_11hip_rocprim7__merge17predicate_wrapperIjjNSC_7greaterIjEEEEEE10hipError_tPvRmT0_T1_T2_T3_T4_T5_mmT6_P12ihipStream_tbEUlT_E_NS1_11comp_targetILNS1_3genE4ELNS1_11target_archE910ELNS1_3gpuE8ELNS1_3repE0EEENS1_30default_config_static_selectorELNS0_4arch9wavefront6targetE0EEEvS10_,comdat
.Lfunc_end373:
	.size	_ZN7rocprim17ROCPRIM_400000_NS6detail17trampoline_kernelINS0_14default_configENS1_21merge_config_selectorINS0_5tupleIJjjEEENS0_10empty_typeEEEZNS1_10merge_implIS3_NS0_12zip_iteratorINS5_IJN6thrust23THRUST_200600_302600_NS6detail15normal_iteratorINSC_10device_ptrIKjEEEESI_EEEEESK_NSA_INS5_IJNSE_INSF_IjEEEESM_EEEEEPS7_SP_SP_NSC_11hip_rocprim7__merge17predicate_wrapperIjjNSC_7greaterIjEEEEEE10hipError_tPvRmT0_T1_T2_T3_T4_T5_mmT6_P12ihipStream_tbEUlT_E_NS1_11comp_targetILNS1_3genE4ELNS1_11target_archE910ELNS1_3gpuE8ELNS1_3repE0EEENS1_30default_config_static_selectorELNS0_4arch9wavefront6targetE0EEEvS10_, .Lfunc_end373-_ZN7rocprim17ROCPRIM_400000_NS6detail17trampoline_kernelINS0_14default_configENS1_21merge_config_selectorINS0_5tupleIJjjEEENS0_10empty_typeEEEZNS1_10merge_implIS3_NS0_12zip_iteratorINS5_IJN6thrust23THRUST_200600_302600_NS6detail15normal_iteratorINSC_10device_ptrIKjEEEESI_EEEEESK_NSA_INS5_IJNSE_INSF_IjEEEESM_EEEEEPS7_SP_SP_NSC_11hip_rocprim7__merge17predicate_wrapperIjjNSC_7greaterIjEEEEEE10hipError_tPvRmT0_T1_T2_T3_T4_T5_mmT6_P12ihipStream_tbEUlT_E_NS1_11comp_targetILNS1_3genE4ELNS1_11target_archE910ELNS1_3gpuE8ELNS1_3repE0EEENS1_30default_config_static_selectorELNS0_4arch9wavefront6targetE0EEEvS10_
                                        ; -- End function
	.set _ZN7rocprim17ROCPRIM_400000_NS6detail17trampoline_kernelINS0_14default_configENS1_21merge_config_selectorINS0_5tupleIJjjEEENS0_10empty_typeEEEZNS1_10merge_implIS3_NS0_12zip_iteratorINS5_IJN6thrust23THRUST_200600_302600_NS6detail15normal_iteratorINSC_10device_ptrIKjEEEESI_EEEEESK_NSA_INS5_IJNSE_INSF_IjEEEESM_EEEEEPS7_SP_SP_NSC_11hip_rocprim7__merge17predicate_wrapperIjjNSC_7greaterIjEEEEEE10hipError_tPvRmT0_T1_T2_T3_T4_T5_mmT6_P12ihipStream_tbEUlT_E_NS1_11comp_targetILNS1_3genE4ELNS1_11target_archE910ELNS1_3gpuE8ELNS1_3repE0EEENS1_30default_config_static_selectorELNS0_4arch9wavefront6targetE0EEEvS10_.num_vgpr, 0
	.set _ZN7rocprim17ROCPRIM_400000_NS6detail17trampoline_kernelINS0_14default_configENS1_21merge_config_selectorINS0_5tupleIJjjEEENS0_10empty_typeEEEZNS1_10merge_implIS3_NS0_12zip_iteratorINS5_IJN6thrust23THRUST_200600_302600_NS6detail15normal_iteratorINSC_10device_ptrIKjEEEESI_EEEEESK_NSA_INS5_IJNSE_INSF_IjEEEESM_EEEEEPS7_SP_SP_NSC_11hip_rocprim7__merge17predicate_wrapperIjjNSC_7greaterIjEEEEEE10hipError_tPvRmT0_T1_T2_T3_T4_T5_mmT6_P12ihipStream_tbEUlT_E_NS1_11comp_targetILNS1_3genE4ELNS1_11target_archE910ELNS1_3gpuE8ELNS1_3repE0EEENS1_30default_config_static_selectorELNS0_4arch9wavefront6targetE0EEEvS10_.num_agpr, 0
	.set _ZN7rocprim17ROCPRIM_400000_NS6detail17trampoline_kernelINS0_14default_configENS1_21merge_config_selectorINS0_5tupleIJjjEEENS0_10empty_typeEEEZNS1_10merge_implIS3_NS0_12zip_iteratorINS5_IJN6thrust23THRUST_200600_302600_NS6detail15normal_iteratorINSC_10device_ptrIKjEEEESI_EEEEESK_NSA_INS5_IJNSE_INSF_IjEEEESM_EEEEEPS7_SP_SP_NSC_11hip_rocprim7__merge17predicate_wrapperIjjNSC_7greaterIjEEEEEE10hipError_tPvRmT0_T1_T2_T3_T4_T5_mmT6_P12ihipStream_tbEUlT_E_NS1_11comp_targetILNS1_3genE4ELNS1_11target_archE910ELNS1_3gpuE8ELNS1_3repE0EEENS1_30default_config_static_selectorELNS0_4arch9wavefront6targetE0EEEvS10_.numbered_sgpr, 0
	.set _ZN7rocprim17ROCPRIM_400000_NS6detail17trampoline_kernelINS0_14default_configENS1_21merge_config_selectorINS0_5tupleIJjjEEENS0_10empty_typeEEEZNS1_10merge_implIS3_NS0_12zip_iteratorINS5_IJN6thrust23THRUST_200600_302600_NS6detail15normal_iteratorINSC_10device_ptrIKjEEEESI_EEEEESK_NSA_INS5_IJNSE_INSF_IjEEEESM_EEEEEPS7_SP_SP_NSC_11hip_rocprim7__merge17predicate_wrapperIjjNSC_7greaterIjEEEEEE10hipError_tPvRmT0_T1_T2_T3_T4_T5_mmT6_P12ihipStream_tbEUlT_E_NS1_11comp_targetILNS1_3genE4ELNS1_11target_archE910ELNS1_3gpuE8ELNS1_3repE0EEENS1_30default_config_static_selectorELNS0_4arch9wavefront6targetE0EEEvS10_.num_named_barrier, 0
	.set _ZN7rocprim17ROCPRIM_400000_NS6detail17trampoline_kernelINS0_14default_configENS1_21merge_config_selectorINS0_5tupleIJjjEEENS0_10empty_typeEEEZNS1_10merge_implIS3_NS0_12zip_iteratorINS5_IJN6thrust23THRUST_200600_302600_NS6detail15normal_iteratorINSC_10device_ptrIKjEEEESI_EEEEESK_NSA_INS5_IJNSE_INSF_IjEEEESM_EEEEEPS7_SP_SP_NSC_11hip_rocprim7__merge17predicate_wrapperIjjNSC_7greaterIjEEEEEE10hipError_tPvRmT0_T1_T2_T3_T4_T5_mmT6_P12ihipStream_tbEUlT_E_NS1_11comp_targetILNS1_3genE4ELNS1_11target_archE910ELNS1_3gpuE8ELNS1_3repE0EEENS1_30default_config_static_selectorELNS0_4arch9wavefront6targetE0EEEvS10_.private_seg_size, 0
	.set _ZN7rocprim17ROCPRIM_400000_NS6detail17trampoline_kernelINS0_14default_configENS1_21merge_config_selectorINS0_5tupleIJjjEEENS0_10empty_typeEEEZNS1_10merge_implIS3_NS0_12zip_iteratorINS5_IJN6thrust23THRUST_200600_302600_NS6detail15normal_iteratorINSC_10device_ptrIKjEEEESI_EEEEESK_NSA_INS5_IJNSE_INSF_IjEEEESM_EEEEEPS7_SP_SP_NSC_11hip_rocprim7__merge17predicate_wrapperIjjNSC_7greaterIjEEEEEE10hipError_tPvRmT0_T1_T2_T3_T4_T5_mmT6_P12ihipStream_tbEUlT_E_NS1_11comp_targetILNS1_3genE4ELNS1_11target_archE910ELNS1_3gpuE8ELNS1_3repE0EEENS1_30default_config_static_selectorELNS0_4arch9wavefront6targetE0EEEvS10_.uses_vcc, 0
	.set _ZN7rocprim17ROCPRIM_400000_NS6detail17trampoline_kernelINS0_14default_configENS1_21merge_config_selectorINS0_5tupleIJjjEEENS0_10empty_typeEEEZNS1_10merge_implIS3_NS0_12zip_iteratorINS5_IJN6thrust23THRUST_200600_302600_NS6detail15normal_iteratorINSC_10device_ptrIKjEEEESI_EEEEESK_NSA_INS5_IJNSE_INSF_IjEEEESM_EEEEEPS7_SP_SP_NSC_11hip_rocprim7__merge17predicate_wrapperIjjNSC_7greaterIjEEEEEE10hipError_tPvRmT0_T1_T2_T3_T4_T5_mmT6_P12ihipStream_tbEUlT_E_NS1_11comp_targetILNS1_3genE4ELNS1_11target_archE910ELNS1_3gpuE8ELNS1_3repE0EEENS1_30default_config_static_selectorELNS0_4arch9wavefront6targetE0EEEvS10_.uses_flat_scratch, 0
	.set _ZN7rocprim17ROCPRIM_400000_NS6detail17trampoline_kernelINS0_14default_configENS1_21merge_config_selectorINS0_5tupleIJjjEEENS0_10empty_typeEEEZNS1_10merge_implIS3_NS0_12zip_iteratorINS5_IJN6thrust23THRUST_200600_302600_NS6detail15normal_iteratorINSC_10device_ptrIKjEEEESI_EEEEESK_NSA_INS5_IJNSE_INSF_IjEEEESM_EEEEEPS7_SP_SP_NSC_11hip_rocprim7__merge17predicate_wrapperIjjNSC_7greaterIjEEEEEE10hipError_tPvRmT0_T1_T2_T3_T4_T5_mmT6_P12ihipStream_tbEUlT_E_NS1_11comp_targetILNS1_3genE4ELNS1_11target_archE910ELNS1_3gpuE8ELNS1_3repE0EEENS1_30default_config_static_selectorELNS0_4arch9wavefront6targetE0EEEvS10_.has_dyn_sized_stack, 0
	.set _ZN7rocprim17ROCPRIM_400000_NS6detail17trampoline_kernelINS0_14default_configENS1_21merge_config_selectorINS0_5tupleIJjjEEENS0_10empty_typeEEEZNS1_10merge_implIS3_NS0_12zip_iteratorINS5_IJN6thrust23THRUST_200600_302600_NS6detail15normal_iteratorINSC_10device_ptrIKjEEEESI_EEEEESK_NSA_INS5_IJNSE_INSF_IjEEEESM_EEEEEPS7_SP_SP_NSC_11hip_rocprim7__merge17predicate_wrapperIjjNSC_7greaterIjEEEEEE10hipError_tPvRmT0_T1_T2_T3_T4_T5_mmT6_P12ihipStream_tbEUlT_E_NS1_11comp_targetILNS1_3genE4ELNS1_11target_archE910ELNS1_3gpuE8ELNS1_3repE0EEENS1_30default_config_static_selectorELNS0_4arch9wavefront6targetE0EEEvS10_.has_recursion, 0
	.set _ZN7rocprim17ROCPRIM_400000_NS6detail17trampoline_kernelINS0_14default_configENS1_21merge_config_selectorINS0_5tupleIJjjEEENS0_10empty_typeEEEZNS1_10merge_implIS3_NS0_12zip_iteratorINS5_IJN6thrust23THRUST_200600_302600_NS6detail15normal_iteratorINSC_10device_ptrIKjEEEESI_EEEEESK_NSA_INS5_IJNSE_INSF_IjEEEESM_EEEEEPS7_SP_SP_NSC_11hip_rocprim7__merge17predicate_wrapperIjjNSC_7greaterIjEEEEEE10hipError_tPvRmT0_T1_T2_T3_T4_T5_mmT6_P12ihipStream_tbEUlT_E_NS1_11comp_targetILNS1_3genE4ELNS1_11target_archE910ELNS1_3gpuE8ELNS1_3repE0EEENS1_30default_config_static_selectorELNS0_4arch9wavefront6targetE0EEEvS10_.has_indirect_call, 0
	.section	.AMDGPU.csdata,"",@progbits
; Kernel info:
; codeLenInByte = 0
; TotalNumSgprs: 0
; NumVgprs: 0
; ScratchSize: 0
; MemoryBound: 0
; FloatMode: 240
; IeeeMode: 1
; LDSByteSize: 0 bytes/workgroup (compile time only)
; SGPRBlocks: 0
; VGPRBlocks: 0
; NumSGPRsForWavesPerEU: 1
; NumVGPRsForWavesPerEU: 1
; Occupancy: 16
; WaveLimiterHint : 0
; COMPUTE_PGM_RSRC2:SCRATCH_EN: 0
; COMPUTE_PGM_RSRC2:USER_SGPR: 6
; COMPUTE_PGM_RSRC2:TRAP_HANDLER: 0
; COMPUTE_PGM_RSRC2:TGID_X_EN: 1
; COMPUTE_PGM_RSRC2:TGID_Y_EN: 0
; COMPUTE_PGM_RSRC2:TGID_Z_EN: 0
; COMPUTE_PGM_RSRC2:TIDIG_COMP_CNT: 0
	.section	.text._ZN7rocprim17ROCPRIM_400000_NS6detail17trampoline_kernelINS0_14default_configENS1_21merge_config_selectorINS0_5tupleIJjjEEENS0_10empty_typeEEEZNS1_10merge_implIS3_NS0_12zip_iteratorINS5_IJN6thrust23THRUST_200600_302600_NS6detail15normal_iteratorINSC_10device_ptrIKjEEEESI_EEEEESK_NSA_INS5_IJNSE_INSF_IjEEEESM_EEEEEPS7_SP_SP_NSC_11hip_rocprim7__merge17predicate_wrapperIjjNSC_7greaterIjEEEEEE10hipError_tPvRmT0_T1_T2_T3_T4_T5_mmT6_P12ihipStream_tbEUlT_E_NS1_11comp_targetILNS1_3genE3ELNS1_11target_archE908ELNS1_3gpuE7ELNS1_3repE0EEENS1_30default_config_static_selectorELNS0_4arch9wavefront6targetE0EEEvS10_,"axG",@progbits,_ZN7rocprim17ROCPRIM_400000_NS6detail17trampoline_kernelINS0_14default_configENS1_21merge_config_selectorINS0_5tupleIJjjEEENS0_10empty_typeEEEZNS1_10merge_implIS3_NS0_12zip_iteratorINS5_IJN6thrust23THRUST_200600_302600_NS6detail15normal_iteratorINSC_10device_ptrIKjEEEESI_EEEEESK_NSA_INS5_IJNSE_INSF_IjEEEESM_EEEEEPS7_SP_SP_NSC_11hip_rocprim7__merge17predicate_wrapperIjjNSC_7greaterIjEEEEEE10hipError_tPvRmT0_T1_T2_T3_T4_T5_mmT6_P12ihipStream_tbEUlT_E_NS1_11comp_targetILNS1_3genE3ELNS1_11target_archE908ELNS1_3gpuE7ELNS1_3repE0EEENS1_30default_config_static_selectorELNS0_4arch9wavefront6targetE0EEEvS10_,comdat
	.protected	_ZN7rocprim17ROCPRIM_400000_NS6detail17trampoline_kernelINS0_14default_configENS1_21merge_config_selectorINS0_5tupleIJjjEEENS0_10empty_typeEEEZNS1_10merge_implIS3_NS0_12zip_iteratorINS5_IJN6thrust23THRUST_200600_302600_NS6detail15normal_iteratorINSC_10device_ptrIKjEEEESI_EEEEESK_NSA_INS5_IJNSE_INSF_IjEEEESM_EEEEEPS7_SP_SP_NSC_11hip_rocprim7__merge17predicate_wrapperIjjNSC_7greaterIjEEEEEE10hipError_tPvRmT0_T1_T2_T3_T4_T5_mmT6_P12ihipStream_tbEUlT_E_NS1_11comp_targetILNS1_3genE3ELNS1_11target_archE908ELNS1_3gpuE7ELNS1_3repE0EEENS1_30default_config_static_selectorELNS0_4arch9wavefront6targetE0EEEvS10_ ; -- Begin function _ZN7rocprim17ROCPRIM_400000_NS6detail17trampoline_kernelINS0_14default_configENS1_21merge_config_selectorINS0_5tupleIJjjEEENS0_10empty_typeEEEZNS1_10merge_implIS3_NS0_12zip_iteratorINS5_IJN6thrust23THRUST_200600_302600_NS6detail15normal_iteratorINSC_10device_ptrIKjEEEESI_EEEEESK_NSA_INS5_IJNSE_INSF_IjEEEESM_EEEEEPS7_SP_SP_NSC_11hip_rocprim7__merge17predicate_wrapperIjjNSC_7greaterIjEEEEEE10hipError_tPvRmT0_T1_T2_T3_T4_T5_mmT6_P12ihipStream_tbEUlT_E_NS1_11comp_targetILNS1_3genE3ELNS1_11target_archE908ELNS1_3gpuE7ELNS1_3repE0EEENS1_30default_config_static_selectorELNS0_4arch9wavefront6targetE0EEEvS10_
	.globl	_ZN7rocprim17ROCPRIM_400000_NS6detail17trampoline_kernelINS0_14default_configENS1_21merge_config_selectorINS0_5tupleIJjjEEENS0_10empty_typeEEEZNS1_10merge_implIS3_NS0_12zip_iteratorINS5_IJN6thrust23THRUST_200600_302600_NS6detail15normal_iteratorINSC_10device_ptrIKjEEEESI_EEEEESK_NSA_INS5_IJNSE_INSF_IjEEEESM_EEEEEPS7_SP_SP_NSC_11hip_rocprim7__merge17predicate_wrapperIjjNSC_7greaterIjEEEEEE10hipError_tPvRmT0_T1_T2_T3_T4_T5_mmT6_P12ihipStream_tbEUlT_E_NS1_11comp_targetILNS1_3genE3ELNS1_11target_archE908ELNS1_3gpuE7ELNS1_3repE0EEENS1_30default_config_static_selectorELNS0_4arch9wavefront6targetE0EEEvS10_
	.p2align	8
	.type	_ZN7rocprim17ROCPRIM_400000_NS6detail17trampoline_kernelINS0_14default_configENS1_21merge_config_selectorINS0_5tupleIJjjEEENS0_10empty_typeEEEZNS1_10merge_implIS3_NS0_12zip_iteratorINS5_IJN6thrust23THRUST_200600_302600_NS6detail15normal_iteratorINSC_10device_ptrIKjEEEESI_EEEEESK_NSA_INS5_IJNSE_INSF_IjEEEESM_EEEEEPS7_SP_SP_NSC_11hip_rocprim7__merge17predicate_wrapperIjjNSC_7greaterIjEEEEEE10hipError_tPvRmT0_T1_T2_T3_T4_T5_mmT6_P12ihipStream_tbEUlT_E_NS1_11comp_targetILNS1_3genE3ELNS1_11target_archE908ELNS1_3gpuE7ELNS1_3repE0EEENS1_30default_config_static_selectorELNS0_4arch9wavefront6targetE0EEEvS10_,@function
_ZN7rocprim17ROCPRIM_400000_NS6detail17trampoline_kernelINS0_14default_configENS1_21merge_config_selectorINS0_5tupleIJjjEEENS0_10empty_typeEEEZNS1_10merge_implIS3_NS0_12zip_iteratorINS5_IJN6thrust23THRUST_200600_302600_NS6detail15normal_iteratorINSC_10device_ptrIKjEEEESI_EEEEESK_NSA_INS5_IJNSE_INSF_IjEEEESM_EEEEEPS7_SP_SP_NSC_11hip_rocprim7__merge17predicate_wrapperIjjNSC_7greaterIjEEEEEE10hipError_tPvRmT0_T1_T2_T3_T4_T5_mmT6_P12ihipStream_tbEUlT_E_NS1_11comp_targetILNS1_3genE3ELNS1_11target_archE908ELNS1_3gpuE7ELNS1_3repE0EEENS1_30default_config_static_selectorELNS0_4arch9wavefront6targetE0EEEvS10_: ; @_ZN7rocprim17ROCPRIM_400000_NS6detail17trampoline_kernelINS0_14default_configENS1_21merge_config_selectorINS0_5tupleIJjjEEENS0_10empty_typeEEEZNS1_10merge_implIS3_NS0_12zip_iteratorINS5_IJN6thrust23THRUST_200600_302600_NS6detail15normal_iteratorINSC_10device_ptrIKjEEEESI_EEEEESK_NSA_INS5_IJNSE_INSF_IjEEEESM_EEEEEPS7_SP_SP_NSC_11hip_rocprim7__merge17predicate_wrapperIjjNSC_7greaterIjEEEEEE10hipError_tPvRmT0_T1_T2_T3_T4_T5_mmT6_P12ihipStream_tbEUlT_E_NS1_11comp_targetILNS1_3genE3ELNS1_11target_archE908ELNS1_3gpuE7ELNS1_3repE0EEENS1_30default_config_static_selectorELNS0_4arch9wavefront6targetE0EEEvS10_
; %bb.0:
	.section	.rodata,"a",@progbits
	.p2align	6, 0x0
	.amdhsa_kernel _ZN7rocprim17ROCPRIM_400000_NS6detail17trampoline_kernelINS0_14default_configENS1_21merge_config_selectorINS0_5tupleIJjjEEENS0_10empty_typeEEEZNS1_10merge_implIS3_NS0_12zip_iteratorINS5_IJN6thrust23THRUST_200600_302600_NS6detail15normal_iteratorINSC_10device_ptrIKjEEEESI_EEEEESK_NSA_INS5_IJNSE_INSF_IjEEEESM_EEEEEPS7_SP_SP_NSC_11hip_rocprim7__merge17predicate_wrapperIjjNSC_7greaterIjEEEEEE10hipError_tPvRmT0_T1_T2_T3_T4_T5_mmT6_P12ihipStream_tbEUlT_E_NS1_11comp_targetILNS1_3genE3ELNS1_11target_archE908ELNS1_3gpuE7ELNS1_3repE0EEENS1_30default_config_static_selectorELNS0_4arch9wavefront6targetE0EEEvS10_
		.amdhsa_group_segment_fixed_size 0
		.amdhsa_private_segment_fixed_size 0
		.amdhsa_kernarg_size 64
		.amdhsa_user_sgpr_count 6
		.amdhsa_user_sgpr_private_segment_buffer 1
		.amdhsa_user_sgpr_dispatch_ptr 0
		.amdhsa_user_sgpr_queue_ptr 0
		.amdhsa_user_sgpr_kernarg_segment_ptr 1
		.amdhsa_user_sgpr_dispatch_id 0
		.amdhsa_user_sgpr_flat_scratch_init 0
		.amdhsa_user_sgpr_private_segment_size 0
		.amdhsa_wavefront_size32 1
		.amdhsa_uses_dynamic_stack 0
		.amdhsa_system_sgpr_private_segment_wavefront_offset 0
		.amdhsa_system_sgpr_workgroup_id_x 1
		.amdhsa_system_sgpr_workgroup_id_y 0
		.amdhsa_system_sgpr_workgroup_id_z 0
		.amdhsa_system_sgpr_workgroup_info 0
		.amdhsa_system_vgpr_workitem_id 0
		.amdhsa_next_free_vgpr 1
		.amdhsa_next_free_sgpr 1
		.amdhsa_reserve_vcc 0
		.amdhsa_reserve_flat_scratch 0
		.amdhsa_float_round_mode_32 0
		.amdhsa_float_round_mode_16_64 0
		.amdhsa_float_denorm_mode_32 3
		.amdhsa_float_denorm_mode_16_64 3
		.amdhsa_dx10_clamp 1
		.amdhsa_ieee_mode 1
		.amdhsa_fp16_overflow 0
		.amdhsa_workgroup_processor_mode 1
		.amdhsa_memory_ordered 1
		.amdhsa_forward_progress 1
		.amdhsa_shared_vgpr_count 0
		.amdhsa_exception_fp_ieee_invalid_op 0
		.amdhsa_exception_fp_denorm_src 0
		.amdhsa_exception_fp_ieee_div_zero 0
		.amdhsa_exception_fp_ieee_overflow 0
		.amdhsa_exception_fp_ieee_underflow 0
		.amdhsa_exception_fp_ieee_inexact 0
		.amdhsa_exception_int_div_zero 0
	.end_amdhsa_kernel
	.section	.text._ZN7rocprim17ROCPRIM_400000_NS6detail17trampoline_kernelINS0_14default_configENS1_21merge_config_selectorINS0_5tupleIJjjEEENS0_10empty_typeEEEZNS1_10merge_implIS3_NS0_12zip_iteratorINS5_IJN6thrust23THRUST_200600_302600_NS6detail15normal_iteratorINSC_10device_ptrIKjEEEESI_EEEEESK_NSA_INS5_IJNSE_INSF_IjEEEESM_EEEEEPS7_SP_SP_NSC_11hip_rocprim7__merge17predicate_wrapperIjjNSC_7greaterIjEEEEEE10hipError_tPvRmT0_T1_T2_T3_T4_T5_mmT6_P12ihipStream_tbEUlT_E_NS1_11comp_targetILNS1_3genE3ELNS1_11target_archE908ELNS1_3gpuE7ELNS1_3repE0EEENS1_30default_config_static_selectorELNS0_4arch9wavefront6targetE0EEEvS10_,"axG",@progbits,_ZN7rocprim17ROCPRIM_400000_NS6detail17trampoline_kernelINS0_14default_configENS1_21merge_config_selectorINS0_5tupleIJjjEEENS0_10empty_typeEEEZNS1_10merge_implIS3_NS0_12zip_iteratorINS5_IJN6thrust23THRUST_200600_302600_NS6detail15normal_iteratorINSC_10device_ptrIKjEEEESI_EEEEESK_NSA_INS5_IJNSE_INSF_IjEEEESM_EEEEEPS7_SP_SP_NSC_11hip_rocprim7__merge17predicate_wrapperIjjNSC_7greaterIjEEEEEE10hipError_tPvRmT0_T1_T2_T3_T4_T5_mmT6_P12ihipStream_tbEUlT_E_NS1_11comp_targetILNS1_3genE3ELNS1_11target_archE908ELNS1_3gpuE7ELNS1_3repE0EEENS1_30default_config_static_selectorELNS0_4arch9wavefront6targetE0EEEvS10_,comdat
.Lfunc_end374:
	.size	_ZN7rocprim17ROCPRIM_400000_NS6detail17trampoline_kernelINS0_14default_configENS1_21merge_config_selectorINS0_5tupleIJjjEEENS0_10empty_typeEEEZNS1_10merge_implIS3_NS0_12zip_iteratorINS5_IJN6thrust23THRUST_200600_302600_NS6detail15normal_iteratorINSC_10device_ptrIKjEEEESI_EEEEESK_NSA_INS5_IJNSE_INSF_IjEEEESM_EEEEEPS7_SP_SP_NSC_11hip_rocprim7__merge17predicate_wrapperIjjNSC_7greaterIjEEEEEE10hipError_tPvRmT0_T1_T2_T3_T4_T5_mmT6_P12ihipStream_tbEUlT_E_NS1_11comp_targetILNS1_3genE3ELNS1_11target_archE908ELNS1_3gpuE7ELNS1_3repE0EEENS1_30default_config_static_selectorELNS0_4arch9wavefront6targetE0EEEvS10_, .Lfunc_end374-_ZN7rocprim17ROCPRIM_400000_NS6detail17trampoline_kernelINS0_14default_configENS1_21merge_config_selectorINS0_5tupleIJjjEEENS0_10empty_typeEEEZNS1_10merge_implIS3_NS0_12zip_iteratorINS5_IJN6thrust23THRUST_200600_302600_NS6detail15normal_iteratorINSC_10device_ptrIKjEEEESI_EEEEESK_NSA_INS5_IJNSE_INSF_IjEEEESM_EEEEEPS7_SP_SP_NSC_11hip_rocprim7__merge17predicate_wrapperIjjNSC_7greaterIjEEEEEE10hipError_tPvRmT0_T1_T2_T3_T4_T5_mmT6_P12ihipStream_tbEUlT_E_NS1_11comp_targetILNS1_3genE3ELNS1_11target_archE908ELNS1_3gpuE7ELNS1_3repE0EEENS1_30default_config_static_selectorELNS0_4arch9wavefront6targetE0EEEvS10_
                                        ; -- End function
	.set _ZN7rocprim17ROCPRIM_400000_NS6detail17trampoline_kernelINS0_14default_configENS1_21merge_config_selectorINS0_5tupleIJjjEEENS0_10empty_typeEEEZNS1_10merge_implIS3_NS0_12zip_iteratorINS5_IJN6thrust23THRUST_200600_302600_NS6detail15normal_iteratorINSC_10device_ptrIKjEEEESI_EEEEESK_NSA_INS5_IJNSE_INSF_IjEEEESM_EEEEEPS7_SP_SP_NSC_11hip_rocprim7__merge17predicate_wrapperIjjNSC_7greaterIjEEEEEE10hipError_tPvRmT0_T1_T2_T3_T4_T5_mmT6_P12ihipStream_tbEUlT_E_NS1_11comp_targetILNS1_3genE3ELNS1_11target_archE908ELNS1_3gpuE7ELNS1_3repE0EEENS1_30default_config_static_selectorELNS0_4arch9wavefront6targetE0EEEvS10_.num_vgpr, 0
	.set _ZN7rocprim17ROCPRIM_400000_NS6detail17trampoline_kernelINS0_14default_configENS1_21merge_config_selectorINS0_5tupleIJjjEEENS0_10empty_typeEEEZNS1_10merge_implIS3_NS0_12zip_iteratorINS5_IJN6thrust23THRUST_200600_302600_NS6detail15normal_iteratorINSC_10device_ptrIKjEEEESI_EEEEESK_NSA_INS5_IJNSE_INSF_IjEEEESM_EEEEEPS7_SP_SP_NSC_11hip_rocprim7__merge17predicate_wrapperIjjNSC_7greaterIjEEEEEE10hipError_tPvRmT0_T1_T2_T3_T4_T5_mmT6_P12ihipStream_tbEUlT_E_NS1_11comp_targetILNS1_3genE3ELNS1_11target_archE908ELNS1_3gpuE7ELNS1_3repE0EEENS1_30default_config_static_selectorELNS0_4arch9wavefront6targetE0EEEvS10_.num_agpr, 0
	.set _ZN7rocprim17ROCPRIM_400000_NS6detail17trampoline_kernelINS0_14default_configENS1_21merge_config_selectorINS0_5tupleIJjjEEENS0_10empty_typeEEEZNS1_10merge_implIS3_NS0_12zip_iteratorINS5_IJN6thrust23THRUST_200600_302600_NS6detail15normal_iteratorINSC_10device_ptrIKjEEEESI_EEEEESK_NSA_INS5_IJNSE_INSF_IjEEEESM_EEEEEPS7_SP_SP_NSC_11hip_rocprim7__merge17predicate_wrapperIjjNSC_7greaterIjEEEEEE10hipError_tPvRmT0_T1_T2_T3_T4_T5_mmT6_P12ihipStream_tbEUlT_E_NS1_11comp_targetILNS1_3genE3ELNS1_11target_archE908ELNS1_3gpuE7ELNS1_3repE0EEENS1_30default_config_static_selectorELNS0_4arch9wavefront6targetE0EEEvS10_.numbered_sgpr, 0
	.set _ZN7rocprim17ROCPRIM_400000_NS6detail17trampoline_kernelINS0_14default_configENS1_21merge_config_selectorINS0_5tupleIJjjEEENS0_10empty_typeEEEZNS1_10merge_implIS3_NS0_12zip_iteratorINS5_IJN6thrust23THRUST_200600_302600_NS6detail15normal_iteratorINSC_10device_ptrIKjEEEESI_EEEEESK_NSA_INS5_IJNSE_INSF_IjEEEESM_EEEEEPS7_SP_SP_NSC_11hip_rocprim7__merge17predicate_wrapperIjjNSC_7greaterIjEEEEEE10hipError_tPvRmT0_T1_T2_T3_T4_T5_mmT6_P12ihipStream_tbEUlT_E_NS1_11comp_targetILNS1_3genE3ELNS1_11target_archE908ELNS1_3gpuE7ELNS1_3repE0EEENS1_30default_config_static_selectorELNS0_4arch9wavefront6targetE0EEEvS10_.num_named_barrier, 0
	.set _ZN7rocprim17ROCPRIM_400000_NS6detail17trampoline_kernelINS0_14default_configENS1_21merge_config_selectorINS0_5tupleIJjjEEENS0_10empty_typeEEEZNS1_10merge_implIS3_NS0_12zip_iteratorINS5_IJN6thrust23THRUST_200600_302600_NS6detail15normal_iteratorINSC_10device_ptrIKjEEEESI_EEEEESK_NSA_INS5_IJNSE_INSF_IjEEEESM_EEEEEPS7_SP_SP_NSC_11hip_rocprim7__merge17predicate_wrapperIjjNSC_7greaterIjEEEEEE10hipError_tPvRmT0_T1_T2_T3_T4_T5_mmT6_P12ihipStream_tbEUlT_E_NS1_11comp_targetILNS1_3genE3ELNS1_11target_archE908ELNS1_3gpuE7ELNS1_3repE0EEENS1_30default_config_static_selectorELNS0_4arch9wavefront6targetE0EEEvS10_.private_seg_size, 0
	.set _ZN7rocprim17ROCPRIM_400000_NS6detail17trampoline_kernelINS0_14default_configENS1_21merge_config_selectorINS0_5tupleIJjjEEENS0_10empty_typeEEEZNS1_10merge_implIS3_NS0_12zip_iteratorINS5_IJN6thrust23THRUST_200600_302600_NS6detail15normal_iteratorINSC_10device_ptrIKjEEEESI_EEEEESK_NSA_INS5_IJNSE_INSF_IjEEEESM_EEEEEPS7_SP_SP_NSC_11hip_rocprim7__merge17predicate_wrapperIjjNSC_7greaterIjEEEEEE10hipError_tPvRmT0_T1_T2_T3_T4_T5_mmT6_P12ihipStream_tbEUlT_E_NS1_11comp_targetILNS1_3genE3ELNS1_11target_archE908ELNS1_3gpuE7ELNS1_3repE0EEENS1_30default_config_static_selectorELNS0_4arch9wavefront6targetE0EEEvS10_.uses_vcc, 0
	.set _ZN7rocprim17ROCPRIM_400000_NS6detail17trampoline_kernelINS0_14default_configENS1_21merge_config_selectorINS0_5tupleIJjjEEENS0_10empty_typeEEEZNS1_10merge_implIS3_NS0_12zip_iteratorINS5_IJN6thrust23THRUST_200600_302600_NS6detail15normal_iteratorINSC_10device_ptrIKjEEEESI_EEEEESK_NSA_INS5_IJNSE_INSF_IjEEEESM_EEEEEPS7_SP_SP_NSC_11hip_rocprim7__merge17predicate_wrapperIjjNSC_7greaterIjEEEEEE10hipError_tPvRmT0_T1_T2_T3_T4_T5_mmT6_P12ihipStream_tbEUlT_E_NS1_11comp_targetILNS1_3genE3ELNS1_11target_archE908ELNS1_3gpuE7ELNS1_3repE0EEENS1_30default_config_static_selectorELNS0_4arch9wavefront6targetE0EEEvS10_.uses_flat_scratch, 0
	.set _ZN7rocprim17ROCPRIM_400000_NS6detail17trampoline_kernelINS0_14default_configENS1_21merge_config_selectorINS0_5tupleIJjjEEENS0_10empty_typeEEEZNS1_10merge_implIS3_NS0_12zip_iteratorINS5_IJN6thrust23THRUST_200600_302600_NS6detail15normal_iteratorINSC_10device_ptrIKjEEEESI_EEEEESK_NSA_INS5_IJNSE_INSF_IjEEEESM_EEEEEPS7_SP_SP_NSC_11hip_rocprim7__merge17predicate_wrapperIjjNSC_7greaterIjEEEEEE10hipError_tPvRmT0_T1_T2_T3_T4_T5_mmT6_P12ihipStream_tbEUlT_E_NS1_11comp_targetILNS1_3genE3ELNS1_11target_archE908ELNS1_3gpuE7ELNS1_3repE0EEENS1_30default_config_static_selectorELNS0_4arch9wavefront6targetE0EEEvS10_.has_dyn_sized_stack, 0
	.set _ZN7rocprim17ROCPRIM_400000_NS6detail17trampoline_kernelINS0_14default_configENS1_21merge_config_selectorINS0_5tupleIJjjEEENS0_10empty_typeEEEZNS1_10merge_implIS3_NS0_12zip_iteratorINS5_IJN6thrust23THRUST_200600_302600_NS6detail15normal_iteratorINSC_10device_ptrIKjEEEESI_EEEEESK_NSA_INS5_IJNSE_INSF_IjEEEESM_EEEEEPS7_SP_SP_NSC_11hip_rocprim7__merge17predicate_wrapperIjjNSC_7greaterIjEEEEEE10hipError_tPvRmT0_T1_T2_T3_T4_T5_mmT6_P12ihipStream_tbEUlT_E_NS1_11comp_targetILNS1_3genE3ELNS1_11target_archE908ELNS1_3gpuE7ELNS1_3repE0EEENS1_30default_config_static_selectorELNS0_4arch9wavefront6targetE0EEEvS10_.has_recursion, 0
	.set _ZN7rocprim17ROCPRIM_400000_NS6detail17trampoline_kernelINS0_14default_configENS1_21merge_config_selectorINS0_5tupleIJjjEEENS0_10empty_typeEEEZNS1_10merge_implIS3_NS0_12zip_iteratorINS5_IJN6thrust23THRUST_200600_302600_NS6detail15normal_iteratorINSC_10device_ptrIKjEEEESI_EEEEESK_NSA_INS5_IJNSE_INSF_IjEEEESM_EEEEEPS7_SP_SP_NSC_11hip_rocprim7__merge17predicate_wrapperIjjNSC_7greaterIjEEEEEE10hipError_tPvRmT0_T1_T2_T3_T4_T5_mmT6_P12ihipStream_tbEUlT_E_NS1_11comp_targetILNS1_3genE3ELNS1_11target_archE908ELNS1_3gpuE7ELNS1_3repE0EEENS1_30default_config_static_selectorELNS0_4arch9wavefront6targetE0EEEvS10_.has_indirect_call, 0
	.section	.AMDGPU.csdata,"",@progbits
; Kernel info:
; codeLenInByte = 0
; TotalNumSgprs: 0
; NumVgprs: 0
; ScratchSize: 0
; MemoryBound: 0
; FloatMode: 240
; IeeeMode: 1
; LDSByteSize: 0 bytes/workgroup (compile time only)
; SGPRBlocks: 0
; VGPRBlocks: 0
; NumSGPRsForWavesPerEU: 1
; NumVGPRsForWavesPerEU: 1
; Occupancy: 16
; WaveLimiterHint : 0
; COMPUTE_PGM_RSRC2:SCRATCH_EN: 0
; COMPUTE_PGM_RSRC2:USER_SGPR: 6
; COMPUTE_PGM_RSRC2:TRAP_HANDLER: 0
; COMPUTE_PGM_RSRC2:TGID_X_EN: 1
; COMPUTE_PGM_RSRC2:TGID_Y_EN: 0
; COMPUTE_PGM_RSRC2:TGID_Z_EN: 0
; COMPUTE_PGM_RSRC2:TIDIG_COMP_CNT: 0
	.section	.text._ZN7rocprim17ROCPRIM_400000_NS6detail17trampoline_kernelINS0_14default_configENS1_21merge_config_selectorINS0_5tupleIJjjEEENS0_10empty_typeEEEZNS1_10merge_implIS3_NS0_12zip_iteratorINS5_IJN6thrust23THRUST_200600_302600_NS6detail15normal_iteratorINSC_10device_ptrIKjEEEESI_EEEEESK_NSA_INS5_IJNSE_INSF_IjEEEESM_EEEEEPS7_SP_SP_NSC_11hip_rocprim7__merge17predicate_wrapperIjjNSC_7greaterIjEEEEEE10hipError_tPvRmT0_T1_T2_T3_T4_T5_mmT6_P12ihipStream_tbEUlT_E_NS1_11comp_targetILNS1_3genE2ELNS1_11target_archE906ELNS1_3gpuE6ELNS1_3repE0EEENS1_30default_config_static_selectorELNS0_4arch9wavefront6targetE0EEEvS10_,"axG",@progbits,_ZN7rocprim17ROCPRIM_400000_NS6detail17trampoline_kernelINS0_14default_configENS1_21merge_config_selectorINS0_5tupleIJjjEEENS0_10empty_typeEEEZNS1_10merge_implIS3_NS0_12zip_iteratorINS5_IJN6thrust23THRUST_200600_302600_NS6detail15normal_iteratorINSC_10device_ptrIKjEEEESI_EEEEESK_NSA_INS5_IJNSE_INSF_IjEEEESM_EEEEEPS7_SP_SP_NSC_11hip_rocprim7__merge17predicate_wrapperIjjNSC_7greaterIjEEEEEE10hipError_tPvRmT0_T1_T2_T3_T4_T5_mmT6_P12ihipStream_tbEUlT_E_NS1_11comp_targetILNS1_3genE2ELNS1_11target_archE906ELNS1_3gpuE6ELNS1_3repE0EEENS1_30default_config_static_selectorELNS0_4arch9wavefront6targetE0EEEvS10_,comdat
	.protected	_ZN7rocprim17ROCPRIM_400000_NS6detail17trampoline_kernelINS0_14default_configENS1_21merge_config_selectorINS0_5tupleIJjjEEENS0_10empty_typeEEEZNS1_10merge_implIS3_NS0_12zip_iteratorINS5_IJN6thrust23THRUST_200600_302600_NS6detail15normal_iteratorINSC_10device_ptrIKjEEEESI_EEEEESK_NSA_INS5_IJNSE_INSF_IjEEEESM_EEEEEPS7_SP_SP_NSC_11hip_rocprim7__merge17predicate_wrapperIjjNSC_7greaterIjEEEEEE10hipError_tPvRmT0_T1_T2_T3_T4_T5_mmT6_P12ihipStream_tbEUlT_E_NS1_11comp_targetILNS1_3genE2ELNS1_11target_archE906ELNS1_3gpuE6ELNS1_3repE0EEENS1_30default_config_static_selectorELNS0_4arch9wavefront6targetE0EEEvS10_ ; -- Begin function _ZN7rocprim17ROCPRIM_400000_NS6detail17trampoline_kernelINS0_14default_configENS1_21merge_config_selectorINS0_5tupleIJjjEEENS0_10empty_typeEEEZNS1_10merge_implIS3_NS0_12zip_iteratorINS5_IJN6thrust23THRUST_200600_302600_NS6detail15normal_iteratorINSC_10device_ptrIKjEEEESI_EEEEESK_NSA_INS5_IJNSE_INSF_IjEEEESM_EEEEEPS7_SP_SP_NSC_11hip_rocprim7__merge17predicate_wrapperIjjNSC_7greaterIjEEEEEE10hipError_tPvRmT0_T1_T2_T3_T4_T5_mmT6_P12ihipStream_tbEUlT_E_NS1_11comp_targetILNS1_3genE2ELNS1_11target_archE906ELNS1_3gpuE6ELNS1_3repE0EEENS1_30default_config_static_selectorELNS0_4arch9wavefront6targetE0EEEvS10_
	.globl	_ZN7rocprim17ROCPRIM_400000_NS6detail17trampoline_kernelINS0_14default_configENS1_21merge_config_selectorINS0_5tupleIJjjEEENS0_10empty_typeEEEZNS1_10merge_implIS3_NS0_12zip_iteratorINS5_IJN6thrust23THRUST_200600_302600_NS6detail15normal_iteratorINSC_10device_ptrIKjEEEESI_EEEEESK_NSA_INS5_IJNSE_INSF_IjEEEESM_EEEEEPS7_SP_SP_NSC_11hip_rocprim7__merge17predicate_wrapperIjjNSC_7greaterIjEEEEEE10hipError_tPvRmT0_T1_T2_T3_T4_T5_mmT6_P12ihipStream_tbEUlT_E_NS1_11comp_targetILNS1_3genE2ELNS1_11target_archE906ELNS1_3gpuE6ELNS1_3repE0EEENS1_30default_config_static_selectorELNS0_4arch9wavefront6targetE0EEEvS10_
	.p2align	8
	.type	_ZN7rocprim17ROCPRIM_400000_NS6detail17trampoline_kernelINS0_14default_configENS1_21merge_config_selectorINS0_5tupleIJjjEEENS0_10empty_typeEEEZNS1_10merge_implIS3_NS0_12zip_iteratorINS5_IJN6thrust23THRUST_200600_302600_NS6detail15normal_iteratorINSC_10device_ptrIKjEEEESI_EEEEESK_NSA_INS5_IJNSE_INSF_IjEEEESM_EEEEEPS7_SP_SP_NSC_11hip_rocprim7__merge17predicate_wrapperIjjNSC_7greaterIjEEEEEE10hipError_tPvRmT0_T1_T2_T3_T4_T5_mmT6_P12ihipStream_tbEUlT_E_NS1_11comp_targetILNS1_3genE2ELNS1_11target_archE906ELNS1_3gpuE6ELNS1_3repE0EEENS1_30default_config_static_selectorELNS0_4arch9wavefront6targetE0EEEvS10_,@function
_ZN7rocprim17ROCPRIM_400000_NS6detail17trampoline_kernelINS0_14default_configENS1_21merge_config_selectorINS0_5tupleIJjjEEENS0_10empty_typeEEEZNS1_10merge_implIS3_NS0_12zip_iteratorINS5_IJN6thrust23THRUST_200600_302600_NS6detail15normal_iteratorINSC_10device_ptrIKjEEEESI_EEEEESK_NSA_INS5_IJNSE_INSF_IjEEEESM_EEEEEPS7_SP_SP_NSC_11hip_rocprim7__merge17predicate_wrapperIjjNSC_7greaterIjEEEEEE10hipError_tPvRmT0_T1_T2_T3_T4_T5_mmT6_P12ihipStream_tbEUlT_E_NS1_11comp_targetILNS1_3genE2ELNS1_11target_archE906ELNS1_3gpuE6ELNS1_3repE0EEENS1_30default_config_static_selectorELNS0_4arch9wavefront6targetE0EEEvS10_: ; @_ZN7rocprim17ROCPRIM_400000_NS6detail17trampoline_kernelINS0_14default_configENS1_21merge_config_selectorINS0_5tupleIJjjEEENS0_10empty_typeEEEZNS1_10merge_implIS3_NS0_12zip_iteratorINS5_IJN6thrust23THRUST_200600_302600_NS6detail15normal_iteratorINSC_10device_ptrIKjEEEESI_EEEEESK_NSA_INS5_IJNSE_INSF_IjEEEESM_EEEEEPS7_SP_SP_NSC_11hip_rocprim7__merge17predicate_wrapperIjjNSC_7greaterIjEEEEEE10hipError_tPvRmT0_T1_T2_T3_T4_T5_mmT6_P12ihipStream_tbEUlT_E_NS1_11comp_targetILNS1_3genE2ELNS1_11target_archE906ELNS1_3gpuE6ELNS1_3repE0EEENS1_30default_config_static_selectorELNS0_4arch9wavefront6targetE0EEEvS10_
; %bb.0:
	.section	.rodata,"a",@progbits
	.p2align	6, 0x0
	.amdhsa_kernel _ZN7rocprim17ROCPRIM_400000_NS6detail17trampoline_kernelINS0_14default_configENS1_21merge_config_selectorINS0_5tupleIJjjEEENS0_10empty_typeEEEZNS1_10merge_implIS3_NS0_12zip_iteratorINS5_IJN6thrust23THRUST_200600_302600_NS6detail15normal_iteratorINSC_10device_ptrIKjEEEESI_EEEEESK_NSA_INS5_IJNSE_INSF_IjEEEESM_EEEEEPS7_SP_SP_NSC_11hip_rocprim7__merge17predicate_wrapperIjjNSC_7greaterIjEEEEEE10hipError_tPvRmT0_T1_T2_T3_T4_T5_mmT6_P12ihipStream_tbEUlT_E_NS1_11comp_targetILNS1_3genE2ELNS1_11target_archE906ELNS1_3gpuE6ELNS1_3repE0EEENS1_30default_config_static_selectorELNS0_4arch9wavefront6targetE0EEEvS10_
		.amdhsa_group_segment_fixed_size 0
		.amdhsa_private_segment_fixed_size 0
		.amdhsa_kernarg_size 64
		.amdhsa_user_sgpr_count 6
		.amdhsa_user_sgpr_private_segment_buffer 1
		.amdhsa_user_sgpr_dispatch_ptr 0
		.amdhsa_user_sgpr_queue_ptr 0
		.amdhsa_user_sgpr_kernarg_segment_ptr 1
		.amdhsa_user_sgpr_dispatch_id 0
		.amdhsa_user_sgpr_flat_scratch_init 0
		.amdhsa_user_sgpr_private_segment_size 0
		.amdhsa_wavefront_size32 1
		.amdhsa_uses_dynamic_stack 0
		.amdhsa_system_sgpr_private_segment_wavefront_offset 0
		.amdhsa_system_sgpr_workgroup_id_x 1
		.amdhsa_system_sgpr_workgroup_id_y 0
		.amdhsa_system_sgpr_workgroup_id_z 0
		.amdhsa_system_sgpr_workgroup_info 0
		.amdhsa_system_vgpr_workitem_id 0
		.amdhsa_next_free_vgpr 1
		.amdhsa_next_free_sgpr 1
		.amdhsa_reserve_vcc 0
		.amdhsa_reserve_flat_scratch 0
		.amdhsa_float_round_mode_32 0
		.amdhsa_float_round_mode_16_64 0
		.amdhsa_float_denorm_mode_32 3
		.amdhsa_float_denorm_mode_16_64 3
		.amdhsa_dx10_clamp 1
		.amdhsa_ieee_mode 1
		.amdhsa_fp16_overflow 0
		.amdhsa_workgroup_processor_mode 1
		.amdhsa_memory_ordered 1
		.amdhsa_forward_progress 1
		.amdhsa_shared_vgpr_count 0
		.amdhsa_exception_fp_ieee_invalid_op 0
		.amdhsa_exception_fp_denorm_src 0
		.amdhsa_exception_fp_ieee_div_zero 0
		.amdhsa_exception_fp_ieee_overflow 0
		.amdhsa_exception_fp_ieee_underflow 0
		.amdhsa_exception_fp_ieee_inexact 0
		.amdhsa_exception_int_div_zero 0
	.end_amdhsa_kernel
	.section	.text._ZN7rocprim17ROCPRIM_400000_NS6detail17trampoline_kernelINS0_14default_configENS1_21merge_config_selectorINS0_5tupleIJjjEEENS0_10empty_typeEEEZNS1_10merge_implIS3_NS0_12zip_iteratorINS5_IJN6thrust23THRUST_200600_302600_NS6detail15normal_iteratorINSC_10device_ptrIKjEEEESI_EEEEESK_NSA_INS5_IJNSE_INSF_IjEEEESM_EEEEEPS7_SP_SP_NSC_11hip_rocprim7__merge17predicate_wrapperIjjNSC_7greaterIjEEEEEE10hipError_tPvRmT0_T1_T2_T3_T4_T5_mmT6_P12ihipStream_tbEUlT_E_NS1_11comp_targetILNS1_3genE2ELNS1_11target_archE906ELNS1_3gpuE6ELNS1_3repE0EEENS1_30default_config_static_selectorELNS0_4arch9wavefront6targetE0EEEvS10_,"axG",@progbits,_ZN7rocprim17ROCPRIM_400000_NS6detail17trampoline_kernelINS0_14default_configENS1_21merge_config_selectorINS0_5tupleIJjjEEENS0_10empty_typeEEEZNS1_10merge_implIS3_NS0_12zip_iteratorINS5_IJN6thrust23THRUST_200600_302600_NS6detail15normal_iteratorINSC_10device_ptrIKjEEEESI_EEEEESK_NSA_INS5_IJNSE_INSF_IjEEEESM_EEEEEPS7_SP_SP_NSC_11hip_rocprim7__merge17predicate_wrapperIjjNSC_7greaterIjEEEEEE10hipError_tPvRmT0_T1_T2_T3_T4_T5_mmT6_P12ihipStream_tbEUlT_E_NS1_11comp_targetILNS1_3genE2ELNS1_11target_archE906ELNS1_3gpuE6ELNS1_3repE0EEENS1_30default_config_static_selectorELNS0_4arch9wavefront6targetE0EEEvS10_,comdat
.Lfunc_end375:
	.size	_ZN7rocprim17ROCPRIM_400000_NS6detail17trampoline_kernelINS0_14default_configENS1_21merge_config_selectorINS0_5tupleIJjjEEENS0_10empty_typeEEEZNS1_10merge_implIS3_NS0_12zip_iteratorINS5_IJN6thrust23THRUST_200600_302600_NS6detail15normal_iteratorINSC_10device_ptrIKjEEEESI_EEEEESK_NSA_INS5_IJNSE_INSF_IjEEEESM_EEEEEPS7_SP_SP_NSC_11hip_rocprim7__merge17predicate_wrapperIjjNSC_7greaterIjEEEEEE10hipError_tPvRmT0_T1_T2_T3_T4_T5_mmT6_P12ihipStream_tbEUlT_E_NS1_11comp_targetILNS1_3genE2ELNS1_11target_archE906ELNS1_3gpuE6ELNS1_3repE0EEENS1_30default_config_static_selectorELNS0_4arch9wavefront6targetE0EEEvS10_, .Lfunc_end375-_ZN7rocprim17ROCPRIM_400000_NS6detail17trampoline_kernelINS0_14default_configENS1_21merge_config_selectorINS0_5tupleIJjjEEENS0_10empty_typeEEEZNS1_10merge_implIS3_NS0_12zip_iteratorINS5_IJN6thrust23THRUST_200600_302600_NS6detail15normal_iteratorINSC_10device_ptrIKjEEEESI_EEEEESK_NSA_INS5_IJNSE_INSF_IjEEEESM_EEEEEPS7_SP_SP_NSC_11hip_rocprim7__merge17predicate_wrapperIjjNSC_7greaterIjEEEEEE10hipError_tPvRmT0_T1_T2_T3_T4_T5_mmT6_P12ihipStream_tbEUlT_E_NS1_11comp_targetILNS1_3genE2ELNS1_11target_archE906ELNS1_3gpuE6ELNS1_3repE0EEENS1_30default_config_static_selectorELNS0_4arch9wavefront6targetE0EEEvS10_
                                        ; -- End function
	.set _ZN7rocprim17ROCPRIM_400000_NS6detail17trampoline_kernelINS0_14default_configENS1_21merge_config_selectorINS0_5tupleIJjjEEENS0_10empty_typeEEEZNS1_10merge_implIS3_NS0_12zip_iteratorINS5_IJN6thrust23THRUST_200600_302600_NS6detail15normal_iteratorINSC_10device_ptrIKjEEEESI_EEEEESK_NSA_INS5_IJNSE_INSF_IjEEEESM_EEEEEPS7_SP_SP_NSC_11hip_rocprim7__merge17predicate_wrapperIjjNSC_7greaterIjEEEEEE10hipError_tPvRmT0_T1_T2_T3_T4_T5_mmT6_P12ihipStream_tbEUlT_E_NS1_11comp_targetILNS1_3genE2ELNS1_11target_archE906ELNS1_3gpuE6ELNS1_3repE0EEENS1_30default_config_static_selectorELNS0_4arch9wavefront6targetE0EEEvS10_.num_vgpr, 0
	.set _ZN7rocprim17ROCPRIM_400000_NS6detail17trampoline_kernelINS0_14default_configENS1_21merge_config_selectorINS0_5tupleIJjjEEENS0_10empty_typeEEEZNS1_10merge_implIS3_NS0_12zip_iteratorINS5_IJN6thrust23THRUST_200600_302600_NS6detail15normal_iteratorINSC_10device_ptrIKjEEEESI_EEEEESK_NSA_INS5_IJNSE_INSF_IjEEEESM_EEEEEPS7_SP_SP_NSC_11hip_rocprim7__merge17predicate_wrapperIjjNSC_7greaterIjEEEEEE10hipError_tPvRmT0_T1_T2_T3_T4_T5_mmT6_P12ihipStream_tbEUlT_E_NS1_11comp_targetILNS1_3genE2ELNS1_11target_archE906ELNS1_3gpuE6ELNS1_3repE0EEENS1_30default_config_static_selectorELNS0_4arch9wavefront6targetE0EEEvS10_.num_agpr, 0
	.set _ZN7rocprim17ROCPRIM_400000_NS6detail17trampoline_kernelINS0_14default_configENS1_21merge_config_selectorINS0_5tupleIJjjEEENS0_10empty_typeEEEZNS1_10merge_implIS3_NS0_12zip_iteratorINS5_IJN6thrust23THRUST_200600_302600_NS6detail15normal_iteratorINSC_10device_ptrIKjEEEESI_EEEEESK_NSA_INS5_IJNSE_INSF_IjEEEESM_EEEEEPS7_SP_SP_NSC_11hip_rocprim7__merge17predicate_wrapperIjjNSC_7greaterIjEEEEEE10hipError_tPvRmT0_T1_T2_T3_T4_T5_mmT6_P12ihipStream_tbEUlT_E_NS1_11comp_targetILNS1_3genE2ELNS1_11target_archE906ELNS1_3gpuE6ELNS1_3repE0EEENS1_30default_config_static_selectorELNS0_4arch9wavefront6targetE0EEEvS10_.numbered_sgpr, 0
	.set _ZN7rocprim17ROCPRIM_400000_NS6detail17trampoline_kernelINS0_14default_configENS1_21merge_config_selectorINS0_5tupleIJjjEEENS0_10empty_typeEEEZNS1_10merge_implIS3_NS0_12zip_iteratorINS5_IJN6thrust23THRUST_200600_302600_NS6detail15normal_iteratorINSC_10device_ptrIKjEEEESI_EEEEESK_NSA_INS5_IJNSE_INSF_IjEEEESM_EEEEEPS7_SP_SP_NSC_11hip_rocprim7__merge17predicate_wrapperIjjNSC_7greaterIjEEEEEE10hipError_tPvRmT0_T1_T2_T3_T4_T5_mmT6_P12ihipStream_tbEUlT_E_NS1_11comp_targetILNS1_3genE2ELNS1_11target_archE906ELNS1_3gpuE6ELNS1_3repE0EEENS1_30default_config_static_selectorELNS0_4arch9wavefront6targetE0EEEvS10_.num_named_barrier, 0
	.set _ZN7rocprim17ROCPRIM_400000_NS6detail17trampoline_kernelINS0_14default_configENS1_21merge_config_selectorINS0_5tupleIJjjEEENS0_10empty_typeEEEZNS1_10merge_implIS3_NS0_12zip_iteratorINS5_IJN6thrust23THRUST_200600_302600_NS6detail15normal_iteratorINSC_10device_ptrIKjEEEESI_EEEEESK_NSA_INS5_IJNSE_INSF_IjEEEESM_EEEEEPS7_SP_SP_NSC_11hip_rocprim7__merge17predicate_wrapperIjjNSC_7greaterIjEEEEEE10hipError_tPvRmT0_T1_T2_T3_T4_T5_mmT6_P12ihipStream_tbEUlT_E_NS1_11comp_targetILNS1_3genE2ELNS1_11target_archE906ELNS1_3gpuE6ELNS1_3repE0EEENS1_30default_config_static_selectorELNS0_4arch9wavefront6targetE0EEEvS10_.private_seg_size, 0
	.set _ZN7rocprim17ROCPRIM_400000_NS6detail17trampoline_kernelINS0_14default_configENS1_21merge_config_selectorINS0_5tupleIJjjEEENS0_10empty_typeEEEZNS1_10merge_implIS3_NS0_12zip_iteratorINS5_IJN6thrust23THRUST_200600_302600_NS6detail15normal_iteratorINSC_10device_ptrIKjEEEESI_EEEEESK_NSA_INS5_IJNSE_INSF_IjEEEESM_EEEEEPS7_SP_SP_NSC_11hip_rocprim7__merge17predicate_wrapperIjjNSC_7greaterIjEEEEEE10hipError_tPvRmT0_T1_T2_T3_T4_T5_mmT6_P12ihipStream_tbEUlT_E_NS1_11comp_targetILNS1_3genE2ELNS1_11target_archE906ELNS1_3gpuE6ELNS1_3repE0EEENS1_30default_config_static_selectorELNS0_4arch9wavefront6targetE0EEEvS10_.uses_vcc, 0
	.set _ZN7rocprim17ROCPRIM_400000_NS6detail17trampoline_kernelINS0_14default_configENS1_21merge_config_selectorINS0_5tupleIJjjEEENS0_10empty_typeEEEZNS1_10merge_implIS3_NS0_12zip_iteratorINS5_IJN6thrust23THRUST_200600_302600_NS6detail15normal_iteratorINSC_10device_ptrIKjEEEESI_EEEEESK_NSA_INS5_IJNSE_INSF_IjEEEESM_EEEEEPS7_SP_SP_NSC_11hip_rocprim7__merge17predicate_wrapperIjjNSC_7greaterIjEEEEEE10hipError_tPvRmT0_T1_T2_T3_T4_T5_mmT6_P12ihipStream_tbEUlT_E_NS1_11comp_targetILNS1_3genE2ELNS1_11target_archE906ELNS1_3gpuE6ELNS1_3repE0EEENS1_30default_config_static_selectorELNS0_4arch9wavefront6targetE0EEEvS10_.uses_flat_scratch, 0
	.set _ZN7rocprim17ROCPRIM_400000_NS6detail17trampoline_kernelINS0_14default_configENS1_21merge_config_selectorINS0_5tupleIJjjEEENS0_10empty_typeEEEZNS1_10merge_implIS3_NS0_12zip_iteratorINS5_IJN6thrust23THRUST_200600_302600_NS6detail15normal_iteratorINSC_10device_ptrIKjEEEESI_EEEEESK_NSA_INS5_IJNSE_INSF_IjEEEESM_EEEEEPS7_SP_SP_NSC_11hip_rocprim7__merge17predicate_wrapperIjjNSC_7greaterIjEEEEEE10hipError_tPvRmT0_T1_T2_T3_T4_T5_mmT6_P12ihipStream_tbEUlT_E_NS1_11comp_targetILNS1_3genE2ELNS1_11target_archE906ELNS1_3gpuE6ELNS1_3repE0EEENS1_30default_config_static_selectorELNS0_4arch9wavefront6targetE0EEEvS10_.has_dyn_sized_stack, 0
	.set _ZN7rocprim17ROCPRIM_400000_NS6detail17trampoline_kernelINS0_14default_configENS1_21merge_config_selectorINS0_5tupleIJjjEEENS0_10empty_typeEEEZNS1_10merge_implIS3_NS0_12zip_iteratorINS5_IJN6thrust23THRUST_200600_302600_NS6detail15normal_iteratorINSC_10device_ptrIKjEEEESI_EEEEESK_NSA_INS5_IJNSE_INSF_IjEEEESM_EEEEEPS7_SP_SP_NSC_11hip_rocprim7__merge17predicate_wrapperIjjNSC_7greaterIjEEEEEE10hipError_tPvRmT0_T1_T2_T3_T4_T5_mmT6_P12ihipStream_tbEUlT_E_NS1_11comp_targetILNS1_3genE2ELNS1_11target_archE906ELNS1_3gpuE6ELNS1_3repE0EEENS1_30default_config_static_selectorELNS0_4arch9wavefront6targetE0EEEvS10_.has_recursion, 0
	.set _ZN7rocprim17ROCPRIM_400000_NS6detail17trampoline_kernelINS0_14default_configENS1_21merge_config_selectorINS0_5tupleIJjjEEENS0_10empty_typeEEEZNS1_10merge_implIS3_NS0_12zip_iteratorINS5_IJN6thrust23THRUST_200600_302600_NS6detail15normal_iteratorINSC_10device_ptrIKjEEEESI_EEEEESK_NSA_INS5_IJNSE_INSF_IjEEEESM_EEEEEPS7_SP_SP_NSC_11hip_rocprim7__merge17predicate_wrapperIjjNSC_7greaterIjEEEEEE10hipError_tPvRmT0_T1_T2_T3_T4_T5_mmT6_P12ihipStream_tbEUlT_E_NS1_11comp_targetILNS1_3genE2ELNS1_11target_archE906ELNS1_3gpuE6ELNS1_3repE0EEENS1_30default_config_static_selectorELNS0_4arch9wavefront6targetE0EEEvS10_.has_indirect_call, 0
	.section	.AMDGPU.csdata,"",@progbits
; Kernel info:
; codeLenInByte = 0
; TotalNumSgprs: 0
; NumVgprs: 0
; ScratchSize: 0
; MemoryBound: 0
; FloatMode: 240
; IeeeMode: 1
; LDSByteSize: 0 bytes/workgroup (compile time only)
; SGPRBlocks: 0
; VGPRBlocks: 0
; NumSGPRsForWavesPerEU: 1
; NumVGPRsForWavesPerEU: 1
; Occupancy: 16
; WaveLimiterHint : 0
; COMPUTE_PGM_RSRC2:SCRATCH_EN: 0
; COMPUTE_PGM_RSRC2:USER_SGPR: 6
; COMPUTE_PGM_RSRC2:TRAP_HANDLER: 0
; COMPUTE_PGM_RSRC2:TGID_X_EN: 1
; COMPUTE_PGM_RSRC2:TGID_Y_EN: 0
; COMPUTE_PGM_RSRC2:TGID_Z_EN: 0
; COMPUTE_PGM_RSRC2:TIDIG_COMP_CNT: 0
	.section	.text._ZN7rocprim17ROCPRIM_400000_NS6detail17trampoline_kernelINS0_14default_configENS1_21merge_config_selectorINS0_5tupleIJjjEEENS0_10empty_typeEEEZNS1_10merge_implIS3_NS0_12zip_iteratorINS5_IJN6thrust23THRUST_200600_302600_NS6detail15normal_iteratorINSC_10device_ptrIKjEEEESI_EEEEESK_NSA_INS5_IJNSE_INSF_IjEEEESM_EEEEEPS7_SP_SP_NSC_11hip_rocprim7__merge17predicate_wrapperIjjNSC_7greaterIjEEEEEE10hipError_tPvRmT0_T1_T2_T3_T4_T5_mmT6_P12ihipStream_tbEUlT_E_NS1_11comp_targetILNS1_3genE10ELNS1_11target_archE1201ELNS1_3gpuE5ELNS1_3repE0EEENS1_30default_config_static_selectorELNS0_4arch9wavefront6targetE0EEEvS10_,"axG",@progbits,_ZN7rocprim17ROCPRIM_400000_NS6detail17trampoline_kernelINS0_14default_configENS1_21merge_config_selectorINS0_5tupleIJjjEEENS0_10empty_typeEEEZNS1_10merge_implIS3_NS0_12zip_iteratorINS5_IJN6thrust23THRUST_200600_302600_NS6detail15normal_iteratorINSC_10device_ptrIKjEEEESI_EEEEESK_NSA_INS5_IJNSE_INSF_IjEEEESM_EEEEEPS7_SP_SP_NSC_11hip_rocprim7__merge17predicate_wrapperIjjNSC_7greaterIjEEEEEE10hipError_tPvRmT0_T1_T2_T3_T4_T5_mmT6_P12ihipStream_tbEUlT_E_NS1_11comp_targetILNS1_3genE10ELNS1_11target_archE1201ELNS1_3gpuE5ELNS1_3repE0EEENS1_30default_config_static_selectorELNS0_4arch9wavefront6targetE0EEEvS10_,comdat
	.protected	_ZN7rocprim17ROCPRIM_400000_NS6detail17trampoline_kernelINS0_14default_configENS1_21merge_config_selectorINS0_5tupleIJjjEEENS0_10empty_typeEEEZNS1_10merge_implIS3_NS0_12zip_iteratorINS5_IJN6thrust23THRUST_200600_302600_NS6detail15normal_iteratorINSC_10device_ptrIKjEEEESI_EEEEESK_NSA_INS5_IJNSE_INSF_IjEEEESM_EEEEEPS7_SP_SP_NSC_11hip_rocprim7__merge17predicate_wrapperIjjNSC_7greaterIjEEEEEE10hipError_tPvRmT0_T1_T2_T3_T4_T5_mmT6_P12ihipStream_tbEUlT_E_NS1_11comp_targetILNS1_3genE10ELNS1_11target_archE1201ELNS1_3gpuE5ELNS1_3repE0EEENS1_30default_config_static_selectorELNS0_4arch9wavefront6targetE0EEEvS10_ ; -- Begin function _ZN7rocprim17ROCPRIM_400000_NS6detail17trampoline_kernelINS0_14default_configENS1_21merge_config_selectorINS0_5tupleIJjjEEENS0_10empty_typeEEEZNS1_10merge_implIS3_NS0_12zip_iteratorINS5_IJN6thrust23THRUST_200600_302600_NS6detail15normal_iteratorINSC_10device_ptrIKjEEEESI_EEEEESK_NSA_INS5_IJNSE_INSF_IjEEEESM_EEEEEPS7_SP_SP_NSC_11hip_rocprim7__merge17predicate_wrapperIjjNSC_7greaterIjEEEEEE10hipError_tPvRmT0_T1_T2_T3_T4_T5_mmT6_P12ihipStream_tbEUlT_E_NS1_11comp_targetILNS1_3genE10ELNS1_11target_archE1201ELNS1_3gpuE5ELNS1_3repE0EEENS1_30default_config_static_selectorELNS0_4arch9wavefront6targetE0EEEvS10_
	.globl	_ZN7rocprim17ROCPRIM_400000_NS6detail17trampoline_kernelINS0_14default_configENS1_21merge_config_selectorINS0_5tupleIJjjEEENS0_10empty_typeEEEZNS1_10merge_implIS3_NS0_12zip_iteratorINS5_IJN6thrust23THRUST_200600_302600_NS6detail15normal_iteratorINSC_10device_ptrIKjEEEESI_EEEEESK_NSA_INS5_IJNSE_INSF_IjEEEESM_EEEEEPS7_SP_SP_NSC_11hip_rocprim7__merge17predicate_wrapperIjjNSC_7greaterIjEEEEEE10hipError_tPvRmT0_T1_T2_T3_T4_T5_mmT6_P12ihipStream_tbEUlT_E_NS1_11comp_targetILNS1_3genE10ELNS1_11target_archE1201ELNS1_3gpuE5ELNS1_3repE0EEENS1_30default_config_static_selectorELNS0_4arch9wavefront6targetE0EEEvS10_
	.p2align	8
	.type	_ZN7rocprim17ROCPRIM_400000_NS6detail17trampoline_kernelINS0_14default_configENS1_21merge_config_selectorINS0_5tupleIJjjEEENS0_10empty_typeEEEZNS1_10merge_implIS3_NS0_12zip_iteratorINS5_IJN6thrust23THRUST_200600_302600_NS6detail15normal_iteratorINSC_10device_ptrIKjEEEESI_EEEEESK_NSA_INS5_IJNSE_INSF_IjEEEESM_EEEEEPS7_SP_SP_NSC_11hip_rocprim7__merge17predicate_wrapperIjjNSC_7greaterIjEEEEEE10hipError_tPvRmT0_T1_T2_T3_T4_T5_mmT6_P12ihipStream_tbEUlT_E_NS1_11comp_targetILNS1_3genE10ELNS1_11target_archE1201ELNS1_3gpuE5ELNS1_3repE0EEENS1_30default_config_static_selectorELNS0_4arch9wavefront6targetE0EEEvS10_,@function
_ZN7rocprim17ROCPRIM_400000_NS6detail17trampoline_kernelINS0_14default_configENS1_21merge_config_selectorINS0_5tupleIJjjEEENS0_10empty_typeEEEZNS1_10merge_implIS3_NS0_12zip_iteratorINS5_IJN6thrust23THRUST_200600_302600_NS6detail15normal_iteratorINSC_10device_ptrIKjEEEESI_EEEEESK_NSA_INS5_IJNSE_INSF_IjEEEESM_EEEEEPS7_SP_SP_NSC_11hip_rocprim7__merge17predicate_wrapperIjjNSC_7greaterIjEEEEEE10hipError_tPvRmT0_T1_T2_T3_T4_T5_mmT6_P12ihipStream_tbEUlT_E_NS1_11comp_targetILNS1_3genE10ELNS1_11target_archE1201ELNS1_3gpuE5ELNS1_3repE0EEENS1_30default_config_static_selectorELNS0_4arch9wavefront6targetE0EEEvS10_: ; @_ZN7rocprim17ROCPRIM_400000_NS6detail17trampoline_kernelINS0_14default_configENS1_21merge_config_selectorINS0_5tupleIJjjEEENS0_10empty_typeEEEZNS1_10merge_implIS3_NS0_12zip_iteratorINS5_IJN6thrust23THRUST_200600_302600_NS6detail15normal_iteratorINSC_10device_ptrIKjEEEESI_EEEEESK_NSA_INS5_IJNSE_INSF_IjEEEESM_EEEEEPS7_SP_SP_NSC_11hip_rocprim7__merge17predicate_wrapperIjjNSC_7greaterIjEEEEEE10hipError_tPvRmT0_T1_T2_T3_T4_T5_mmT6_P12ihipStream_tbEUlT_E_NS1_11comp_targetILNS1_3genE10ELNS1_11target_archE1201ELNS1_3gpuE5ELNS1_3repE0EEENS1_30default_config_static_selectorELNS0_4arch9wavefront6targetE0EEEvS10_
; %bb.0:
	.section	.rodata,"a",@progbits
	.p2align	6, 0x0
	.amdhsa_kernel _ZN7rocprim17ROCPRIM_400000_NS6detail17trampoline_kernelINS0_14default_configENS1_21merge_config_selectorINS0_5tupleIJjjEEENS0_10empty_typeEEEZNS1_10merge_implIS3_NS0_12zip_iteratorINS5_IJN6thrust23THRUST_200600_302600_NS6detail15normal_iteratorINSC_10device_ptrIKjEEEESI_EEEEESK_NSA_INS5_IJNSE_INSF_IjEEEESM_EEEEEPS7_SP_SP_NSC_11hip_rocprim7__merge17predicate_wrapperIjjNSC_7greaterIjEEEEEE10hipError_tPvRmT0_T1_T2_T3_T4_T5_mmT6_P12ihipStream_tbEUlT_E_NS1_11comp_targetILNS1_3genE10ELNS1_11target_archE1201ELNS1_3gpuE5ELNS1_3repE0EEENS1_30default_config_static_selectorELNS0_4arch9wavefront6targetE0EEEvS10_
		.amdhsa_group_segment_fixed_size 0
		.amdhsa_private_segment_fixed_size 0
		.amdhsa_kernarg_size 64
		.amdhsa_user_sgpr_count 6
		.amdhsa_user_sgpr_private_segment_buffer 1
		.amdhsa_user_sgpr_dispatch_ptr 0
		.amdhsa_user_sgpr_queue_ptr 0
		.amdhsa_user_sgpr_kernarg_segment_ptr 1
		.amdhsa_user_sgpr_dispatch_id 0
		.amdhsa_user_sgpr_flat_scratch_init 0
		.amdhsa_user_sgpr_private_segment_size 0
		.amdhsa_wavefront_size32 1
		.amdhsa_uses_dynamic_stack 0
		.amdhsa_system_sgpr_private_segment_wavefront_offset 0
		.amdhsa_system_sgpr_workgroup_id_x 1
		.amdhsa_system_sgpr_workgroup_id_y 0
		.amdhsa_system_sgpr_workgroup_id_z 0
		.amdhsa_system_sgpr_workgroup_info 0
		.amdhsa_system_vgpr_workitem_id 0
		.amdhsa_next_free_vgpr 1
		.amdhsa_next_free_sgpr 1
		.amdhsa_reserve_vcc 0
		.amdhsa_reserve_flat_scratch 0
		.amdhsa_float_round_mode_32 0
		.amdhsa_float_round_mode_16_64 0
		.amdhsa_float_denorm_mode_32 3
		.amdhsa_float_denorm_mode_16_64 3
		.amdhsa_dx10_clamp 1
		.amdhsa_ieee_mode 1
		.amdhsa_fp16_overflow 0
		.amdhsa_workgroup_processor_mode 1
		.amdhsa_memory_ordered 1
		.amdhsa_forward_progress 1
		.amdhsa_shared_vgpr_count 0
		.amdhsa_exception_fp_ieee_invalid_op 0
		.amdhsa_exception_fp_denorm_src 0
		.amdhsa_exception_fp_ieee_div_zero 0
		.amdhsa_exception_fp_ieee_overflow 0
		.amdhsa_exception_fp_ieee_underflow 0
		.amdhsa_exception_fp_ieee_inexact 0
		.amdhsa_exception_int_div_zero 0
	.end_amdhsa_kernel
	.section	.text._ZN7rocprim17ROCPRIM_400000_NS6detail17trampoline_kernelINS0_14default_configENS1_21merge_config_selectorINS0_5tupleIJjjEEENS0_10empty_typeEEEZNS1_10merge_implIS3_NS0_12zip_iteratorINS5_IJN6thrust23THRUST_200600_302600_NS6detail15normal_iteratorINSC_10device_ptrIKjEEEESI_EEEEESK_NSA_INS5_IJNSE_INSF_IjEEEESM_EEEEEPS7_SP_SP_NSC_11hip_rocprim7__merge17predicate_wrapperIjjNSC_7greaterIjEEEEEE10hipError_tPvRmT0_T1_T2_T3_T4_T5_mmT6_P12ihipStream_tbEUlT_E_NS1_11comp_targetILNS1_3genE10ELNS1_11target_archE1201ELNS1_3gpuE5ELNS1_3repE0EEENS1_30default_config_static_selectorELNS0_4arch9wavefront6targetE0EEEvS10_,"axG",@progbits,_ZN7rocprim17ROCPRIM_400000_NS6detail17trampoline_kernelINS0_14default_configENS1_21merge_config_selectorINS0_5tupleIJjjEEENS0_10empty_typeEEEZNS1_10merge_implIS3_NS0_12zip_iteratorINS5_IJN6thrust23THRUST_200600_302600_NS6detail15normal_iteratorINSC_10device_ptrIKjEEEESI_EEEEESK_NSA_INS5_IJNSE_INSF_IjEEEESM_EEEEEPS7_SP_SP_NSC_11hip_rocprim7__merge17predicate_wrapperIjjNSC_7greaterIjEEEEEE10hipError_tPvRmT0_T1_T2_T3_T4_T5_mmT6_P12ihipStream_tbEUlT_E_NS1_11comp_targetILNS1_3genE10ELNS1_11target_archE1201ELNS1_3gpuE5ELNS1_3repE0EEENS1_30default_config_static_selectorELNS0_4arch9wavefront6targetE0EEEvS10_,comdat
.Lfunc_end376:
	.size	_ZN7rocprim17ROCPRIM_400000_NS6detail17trampoline_kernelINS0_14default_configENS1_21merge_config_selectorINS0_5tupleIJjjEEENS0_10empty_typeEEEZNS1_10merge_implIS3_NS0_12zip_iteratorINS5_IJN6thrust23THRUST_200600_302600_NS6detail15normal_iteratorINSC_10device_ptrIKjEEEESI_EEEEESK_NSA_INS5_IJNSE_INSF_IjEEEESM_EEEEEPS7_SP_SP_NSC_11hip_rocprim7__merge17predicate_wrapperIjjNSC_7greaterIjEEEEEE10hipError_tPvRmT0_T1_T2_T3_T4_T5_mmT6_P12ihipStream_tbEUlT_E_NS1_11comp_targetILNS1_3genE10ELNS1_11target_archE1201ELNS1_3gpuE5ELNS1_3repE0EEENS1_30default_config_static_selectorELNS0_4arch9wavefront6targetE0EEEvS10_, .Lfunc_end376-_ZN7rocprim17ROCPRIM_400000_NS6detail17trampoline_kernelINS0_14default_configENS1_21merge_config_selectorINS0_5tupleIJjjEEENS0_10empty_typeEEEZNS1_10merge_implIS3_NS0_12zip_iteratorINS5_IJN6thrust23THRUST_200600_302600_NS6detail15normal_iteratorINSC_10device_ptrIKjEEEESI_EEEEESK_NSA_INS5_IJNSE_INSF_IjEEEESM_EEEEEPS7_SP_SP_NSC_11hip_rocprim7__merge17predicate_wrapperIjjNSC_7greaterIjEEEEEE10hipError_tPvRmT0_T1_T2_T3_T4_T5_mmT6_P12ihipStream_tbEUlT_E_NS1_11comp_targetILNS1_3genE10ELNS1_11target_archE1201ELNS1_3gpuE5ELNS1_3repE0EEENS1_30default_config_static_selectorELNS0_4arch9wavefront6targetE0EEEvS10_
                                        ; -- End function
	.set _ZN7rocprim17ROCPRIM_400000_NS6detail17trampoline_kernelINS0_14default_configENS1_21merge_config_selectorINS0_5tupleIJjjEEENS0_10empty_typeEEEZNS1_10merge_implIS3_NS0_12zip_iteratorINS5_IJN6thrust23THRUST_200600_302600_NS6detail15normal_iteratorINSC_10device_ptrIKjEEEESI_EEEEESK_NSA_INS5_IJNSE_INSF_IjEEEESM_EEEEEPS7_SP_SP_NSC_11hip_rocprim7__merge17predicate_wrapperIjjNSC_7greaterIjEEEEEE10hipError_tPvRmT0_T1_T2_T3_T4_T5_mmT6_P12ihipStream_tbEUlT_E_NS1_11comp_targetILNS1_3genE10ELNS1_11target_archE1201ELNS1_3gpuE5ELNS1_3repE0EEENS1_30default_config_static_selectorELNS0_4arch9wavefront6targetE0EEEvS10_.num_vgpr, 0
	.set _ZN7rocprim17ROCPRIM_400000_NS6detail17trampoline_kernelINS0_14default_configENS1_21merge_config_selectorINS0_5tupleIJjjEEENS0_10empty_typeEEEZNS1_10merge_implIS3_NS0_12zip_iteratorINS5_IJN6thrust23THRUST_200600_302600_NS6detail15normal_iteratorINSC_10device_ptrIKjEEEESI_EEEEESK_NSA_INS5_IJNSE_INSF_IjEEEESM_EEEEEPS7_SP_SP_NSC_11hip_rocprim7__merge17predicate_wrapperIjjNSC_7greaterIjEEEEEE10hipError_tPvRmT0_T1_T2_T3_T4_T5_mmT6_P12ihipStream_tbEUlT_E_NS1_11comp_targetILNS1_3genE10ELNS1_11target_archE1201ELNS1_3gpuE5ELNS1_3repE0EEENS1_30default_config_static_selectorELNS0_4arch9wavefront6targetE0EEEvS10_.num_agpr, 0
	.set _ZN7rocprim17ROCPRIM_400000_NS6detail17trampoline_kernelINS0_14default_configENS1_21merge_config_selectorINS0_5tupleIJjjEEENS0_10empty_typeEEEZNS1_10merge_implIS3_NS0_12zip_iteratorINS5_IJN6thrust23THRUST_200600_302600_NS6detail15normal_iteratorINSC_10device_ptrIKjEEEESI_EEEEESK_NSA_INS5_IJNSE_INSF_IjEEEESM_EEEEEPS7_SP_SP_NSC_11hip_rocprim7__merge17predicate_wrapperIjjNSC_7greaterIjEEEEEE10hipError_tPvRmT0_T1_T2_T3_T4_T5_mmT6_P12ihipStream_tbEUlT_E_NS1_11comp_targetILNS1_3genE10ELNS1_11target_archE1201ELNS1_3gpuE5ELNS1_3repE0EEENS1_30default_config_static_selectorELNS0_4arch9wavefront6targetE0EEEvS10_.numbered_sgpr, 0
	.set _ZN7rocprim17ROCPRIM_400000_NS6detail17trampoline_kernelINS0_14default_configENS1_21merge_config_selectorINS0_5tupleIJjjEEENS0_10empty_typeEEEZNS1_10merge_implIS3_NS0_12zip_iteratorINS5_IJN6thrust23THRUST_200600_302600_NS6detail15normal_iteratorINSC_10device_ptrIKjEEEESI_EEEEESK_NSA_INS5_IJNSE_INSF_IjEEEESM_EEEEEPS7_SP_SP_NSC_11hip_rocprim7__merge17predicate_wrapperIjjNSC_7greaterIjEEEEEE10hipError_tPvRmT0_T1_T2_T3_T4_T5_mmT6_P12ihipStream_tbEUlT_E_NS1_11comp_targetILNS1_3genE10ELNS1_11target_archE1201ELNS1_3gpuE5ELNS1_3repE0EEENS1_30default_config_static_selectorELNS0_4arch9wavefront6targetE0EEEvS10_.num_named_barrier, 0
	.set _ZN7rocprim17ROCPRIM_400000_NS6detail17trampoline_kernelINS0_14default_configENS1_21merge_config_selectorINS0_5tupleIJjjEEENS0_10empty_typeEEEZNS1_10merge_implIS3_NS0_12zip_iteratorINS5_IJN6thrust23THRUST_200600_302600_NS6detail15normal_iteratorINSC_10device_ptrIKjEEEESI_EEEEESK_NSA_INS5_IJNSE_INSF_IjEEEESM_EEEEEPS7_SP_SP_NSC_11hip_rocprim7__merge17predicate_wrapperIjjNSC_7greaterIjEEEEEE10hipError_tPvRmT0_T1_T2_T3_T4_T5_mmT6_P12ihipStream_tbEUlT_E_NS1_11comp_targetILNS1_3genE10ELNS1_11target_archE1201ELNS1_3gpuE5ELNS1_3repE0EEENS1_30default_config_static_selectorELNS0_4arch9wavefront6targetE0EEEvS10_.private_seg_size, 0
	.set _ZN7rocprim17ROCPRIM_400000_NS6detail17trampoline_kernelINS0_14default_configENS1_21merge_config_selectorINS0_5tupleIJjjEEENS0_10empty_typeEEEZNS1_10merge_implIS3_NS0_12zip_iteratorINS5_IJN6thrust23THRUST_200600_302600_NS6detail15normal_iteratorINSC_10device_ptrIKjEEEESI_EEEEESK_NSA_INS5_IJNSE_INSF_IjEEEESM_EEEEEPS7_SP_SP_NSC_11hip_rocprim7__merge17predicate_wrapperIjjNSC_7greaterIjEEEEEE10hipError_tPvRmT0_T1_T2_T3_T4_T5_mmT6_P12ihipStream_tbEUlT_E_NS1_11comp_targetILNS1_3genE10ELNS1_11target_archE1201ELNS1_3gpuE5ELNS1_3repE0EEENS1_30default_config_static_selectorELNS0_4arch9wavefront6targetE0EEEvS10_.uses_vcc, 0
	.set _ZN7rocprim17ROCPRIM_400000_NS6detail17trampoline_kernelINS0_14default_configENS1_21merge_config_selectorINS0_5tupleIJjjEEENS0_10empty_typeEEEZNS1_10merge_implIS3_NS0_12zip_iteratorINS5_IJN6thrust23THRUST_200600_302600_NS6detail15normal_iteratorINSC_10device_ptrIKjEEEESI_EEEEESK_NSA_INS5_IJNSE_INSF_IjEEEESM_EEEEEPS7_SP_SP_NSC_11hip_rocprim7__merge17predicate_wrapperIjjNSC_7greaterIjEEEEEE10hipError_tPvRmT0_T1_T2_T3_T4_T5_mmT6_P12ihipStream_tbEUlT_E_NS1_11comp_targetILNS1_3genE10ELNS1_11target_archE1201ELNS1_3gpuE5ELNS1_3repE0EEENS1_30default_config_static_selectorELNS0_4arch9wavefront6targetE0EEEvS10_.uses_flat_scratch, 0
	.set _ZN7rocprim17ROCPRIM_400000_NS6detail17trampoline_kernelINS0_14default_configENS1_21merge_config_selectorINS0_5tupleIJjjEEENS0_10empty_typeEEEZNS1_10merge_implIS3_NS0_12zip_iteratorINS5_IJN6thrust23THRUST_200600_302600_NS6detail15normal_iteratorINSC_10device_ptrIKjEEEESI_EEEEESK_NSA_INS5_IJNSE_INSF_IjEEEESM_EEEEEPS7_SP_SP_NSC_11hip_rocprim7__merge17predicate_wrapperIjjNSC_7greaterIjEEEEEE10hipError_tPvRmT0_T1_T2_T3_T4_T5_mmT6_P12ihipStream_tbEUlT_E_NS1_11comp_targetILNS1_3genE10ELNS1_11target_archE1201ELNS1_3gpuE5ELNS1_3repE0EEENS1_30default_config_static_selectorELNS0_4arch9wavefront6targetE0EEEvS10_.has_dyn_sized_stack, 0
	.set _ZN7rocprim17ROCPRIM_400000_NS6detail17trampoline_kernelINS0_14default_configENS1_21merge_config_selectorINS0_5tupleIJjjEEENS0_10empty_typeEEEZNS1_10merge_implIS3_NS0_12zip_iteratorINS5_IJN6thrust23THRUST_200600_302600_NS6detail15normal_iteratorINSC_10device_ptrIKjEEEESI_EEEEESK_NSA_INS5_IJNSE_INSF_IjEEEESM_EEEEEPS7_SP_SP_NSC_11hip_rocprim7__merge17predicate_wrapperIjjNSC_7greaterIjEEEEEE10hipError_tPvRmT0_T1_T2_T3_T4_T5_mmT6_P12ihipStream_tbEUlT_E_NS1_11comp_targetILNS1_3genE10ELNS1_11target_archE1201ELNS1_3gpuE5ELNS1_3repE0EEENS1_30default_config_static_selectorELNS0_4arch9wavefront6targetE0EEEvS10_.has_recursion, 0
	.set _ZN7rocprim17ROCPRIM_400000_NS6detail17trampoline_kernelINS0_14default_configENS1_21merge_config_selectorINS0_5tupleIJjjEEENS0_10empty_typeEEEZNS1_10merge_implIS3_NS0_12zip_iteratorINS5_IJN6thrust23THRUST_200600_302600_NS6detail15normal_iteratorINSC_10device_ptrIKjEEEESI_EEEEESK_NSA_INS5_IJNSE_INSF_IjEEEESM_EEEEEPS7_SP_SP_NSC_11hip_rocprim7__merge17predicate_wrapperIjjNSC_7greaterIjEEEEEE10hipError_tPvRmT0_T1_T2_T3_T4_T5_mmT6_P12ihipStream_tbEUlT_E_NS1_11comp_targetILNS1_3genE10ELNS1_11target_archE1201ELNS1_3gpuE5ELNS1_3repE0EEENS1_30default_config_static_selectorELNS0_4arch9wavefront6targetE0EEEvS10_.has_indirect_call, 0
	.section	.AMDGPU.csdata,"",@progbits
; Kernel info:
; codeLenInByte = 0
; TotalNumSgprs: 0
; NumVgprs: 0
; ScratchSize: 0
; MemoryBound: 0
; FloatMode: 240
; IeeeMode: 1
; LDSByteSize: 0 bytes/workgroup (compile time only)
; SGPRBlocks: 0
; VGPRBlocks: 0
; NumSGPRsForWavesPerEU: 1
; NumVGPRsForWavesPerEU: 1
; Occupancy: 16
; WaveLimiterHint : 0
; COMPUTE_PGM_RSRC2:SCRATCH_EN: 0
; COMPUTE_PGM_RSRC2:USER_SGPR: 6
; COMPUTE_PGM_RSRC2:TRAP_HANDLER: 0
; COMPUTE_PGM_RSRC2:TGID_X_EN: 1
; COMPUTE_PGM_RSRC2:TGID_Y_EN: 0
; COMPUTE_PGM_RSRC2:TGID_Z_EN: 0
; COMPUTE_PGM_RSRC2:TIDIG_COMP_CNT: 0
	.section	.text._ZN7rocprim17ROCPRIM_400000_NS6detail17trampoline_kernelINS0_14default_configENS1_21merge_config_selectorINS0_5tupleIJjjEEENS0_10empty_typeEEEZNS1_10merge_implIS3_NS0_12zip_iteratorINS5_IJN6thrust23THRUST_200600_302600_NS6detail15normal_iteratorINSC_10device_ptrIKjEEEESI_EEEEESK_NSA_INS5_IJNSE_INSF_IjEEEESM_EEEEEPS7_SP_SP_NSC_11hip_rocprim7__merge17predicate_wrapperIjjNSC_7greaterIjEEEEEE10hipError_tPvRmT0_T1_T2_T3_T4_T5_mmT6_P12ihipStream_tbEUlT_E_NS1_11comp_targetILNS1_3genE10ELNS1_11target_archE1200ELNS1_3gpuE4ELNS1_3repE0EEENS1_30default_config_static_selectorELNS0_4arch9wavefront6targetE0EEEvS10_,"axG",@progbits,_ZN7rocprim17ROCPRIM_400000_NS6detail17trampoline_kernelINS0_14default_configENS1_21merge_config_selectorINS0_5tupleIJjjEEENS0_10empty_typeEEEZNS1_10merge_implIS3_NS0_12zip_iteratorINS5_IJN6thrust23THRUST_200600_302600_NS6detail15normal_iteratorINSC_10device_ptrIKjEEEESI_EEEEESK_NSA_INS5_IJNSE_INSF_IjEEEESM_EEEEEPS7_SP_SP_NSC_11hip_rocprim7__merge17predicate_wrapperIjjNSC_7greaterIjEEEEEE10hipError_tPvRmT0_T1_T2_T3_T4_T5_mmT6_P12ihipStream_tbEUlT_E_NS1_11comp_targetILNS1_3genE10ELNS1_11target_archE1200ELNS1_3gpuE4ELNS1_3repE0EEENS1_30default_config_static_selectorELNS0_4arch9wavefront6targetE0EEEvS10_,comdat
	.protected	_ZN7rocprim17ROCPRIM_400000_NS6detail17trampoline_kernelINS0_14default_configENS1_21merge_config_selectorINS0_5tupleIJjjEEENS0_10empty_typeEEEZNS1_10merge_implIS3_NS0_12zip_iteratorINS5_IJN6thrust23THRUST_200600_302600_NS6detail15normal_iteratorINSC_10device_ptrIKjEEEESI_EEEEESK_NSA_INS5_IJNSE_INSF_IjEEEESM_EEEEEPS7_SP_SP_NSC_11hip_rocprim7__merge17predicate_wrapperIjjNSC_7greaterIjEEEEEE10hipError_tPvRmT0_T1_T2_T3_T4_T5_mmT6_P12ihipStream_tbEUlT_E_NS1_11comp_targetILNS1_3genE10ELNS1_11target_archE1200ELNS1_3gpuE4ELNS1_3repE0EEENS1_30default_config_static_selectorELNS0_4arch9wavefront6targetE0EEEvS10_ ; -- Begin function _ZN7rocprim17ROCPRIM_400000_NS6detail17trampoline_kernelINS0_14default_configENS1_21merge_config_selectorINS0_5tupleIJjjEEENS0_10empty_typeEEEZNS1_10merge_implIS3_NS0_12zip_iteratorINS5_IJN6thrust23THRUST_200600_302600_NS6detail15normal_iteratorINSC_10device_ptrIKjEEEESI_EEEEESK_NSA_INS5_IJNSE_INSF_IjEEEESM_EEEEEPS7_SP_SP_NSC_11hip_rocprim7__merge17predicate_wrapperIjjNSC_7greaterIjEEEEEE10hipError_tPvRmT0_T1_T2_T3_T4_T5_mmT6_P12ihipStream_tbEUlT_E_NS1_11comp_targetILNS1_3genE10ELNS1_11target_archE1200ELNS1_3gpuE4ELNS1_3repE0EEENS1_30default_config_static_selectorELNS0_4arch9wavefront6targetE0EEEvS10_
	.globl	_ZN7rocprim17ROCPRIM_400000_NS6detail17trampoline_kernelINS0_14default_configENS1_21merge_config_selectorINS0_5tupleIJjjEEENS0_10empty_typeEEEZNS1_10merge_implIS3_NS0_12zip_iteratorINS5_IJN6thrust23THRUST_200600_302600_NS6detail15normal_iteratorINSC_10device_ptrIKjEEEESI_EEEEESK_NSA_INS5_IJNSE_INSF_IjEEEESM_EEEEEPS7_SP_SP_NSC_11hip_rocprim7__merge17predicate_wrapperIjjNSC_7greaterIjEEEEEE10hipError_tPvRmT0_T1_T2_T3_T4_T5_mmT6_P12ihipStream_tbEUlT_E_NS1_11comp_targetILNS1_3genE10ELNS1_11target_archE1200ELNS1_3gpuE4ELNS1_3repE0EEENS1_30default_config_static_selectorELNS0_4arch9wavefront6targetE0EEEvS10_
	.p2align	8
	.type	_ZN7rocprim17ROCPRIM_400000_NS6detail17trampoline_kernelINS0_14default_configENS1_21merge_config_selectorINS0_5tupleIJjjEEENS0_10empty_typeEEEZNS1_10merge_implIS3_NS0_12zip_iteratorINS5_IJN6thrust23THRUST_200600_302600_NS6detail15normal_iteratorINSC_10device_ptrIKjEEEESI_EEEEESK_NSA_INS5_IJNSE_INSF_IjEEEESM_EEEEEPS7_SP_SP_NSC_11hip_rocprim7__merge17predicate_wrapperIjjNSC_7greaterIjEEEEEE10hipError_tPvRmT0_T1_T2_T3_T4_T5_mmT6_P12ihipStream_tbEUlT_E_NS1_11comp_targetILNS1_3genE10ELNS1_11target_archE1200ELNS1_3gpuE4ELNS1_3repE0EEENS1_30default_config_static_selectorELNS0_4arch9wavefront6targetE0EEEvS10_,@function
_ZN7rocprim17ROCPRIM_400000_NS6detail17trampoline_kernelINS0_14default_configENS1_21merge_config_selectorINS0_5tupleIJjjEEENS0_10empty_typeEEEZNS1_10merge_implIS3_NS0_12zip_iteratorINS5_IJN6thrust23THRUST_200600_302600_NS6detail15normal_iteratorINSC_10device_ptrIKjEEEESI_EEEEESK_NSA_INS5_IJNSE_INSF_IjEEEESM_EEEEEPS7_SP_SP_NSC_11hip_rocprim7__merge17predicate_wrapperIjjNSC_7greaterIjEEEEEE10hipError_tPvRmT0_T1_T2_T3_T4_T5_mmT6_P12ihipStream_tbEUlT_E_NS1_11comp_targetILNS1_3genE10ELNS1_11target_archE1200ELNS1_3gpuE4ELNS1_3repE0EEENS1_30default_config_static_selectorELNS0_4arch9wavefront6targetE0EEEvS10_: ; @_ZN7rocprim17ROCPRIM_400000_NS6detail17trampoline_kernelINS0_14default_configENS1_21merge_config_selectorINS0_5tupleIJjjEEENS0_10empty_typeEEEZNS1_10merge_implIS3_NS0_12zip_iteratorINS5_IJN6thrust23THRUST_200600_302600_NS6detail15normal_iteratorINSC_10device_ptrIKjEEEESI_EEEEESK_NSA_INS5_IJNSE_INSF_IjEEEESM_EEEEEPS7_SP_SP_NSC_11hip_rocprim7__merge17predicate_wrapperIjjNSC_7greaterIjEEEEEE10hipError_tPvRmT0_T1_T2_T3_T4_T5_mmT6_P12ihipStream_tbEUlT_E_NS1_11comp_targetILNS1_3genE10ELNS1_11target_archE1200ELNS1_3gpuE4ELNS1_3repE0EEENS1_30default_config_static_selectorELNS0_4arch9wavefront6targetE0EEEvS10_
; %bb.0:
	.section	.rodata,"a",@progbits
	.p2align	6, 0x0
	.amdhsa_kernel _ZN7rocprim17ROCPRIM_400000_NS6detail17trampoline_kernelINS0_14default_configENS1_21merge_config_selectorINS0_5tupleIJjjEEENS0_10empty_typeEEEZNS1_10merge_implIS3_NS0_12zip_iteratorINS5_IJN6thrust23THRUST_200600_302600_NS6detail15normal_iteratorINSC_10device_ptrIKjEEEESI_EEEEESK_NSA_INS5_IJNSE_INSF_IjEEEESM_EEEEEPS7_SP_SP_NSC_11hip_rocprim7__merge17predicate_wrapperIjjNSC_7greaterIjEEEEEE10hipError_tPvRmT0_T1_T2_T3_T4_T5_mmT6_P12ihipStream_tbEUlT_E_NS1_11comp_targetILNS1_3genE10ELNS1_11target_archE1200ELNS1_3gpuE4ELNS1_3repE0EEENS1_30default_config_static_selectorELNS0_4arch9wavefront6targetE0EEEvS10_
		.amdhsa_group_segment_fixed_size 0
		.amdhsa_private_segment_fixed_size 0
		.amdhsa_kernarg_size 64
		.amdhsa_user_sgpr_count 6
		.amdhsa_user_sgpr_private_segment_buffer 1
		.amdhsa_user_sgpr_dispatch_ptr 0
		.amdhsa_user_sgpr_queue_ptr 0
		.amdhsa_user_sgpr_kernarg_segment_ptr 1
		.amdhsa_user_sgpr_dispatch_id 0
		.amdhsa_user_sgpr_flat_scratch_init 0
		.amdhsa_user_sgpr_private_segment_size 0
		.amdhsa_wavefront_size32 1
		.amdhsa_uses_dynamic_stack 0
		.amdhsa_system_sgpr_private_segment_wavefront_offset 0
		.amdhsa_system_sgpr_workgroup_id_x 1
		.amdhsa_system_sgpr_workgroup_id_y 0
		.amdhsa_system_sgpr_workgroup_id_z 0
		.amdhsa_system_sgpr_workgroup_info 0
		.amdhsa_system_vgpr_workitem_id 0
		.amdhsa_next_free_vgpr 1
		.amdhsa_next_free_sgpr 1
		.amdhsa_reserve_vcc 0
		.amdhsa_reserve_flat_scratch 0
		.amdhsa_float_round_mode_32 0
		.amdhsa_float_round_mode_16_64 0
		.amdhsa_float_denorm_mode_32 3
		.amdhsa_float_denorm_mode_16_64 3
		.amdhsa_dx10_clamp 1
		.amdhsa_ieee_mode 1
		.amdhsa_fp16_overflow 0
		.amdhsa_workgroup_processor_mode 1
		.amdhsa_memory_ordered 1
		.amdhsa_forward_progress 1
		.amdhsa_shared_vgpr_count 0
		.amdhsa_exception_fp_ieee_invalid_op 0
		.amdhsa_exception_fp_denorm_src 0
		.amdhsa_exception_fp_ieee_div_zero 0
		.amdhsa_exception_fp_ieee_overflow 0
		.amdhsa_exception_fp_ieee_underflow 0
		.amdhsa_exception_fp_ieee_inexact 0
		.amdhsa_exception_int_div_zero 0
	.end_amdhsa_kernel
	.section	.text._ZN7rocprim17ROCPRIM_400000_NS6detail17trampoline_kernelINS0_14default_configENS1_21merge_config_selectorINS0_5tupleIJjjEEENS0_10empty_typeEEEZNS1_10merge_implIS3_NS0_12zip_iteratorINS5_IJN6thrust23THRUST_200600_302600_NS6detail15normal_iteratorINSC_10device_ptrIKjEEEESI_EEEEESK_NSA_INS5_IJNSE_INSF_IjEEEESM_EEEEEPS7_SP_SP_NSC_11hip_rocprim7__merge17predicate_wrapperIjjNSC_7greaterIjEEEEEE10hipError_tPvRmT0_T1_T2_T3_T4_T5_mmT6_P12ihipStream_tbEUlT_E_NS1_11comp_targetILNS1_3genE10ELNS1_11target_archE1200ELNS1_3gpuE4ELNS1_3repE0EEENS1_30default_config_static_selectorELNS0_4arch9wavefront6targetE0EEEvS10_,"axG",@progbits,_ZN7rocprim17ROCPRIM_400000_NS6detail17trampoline_kernelINS0_14default_configENS1_21merge_config_selectorINS0_5tupleIJjjEEENS0_10empty_typeEEEZNS1_10merge_implIS3_NS0_12zip_iteratorINS5_IJN6thrust23THRUST_200600_302600_NS6detail15normal_iteratorINSC_10device_ptrIKjEEEESI_EEEEESK_NSA_INS5_IJNSE_INSF_IjEEEESM_EEEEEPS7_SP_SP_NSC_11hip_rocprim7__merge17predicate_wrapperIjjNSC_7greaterIjEEEEEE10hipError_tPvRmT0_T1_T2_T3_T4_T5_mmT6_P12ihipStream_tbEUlT_E_NS1_11comp_targetILNS1_3genE10ELNS1_11target_archE1200ELNS1_3gpuE4ELNS1_3repE0EEENS1_30default_config_static_selectorELNS0_4arch9wavefront6targetE0EEEvS10_,comdat
.Lfunc_end377:
	.size	_ZN7rocprim17ROCPRIM_400000_NS6detail17trampoline_kernelINS0_14default_configENS1_21merge_config_selectorINS0_5tupleIJjjEEENS0_10empty_typeEEEZNS1_10merge_implIS3_NS0_12zip_iteratorINS5_IJN6thrust23THRUST_200600_302600_NS6detail15normal_iteratorINSC_10device_ptrIKjEEEESI_EEEEESK_NSA_INS5_IJNSE_INSF_IjEEEESM_EEEEEPS7_SP_SP_NSC_11hip_rocprim7__merge17predicate_wrapperIjjNSC_7greaterIjEEEEEE10hipError_tPvRmT0_T1_T2_T3_T4_T5_mmT6_P12ihipStream_tbEUlT_E_NS1_11comp_targetILNS1_3genE10ELNS1_11target_archE1200ELNS1_3gpuE4ELNS1_3repE0EEENS1_30default_config_static_selectorELNS0_4arch9wavefront6targetE0EEEvS10_, .Lfunc_end377-_ZN7rocprim17ROCPRIM_400000_NS6detail17trampoline_kernelINS0_14default_configENS1_21merge_config_selectorINS0_5tupleIJjjEEENS0_10empty_typeEEEZNS1_10merge_implIS3_NS0_12zip_iteratorINS5_IJN6thrust23THRUST_200600_302600_NS6detail15normal_iteratorINSC_10device_ptrIKjEEEESI_EEEEESK_NSA_INS5_IJNSE_INSF_IjEEEESM_EEEEEPS7_SP_SP_NSC_11hip_rocprim7__merge17predicate_wrapperIjjNSC_7greaterIjEEEEEE10hipError_tPvRmT0_T1_T2_T3_T4_T5_mmT6_P12ihipStream_tbEUlT_E_NS1_11comp_targetILNS1_3genE10ELNS1_11target_archE1200ELNS1_3gpuE4ELNS1_3repE0EEENS1_30default_config_static_selectorELNS0_4arch9wavefront6targetE0EEEvS10_
                                        ; -- End function
	.set _ZN7rocprim17ROCPRIM_400000_NS6detail17trampoline_kernelINS0_14default_configENS1_21merge_config_selectorINS0_5tupleIJjjEEENS0_10empty_typeEEEZNS1_10merge_implIS3_NS0_12zip_iteratorINS5_IJN6thrust23THRUST_200600_302600_NS6detail15normal_iteratorINSC_10device_ptrIKjEEEESI_EEEEESK_NSA_INS5_IJNSE_INSF_IjEEEESM_EEEEEPS7_SP_SP_NSC_11hip_rocprim7__merge17predicate_wrapperIjjNSC_7greaterIjEEEEEE10hipError_tPvRmT0_T1_T2_T3_T4_T5_mmT6_P12ihipStream_tbEUlT_E_NS1_11comp_targetILNS1_3genE10ELNS1_11target_archE1200ELNS1_3gpuE4ELNS1_3repE0EEENS1_30default_config_static_selectorELNS0_4arch9wavefront6targetE0EEEvS10_.num_vgpr, 0
	.set _ZN7rocprim17ROCPRIM_400000_NS6detail17trampoline_kernelINS0_14default_configENS1_21merge_config_selectorINS0_5tupleIJjjEEENS0_10empty_typeEEEZNS1_10merge_implIS3_NS0_12zip_iteratorINS5_IJN6thrust23THRUST_200600_302600_NS6detail15normal_iteratorINSC_10device_ptrIKjEEEESI_EEEEESK_NSA_INS5_IJNSE_INSF_IjEEEESM_EEEEEPS7_SP_SP_NSC_11hip_rocprim7__merge17predicate_wrapperIjjNSC_7greaterIjEEEEEE10hipError_tPvRmT0_T1_T2_T3_T4_T5_mmT6_P12ihipStream_tbEUlT_E_NS1_11comp_targetILNS1_3genE10ELNS1_11target_archE1200ELNS1_3gpuE4ELNS1_3repE0EEENS1_30default_config_static_selectorELNS0_4arch9wavefront6targetE0EEEvS10_.num_agpr, 0
	.set _ZN7rocprim17ROCPRIM_400000_NS6detail17trampoline_kernelINS0_14default_configENS1_21merge_config_selectorINS0_5tupleIJjjEEENS0_10empty_typeEEEZNS1_10merge_implIS3_NS0_12zip_iteratorINS5_IJN6thrust23THRUST_200600_302600_NS6detail15normal_iteratorINSC_10device_ptrIKjEEEESI_EEEEESK_NSA_INS5_IJNSE_INSF_IjEEEESM_EEEEEPS7_SP_SP_NSC_11hip_rocprim7__merge17predicate_wrapperIjjNSC_7greaterIjEEEEEE10hipError_tPvRmT0_T1_T2_T3_T4_T5_mmT6_P12ihipStream_tbEUlT_E_NS1_11comp_targetILNS1_3genE10ELNS1_11target_archE1200ELNS1_3gpuE4ELNS1_3repE0EEENS1_30default_config_static_selectorELNS0_4arch9wavefront6targetE0EEEvS10_.numbered_sgpr, 0
	.set _ZN7rocprim17ROCPRIM_400000_NS6detail17trampoline_kernelINS0_14default_configENS1_21merge_config_selectorINS0_5tupleIJjjEEENS0_10empty_typeEEEZNS1_10merge_implIS3_NS0_12zip_iteratorINS5_IJN6thrust23THRUST_200600_302600_NS6detail15normal_iteratorINSC_10device_ptrIKjEEEESI_EEEEESK_NSA_INS5_IJNSE_INSF_IjEEEESM_EEEEEPS7_SP_SP_NSC_11hip_rocprim7__merge17predicate_wrapperIjjNSC_7greaterIjEEEEEE10hipError_tPvRmT0_T1_T2_T3_T4_T5_mmT6_P12ihipStream_tbEUlT_E_NS1_11comp_targetILNS1_3genE10ELNS1_11target_archE1200ELNS1_3gpuE4ELNS1_3repE0EEENS1_30default_config_static_selectorELNS0_4arch9wavefront6targetE0EEEvS10_.num_named_barrier, 0
	.set _ZN7rocprim17ROCPRIM_400000_NS6detail17trampoline_kernelINS0_14default_configENS1_21merge_config_selectorINS0_5tupleIJjjEEENS0_10empty_typeEEEZNS1_10merge_implIS3_NS0_12zip_iteratorINS5_IJN6thrust23THRUST_200600_302600_NS6detail15normal_iteratorINSC_10device_ptrIKjEEEESI_EEEEESK_NSA_INS5_IJNSE_INSF_IjEEEESM_EEEEEPS7_SP_SP_NSC_11hip_rocprim7__merge17predicate_wrapperIjjNSC_7greaterIjEEEEEE10hipError_tPvRmT0_T1_T2_T3_T4_T5_mmT6_P12ihipStream_tbEUlT_E_NS1_11comp_targetILNS1_3genE10ELNS1_11target_archE1200ELNS1_3gpuE4ELNS1_3repE0EEENS1_30default_config_static_selectorELNS0_4arch9wavefront6targetE0EEEvS10_.private_seg_size, 0
	.set _ZN7rocprim17ROCPRIM_400000_NS6detail17trampoline_kernelINS0_14default_configENS1_21merge_config_selectorINS0_5tupleIJjjEEENS0_10empty_typeEEEZNS1_10merge_implIS3_NS0_12zip_iteratorINS5_IJN6thrust23THRUST_200600_302600_NS6detail15normal_iteratorINSC_10device_ptrIKjEEEESI_EEEEESK_NSA_INS5_IJNSE_INSF_IjEEEESM_EEEEEPS7_SP_SP_NSC_11hip_rocprim7__merge17predicate_wrapperIjjNSC_7greaterIjEEEEEE10hipError_tPvRmT0_T1_T2_T3_T4_T5_mmT6_P12ihipStream_tbEUlT_E_NS1_11comp_targetILNS1_3genE10ELNS1_11target_archE1200ELNS1_3gpuE4ELNS1_3repE0EEENS1_30default_config_static_selectorELNS0_4arch9wavefront6targetE0EEEvS10_.uses_vcc, 0
	.set _ZN7rocprim17ROCPRIM_400000_NS6detail17trampoline_kernelINS0_14default_configENS1_21merge_config_selectorINS0_5tupleIJjjEEENS0_10empty_typeEEEZNS1_10merge_implIS3_NS0_12zip_iteratorINS5_IJN6thrust23THRUST_200600_302600_NS6detail15normal_iteratorINSC_10device_ptrIKjEEEESI_EEEEESK_NSA_INS5_IJNSE_INSF_IjEEEESM_EEEEEPS7_SP_SP_NSC_11hip_rocprim7__merge17predicate_wrapperIjjNSC_7greaterIjEEEEEE10hipError_tPvRmT0_T1_T2_T3_T4_T5_mmT6_P12ihipStream_tbEUlT_E_NS1_11comp_targetILNS1_3genE10ELNS1_11target_archE1200ELNS1_3gpuE4ELNS1_3repE0EEENS1_30default_config_static_selectorELNS0_4arch9wavefront6targetE0EEEvS10_.uses_flat_scratch, 0
	.set _ZN7rocprim17ROCPRIM_400000_NS6detail17trampoline_kernelINS0_14default_configENS1_21merge_config_selectorINS0_5tupleIJjjEEENS0_10empty_typeEEEZNS1_10merge_implIS3_NS0_12zip_iteratorINS5_IJN6thrust23THRUST_200600_302600_NS6detail15normal_iteratorINSC_10device_ptrIKjEEEESI_EEEEESK_NSA_INS5_IJNSE_INSF_IjEEEESM_EEEEEPS7_SP_SP_NSC_11hip_rocprim7__merge17predicate_wrapperIjjNSC_7greaterIjEEEEEE10hipError_tPvRmT0_T1_T2_T3_T4_T5_mmT6_P12ihipStream_tbEUlT_E_NS1_11comp_targetILNS1_3genE10ELNS1_11target_archE1200ELNS1_3gpuE4ELNS1_3repE0EEENS1_30default_config_static_selectorELNS0_4arch9wavefront6targetE0EEEvS10_.has_dyn_sized_stack, 0
	.set _ZN7rocprim17ROCPRIM_400000_NS6detail17trampoline_kernelINS0_14default_configENS1_21merge_config_selectorINS0_5tupleIJjjEEENS0_10empty_typeEEEZNS1_10merge_implIS3_NS0_12zip_iteratorINS5_IJN6thrust23THRUST_200600_302600_NS6detail15normal_iteratorINSC_10device_ptrIKjEEEESI_EEEEESK_NSA_INS5_IJNSE_INSF_IjEEEESM_EEEEEPS7_SP_SP_NSC_11hip_rocprim7__merge17predicate_wrapperIjjNSC_7greaterIjEEEEEE10hipError_tPvRmT0_T1_T2_T3_T4_T5_mmT6_P12ihipStream_tbEUlT_E_NS1_11comp_targetILNS1_3genE10ELNS1_11target_archE1200ELNS1_3gpuE4ELNS1_3repE0EEENS1_30default_config_static_selectorELNS0_4arch9wavefront6targetE0EEEvS10_.has_recursion, 0
	.set _ZN7rocprim17ROCPRIM_400000_NS6detail17trampoline_kernelINS0_14default_configENS1_21merge_config_selectorINS0_5tupleIJjjEEENS0_10empty_typeEEEZNS1_10merge_implIS3_NS0_12zip_iteratorINS5_IJN6thrust23THRUST_200600_302600_NS6detail15normal_iteratorINSC_10device_ptrIKjEEEESI_EEEEESK_NSA_INS5_IJNSE_INSF_IjEEEESM_EEEEEPS7_SP_SP_NSC_11hip_rocprim7__merge17predicate_wrapperIjjNSC_7greaterIjEEEEEE10hipError_tPvRmT0_T1_T2_T3_T4_T5_mmT6_P12ihipStream_tbEUlT_E_NS1_11comp_targetILNS1_3genE10ELNS1_11target_archE1200ELNS1_3gpuE4ELNS1_3repE0EEENS1_30default_config_static_selectorELNS0_4arch9wavefront6targetE0EEEvS10_.has_indirect_call, 0
	.section	.AMDGPU.csdata,"",@progbits
; Kernel info:
; codeLenInByte = 0
; TotalNumSgprs: 0
; NumVgprs: 0
; ScratchSize: 0
; MemoryBound: 0
; FloatMode: 240
; IeeeMode: 1
; LDSByteSize: 0 bytes/workgroup (compile time only)
; SGPRBlocks: 0
; VGPRBlocks: 0
; NumSGPRsForWavesPerEU: 1
; NumVGPRsForWavesPerEU: 1
; Occupancy: 16
; WaveLimiterHint : 0
; COMPUTE_PGM_RSRC2:SCRATCH_EN: 0
; COMPUTE_PGM_RSRC2:USER_SGPR: 6
; COMPUTE_PGM_RSRC2:TRAP_HANDLER: 0
; COMPUTE_PGM_RSRC2:TGID_X_EN: 1
; COMPUTE_PGM_RSRC2:TGID_Y_EN: 0
; COMPUTE_PGM_RSRC2:TGID_Z_EN: 0
; COMPUTE_PGM_RSRC2:TIDIG_COMP_CNT: 0
	.section	.text._ZN7rocprim17ROCPRIM_400000_NS6detail17trampoline_kernelINS0_14default_configENS1_21merge_config_selectorINS0_5tupleIJjjEEENS0_10empty_typeEEEZNS1_10merge_implIS3_NS0_12zip_iteratorINS5_IJN6thrust23THRUST_200600_302600_NS6detail15normal_iteratorINSC_10device_ptrIKjEEEESI_EEEEESK_NSA_INS5_IJNSE_INSF_IjEEEESM_EEEEEPS7_SP_SP_NSC_11hip_rocprim7__merge17predicate_wrapperIjjNSC_7greaterIjEEEEEE10hipError_tPvRmT0_T1_T2_T3_T4_T5_mmT6_P12ihipStream_tbEUlT_E_NS1_11comp_targetILNS1_3genE9ELNS1_11target_archE1100ELNS1_3gpuE3ELNS1_3repE0EEENS1_30default_config_static_selectorELNS0_4arch9wavefront6targetE0EEEvS10_,"axG",@progbits,_ZN7rocprim17ROCPRIM_400000_NS6detail17trampoline_kernelINS0_14default_configENS1_21merge_config_selectorINS0_5tupleIJjjEEENS0_10empty_typeEEEZNS1_10merge_implIS3_NS0_12zip_iteratorINS5_IJN6thrust23THRUST_200600_302600_NS6detail15normal_iteratorINSC_10device_ptrIKjEEEESI_EEEEESK_NSA_INS5_IJNSE_INSF_IjEEEESM_EEEEEPS7_SP_SP_NSC_11hip_rocprim7__merge17predicate_wrapperIjjNSC_7greaterIjEEEEEE10hipError_tPvRmT0_T1_T2_T3_T4_T5_mmT6_P12ihipStream_tbEUlT_E_NS1_11comp_targetILNS1_3genE9ELNS1_11target_archE1100ELNS1_3gpuE3ELNS1_3repE0EEENS1_30default_config_static_selectorELNS0_4arch9wavefront6targetE0EEEvS10_,comdat
	.protected	_ZN7rocprim17ROCPRIM_400000_NS6detail17trampoline_kernelINS0_14default_configENS1_21merge_config_selectorINS0_5tupleIJjjEEENS0_10empty_typeEEEZNS1_10merge_implIS3_NS0_12zip_iteratorINS5_IJN6thrust23THRUST_200600_302600_NS6detail15normal_iteratorINSC_10device_ptrIKjEEEESI_EEEEESK_NSA_INS5_IJNSE_INSF_IjEEEESM_EEEEEPS7_SP_SP_NSC_11hip_rocprim7__merge17predicate_wrapperIjjNSC_7greaterIjEEEEEE10hipError_tPvRmT0_T1_T2_T3_T4_T5_mmT6_P12ihipStream_tbEUlT_E_NS1_11comp_targetILNS1_3genE9ELNS1_11target_archE1100ELNS1_3gpuE3ELNS1_3repE0EEENS1_30default_config_static_selectorELNS0_4arch9wavefront6targetE0EEEvS10_ ; -- Begin function _ZN7rocprim17ROCPRIM_400000_NS6detail17trampoline_kernelINS0_14default_configENS1_21merge_config_selectorINS0_5tupleIJjjEEENS0_10empty_typeEEEZNS1_10merge_implIS3_NS0_12zip_iteratorINS5_IJN6thrust23THRUST_200600_302600_NS6detail15normal_iteratorINSC_10device_ptrIKjEEEESI_EEEEESK_NSA_INS5_IJNSE_INSF_IjEEEESM_EEEEEPS7_SP_SP_NSC_11hip_rocprim7__merge17predicate_wrapperIjjNSC_7greaterIjEEEEEE10hipError_tPvRmT0_T1_T2_T3_T4_T5_mmT6_P12ihipStream_tbEUlT_E_NS1_11comp_targetILNS1_3genE9ELNS1_11target_archE1100ELNS1_3gpuE3ELNS1_3repE0EEENS1_30default_config_static_selectorELNS0_4arch9wavefront6targetE0EEEvS10_
	.globl	_ZN7rocprim17ROCPRIM_400000_NS6detail17trampoline_kernelINS0_14default_configENS1_21merge_config_selectorINS0_5tupleIJjjEEENS0_10empty_typeEEEZNS1_10merge_implIS3_NS0_12zip_iteratorINS5_IJN6thrust23THRUST_200600_302600_NS6detail15normal_iteratorINSC_10device_ptrIKjEEEESI_EEEEESK_NSA_INS5_IJNSE_INSF_IjEEEESM_EEEEEPS7_SP_SP_NSC_11hip_rocprim7__merge17predicate_wrapperIjjNSC_7greaterIjEEEEEE10hipError_tPvRmT0_T1_T2_T3_T4_T5_mmT6_P12ihipStream_tbEUlT_E_NS1_11comp_targetILNS1_3genE9ELNS1_11target_archE1100ELNS1_3gpuE3ELNS1_3repE0EEENS1_30default_config_static_selectorELNS0_4arch9wavefront6targetE0EEEvS10_
	.p2align	8
	.type	_ZN7rocprim17ROCPRIM_400000_NS6detail17trampoline_kernelINS0_14default_configENS1_21merge_config_selectorINS0_5tupleIJjjEEENS0_10empty_typeEEEZNS1_10merge_implIS3_NS0_12zip_iteratorINS5_IJN6thrust23THRUST_200600_302600_NS6detail15normal_iteratorINSC_10device_ptrIKjEEEESI_EEEEESK_NSA_INS5_IJNSE_INSF_IjEEEESM_EEEEEPS7_SP_SP_NSC_11hip_rocprim7__merge17predicate_wrapperIjjNSC_7greaterIjEEEEEE10hipError_tPvRmT0_T1_T2_T3_T4_T5_mmT6_P12ihipStream_tbEUlT_E_NS1_11comp_targetILNS1_3genE9ELNS1_11target_archE1100ELNS1_3gpuE3ELNS1_3repE0EEENS1_30default_config_static_selectorELNS0_4arch9wavefront6targetE0EEEvS10_,@function
_ZN7rocprim17ROCPRIM_400000_NS6detail17trampoline_kernelINS0_14default_configENS1_21merge_config_selectorINS0_5tupleIJjjEEENS0_10empty_typeEEEZNS1_10merge_implIS3_NS0_12zip_iteratorINS5_IJN6thrust23THRUST_200600_302600_NS6detail15normal_iteratorINSC_10device_ptrIKjEEEESI_EEEEESK_NSA_INS5_IJNSE_INSF_IjEEEESM_EEEEEPS7_SP_SP_NSC_11hip_rocprim7__merge17predicate_wrapperIjjNSC_7greaterIjEEEEEE10hipError_tPvRmT0_T1_T2_T3_T4_T5_mmT6_P12ihipStream_tbEUlT_E_NS1_11comp_targetILNS1_3genE9ELNS1_11target_archE1100ELNS1_3gpuE3ELNS1_3repE0EEENS1_30default_config_static_selectorELNS0_4arch9wavefront6targetE0EEEvS10_: ; @_ZN7rocprim17ROCPRIM_400000_NS6detail17trampoline_kernelINS0_14default_configENS1_21merge_config_selectorINS0_5tupleIJjjEEENS0_10empty_typeEEEZNS1_10merge_implIS3_NS0_12zip_iteratorINS5_IJN6thrust23THRUST_200600_302600_NS6detail15normal_iteratorINSC_10device_ptrIKjEEEESI_EEEEESK_NSA_INS5_IJNSE_INSF_IjEEEESM_EEEEEPS7_SP_SP_NSC_11hip_rocprim7__merge17predicate_wrapperIjjNSC_7greaterIjEEEEEE10hipError_tPvRmT0_T1_T2_T3_T4_T5_mmT6_P12ihipStream_tbEUlT_E_NS1_11comp_targetILNS1_3genE9ELNS1_11target_archE1100ELNS1_3gpuE3ELNS1_3repE0EEENS1_30default_config_static_selectorELNS0_4arch9wavefront6targetE0EEEvS10_
; %bb.0:
	.section	.rodata,"a",@progbits
	.p2align	6, 0x0
	.amdhsa_kernel _ZN7rocprim17ROCPRIM_400000_NS6detail17trampoline_kernelINS0_14default_configENS1_21merge_config_selectorINS0_5tupleIJjjEEENS0_10empty_typeEEEZNS1_10merge_implIS3_NS0_12zip_iteratorINS5_IJN6thrust23THRUST_200600_302600_NS6detail15normal_iteratorINSC_10device_ptrIKjEEEESI_EEEEESK_NSA_INS5_IJNSE_INSF_IjEEEESM_EEEEEPS7_SP_SP_NSC_11hip_rocprim7__merge17predicate_wrapperIjjNSC_7greaterIjEEEEEE10hipError_tPvRmT0_T1_T2_T3_T4_T5_mmT6_P12ihipStream_tbEUlT_E_NS1_11comp_targetILNS1_3genE9ELNS1_11target_archE1100ELNS1_3gpuE3ELNS1_3repE0EEENS1_30default_config_static_selectorELNS0_4arch9wavefront6targetE0EEEvS10_
		.amdhsa_group_segment_fixed_size 0
		.amdhsa_private_segment_fixed_size 0
		.amdhsa_kernarg_size 64
		.amdhsa_user_sgpr_count 6
		.amdhsa_user_sgpr_private_segment_buffer 1
		.amdhsa_user_sgpr_dispatch_ptr 0
		.amdhsa_user_sgpr_queue_ptr 0
		.amdhsa_user_sgpr_kernarg_segment_ptr 1
		.amdhsa_user_sgpr_dispatch_id 0
		.amdhsa_user_sgpr_flat_scratch_init 0
		.amdhsa_user_sgpr_private_segment_size 0
		.amdhsa_wavefront_size32 1
		.amdhsa_uses_dynamic_stack 0
		.amdhsa_system_sgpr_private_segment_wavefront_offset 0
		.amdhsa_system_sgpr_workgroup_id_x 1
		.amdhsa_system_sgpr_workgroup_id_y 0
		.amdhsa_system_sgpr_workgroup_id_z 0
		.amdhsa_system_sgpr_workgroup_info 0
		.amdhsa_system_vgpr_workitem_id 0
		.amdhsa_next_free_vgpr 1
		.amdhsa_next_free_sgpr 1
		.amdhsa_reserve_vcc 0
		.amdhsa_reserve_flat_scratch 0
		.amdhsa_float_round_mode_32 0
		.amdhsa_float_round_mode_16_64 0
		.amdhsa_float_denorm_mode_32 3
		.amdhsa_float_denorm_mode_16_64 3
		.amdhsa_dx10_clamp 1
		.amdhsa_ieee_mode 1
		.amdhsa_fp16_overflow 0
		.amdhsa_workgroup_processor_mode 1
		.amdhsa_memory_ordered 1
		.amdhsa_forward_progress 1
		.amdhsa_shared_vgpr_count 0
		.amdhsa_exception_fp_ieee_invalid_op 0
		.amdhsa_exception_fp_denorm_src 0
		.amdhsa_exception_fp_ieee_div_zero 0
		.amdhsa_exception_fp_ieee_overflow 0
		.amdhsa_exception_fp_ieee_underflow 0
		.amdhsa_exception_fp_ieee_inexact 0
		.amdhsa_exception_int_div_zero 0
	.end_amdhsa_kernel
	.section	.text._ZN7rocprim17ROCPRIM_400000_NS6detail17trampoline_kernelINS0_14default_configENS1_21merge_config_selectorINS0_5tupleIJjjEEENS0_10empty_typeEEEZNS1_10merge_implIS3_NS0_12zip_iteratorINS5_IJN6thrust23THRUST_200600_302600_NS6detail15normal_iteratorINSC_10device_ptrIKjEEEESI_EEEEESK_NSA_INS5_IJNSE_INSF_IjEEEESM_EEEEEPS7_SP_SP_NSC_11hip_rocprim7__merge17predicate_wrapperIjjNSC_7greaterIjEEEEEE10hipError_tPvRmT0_T1_T2_T3_T4_T5_mmT6_P12ihipStream_tbEUlT_E_NS1_11comp_targetILNS1_3genE9ELNS1_11target_archE1100ELNS1_3gpuE3ELNS1_3repE0EEENS1_30default_config_static_selectorELNS0_4arch9wavefront6targetE0EEEvS10_,"axG",@progbits,_ZN7rocprim17ROCPRIM_400000_NS6detail17trampoline_kernelINS0_14default_configENS1_21merge_config_selectorINS0_5tupleIJjjEEENS0_10empty_typeEEEZNS1_10merge_implIS3_NS0_12zip_iteratorINS5_IJN6thrust23THRUST_200600_302600_NS6detail15normal_iteratorINSC_10device_ptrIKjEEEESI_EEEEESK_NSA_INS5_IJNSE_INSF_IjEEEESM_EEEEEPS7_SP_SP_NSC_11hip_rocprim7__merge17predicate_wrapperIjjNSC_7greaterIjEEEEEE10hipError_tPvRmT0_T1_T2_T3_T4_T5_mmT6_P12ihipStream_tbEUlT_E_NS1_11comp_targetILNS1_3genE9ELNS1_11target_archE1100ELNS1_3gpuE3ELNS1_3repE0EEENS1_30default_config_static_selectorELNS0_4arch9wavefront6targetE0EEEvS10_,comdat
.Lfunc_end378:
	.size	_ZN7rocprim17ROCPRIM_400000_NS6detail17trampoline_kernelINS0_14default_configENS1_21merge_config_selectorINS0_5tupleIJjjEEENS0_10empty_typeEEEZNS1_10merge_implIS3_NS0_12zip_iteratorINS5_IJN6thrust23THRUST_200600_302600_NS6detail15normal_iteratorINSC_10device_ptrIKjEEEESI_EEEEESK_NSA_INS5_IJNSE_INSF_IjEEEESM_EEEEEPS7_SP_SP_NSC_11hip_rocprim7__merge17predicate_wrapperIjjNSC_7greaterIjEEEEEE10hipError_tPvRmT0_T1_T2_T3_T4_T5_mmT6_P12ihipStream_tbEUlT_E_NS1_11comp_targetILNS1_3genE9ELNS1_11target_archE1100ELNS1_3gpuE3ELNS1_3repE0EEENS1_30default_config_static_selectorELNS0_4arch9wavefront6targetE0EEEvS10_, .Lfunc_end378-_ZN7rocprim17ROCPRIM_400000_NS6detail17trampoline_kernelINS0_14default_configENS1_21merge_config_selectorINS0_5tupleIJjjEEENS0_10empty_typeEEEZNS1_10merge_implIS3_NS0_12zip_iteratorINS5_IJN6thrust23THRUST_200600_302600_NS6detail15normal_iteratorINSC_10device_ptrIKjEEEESI_EEEEESK_NSA_INS5_IJNSE_INSF_IjEEEESM_EEEEEPS7_SP_SP_NSC_11hip_rocprim7__merge17predicate_wrapperIjjNSC_7greaterIjEEEEEE10hipError_tPvRmT0_T1_T2_T3_T4_T5_mmT6_P12ihipStream_tbEUlT_E_NS1_11comp_targetILNS1_3genE9ELNS1_11target_archE1100ELNS1_3gpuE3ELNS1_3repE0EEENS1_30default_config_static_selectorELNS0_4arch9wavefront6targetE0EEEvS10_
                                        ; -- End function
	.set _ZN7rocprim17ROCPRIM_400000_NS6detail17trampoline_kernelINS0_14default_configENS1_21merge_config_selectorINS0_5tupleIJjjEEENS0_10empty_typeEEEZNS1_10merge_implIS3_NS0_12zip_iteratorINS5_IJN6thrust23THRUST_200600_302600_NS6detail15normal_iteratorINSC_10device_ptrIKjEEEESI_EEEEESK_NSA_INS5_IJNSE_INSF_IjEEEESM_EEEEEPS7_SP_SP_NSC_11hip_rocprim7__merge17predicate_wrapperIjjNSC_7greaterIjEEEEEE10hipError_tPvRmT0_T1_T2_T3_T4_T5_mmT6_P12ihipStream_tbEUlT_E_NS1_11comp_targetILNS1_3genE9ELNS1_11target_archE1100ELNS1_3gpuE3ELNS1_3repE0EEENS1_30default_config_static_selectorELNS0_4arch9wavefront6targetE0EEEvS10_.num_vgpr, 0
	.set _ZN7rocprim17ROCPRIM_400000_NS6detail17trampoline_kernelINS0_14default_configENS1_21merge_config_selectorINS0_5tupleIJjjEEENS0_10empty_typeEEEZNS1_10merge_implIS3_NS0_12zip_iteratorINS5_IJN6thrust23THRUST_200600_302600_NS6detail15normal_iteratorINSC_10device_ptrIKjEEEESI_EEEEESK_NSA_INS5_IJNSE_INSF_IjEEEESM_EEEEEPS7_SP_SP_NSC_11hip_rocprim7__merge17predicate_wrapperIjjNSC_7greaterIjEEEEEE10hipError_tPvRmT0_T1_T2_T3_T4_T5_mmT6_P12ihipStream_tbEUlT_E_NS1_11comp_targetILNS1_3genE9ELNS1_11target_archE1100ELNS1_3gpuE3ELNS1_3repE0EEENS1_30default_config_static_selectorELNS0_4arch9wavefront6targetE0EEEvS10_.num_agpr, 0
	.set _ZN7rocprim17ROCPRIM_400000_NS6detail17trampoline_kernelINS0_14default_configENS1_21merge_config_selectorINS0_5tupleIJjjEEENS0_10empty_typeEEEZNS1_10merge_implIS3_NS0_12zip_iteratorINS5_IJN6thrust23THRUST_200600_302600_NS6detail15normal_iteratorINSC_10device_ptrIKjEEEESI_EEEEESK_NSA_INS5_IJNSE_INSF_IjEEEESM_EEEEEPS7_SP_SP_NSC_11hip_rocprim7__merge17predicate_wrapperIjjNSC_7greaterIjEEEEEE10hipError_tPvRmT0_T1_T2_T3_T4_T5_mmT6_P12ihipStream_tbEUlT_E_NS1_11comp_targetILNS1_3genE9ELNS1_11target_archE1100ELNS1_3gpuE3ELNS1_3repE0EEENS1_30default_config_static_selectorELNS0_4arch9wavefront6targetE0EEEvS10_.numbered_sgpr, 0
	.set _ZN7rocprim17ROCPRIM_400000_NS6detail17trampoline_kernelINS0_14default_configENS1_21merge_config_selectorINS0_5tupleIJjjEEENS0_10empty_typeEEEZNS1_10merge_implIS3_NS0_12zip_iteratorINS5_IJN6thrust23THRUST_200600_302600_NS6detail15normal_iteratorINSC_10device_ptrIKjEEEESI_EEEEESK_NSA_INS5_IJNSE_INSF_IjEEEESM_EEEEEPS7_SP_SP_NSC_11hip_rocprim7__merge17predicate_wrapperIjjNSC_7greaterIjEEEEEE10hipError_tPvRmT0_T1_T2_T3_T4_T5_mmT6_P12ihipStream_tbEUlT_E_NS1_11comp_targetILNS1_3genE9ELNS1_11target_archE1100ELNS1_3gpuE3ELNS1_3repE0EEENS1_30default_config_static_selectorELNS0_4arch9wavefront6targetE0EEEvS10_.num_named_barrier, 0
	.set _ZN7rocprim17ROCPRIM_400000_NS6detail17trampoline_kernelINS0_14default_configENS1_21merge_config_selectorINS0_5tupleIJjjEEENS0_10empty_typeEEEZNS1_10merge_implIS3_NS0_12zip_iteratorINS5_IJN6thrust23THRUST_200600_302600_NS6detail15normal_iteratorINSC_10device_ptrIKjEEEESI_EEEEESK_NSA_INS5_IJNSE_INSF_IjEEEESM_EEEEEPS7_SP_SP_NSC_11hip_rocprim7__merge17predicate_wrapperIjjNSC_7greaterIjEEEEEE10hipError_tPvRmT0_T1_T2_T3_T4_T5_mmT6_P12ihipStream_tbEUlT_E_NS1_11comp_targetILNS1_3genE9ELNS1_11target_archE1100ELNS1_3gpuE3ELNS1_3repE0EEENS1_30default_config_static_selectorELNS0_4arch9wavefront6targetE0EEEvS10_.private_seg_size, 0
	.set _ZN7rocprim17ROCPRIM_400000_NS6detail17trampoline_kernelINS0_14default_configENS1_21merge_config_selectorINS0_5tupleIJjjEEENS0_10empty_typeEEEZNS1_10merge_implIS3_NS0_12zip_iteratorINS5_IJN6thrust23THRUST_200600_302600_NS6detail15normal_iteratorINSC_10device_ptrIKjEEEESI_EEEEESK_NSA_INS5_IJNSE_INSF_IjEEEESM_EEEEEPS7_SP_SP_NSC_11hip_rocprim7__merge17predicate_wrapperIjjNSC_7greaterIjEEEEEE10hipError_tPvRmT0_T1_T2_T3_T4_T5_mmT6_P12ihipStream_tbEUlT_E_NS1_11comp_targetILNS1_3genE9ELNS1_11target_archE1100ELNS1_3gpuE3ELNS1_3repE0EEENS1_30default_config_static_selectorELNS0_4arch9wavefront6targetE0EEEvS10_.uses_vcc, 0
	.set _ZN7rocprim17ROCPRIM_400000_NS6detail17trampoline_kernelINS0_14default_configENS1_21merge_config_selectorINS0_5tupleIJjjEEENS0_10empty_typeEEEZNS1_10merge_implIS3_NS0_12zip_iteratorINS5_IJN6thrust23THRUST_200600_302600_NS6detail15normal_iteratorINSC_10device_ptrIKjEEEESI_EEEEESK_NSA_INS5_IJNSE_INSF_IjEEEESM_EEEEEPS7_SP_SP_NSC_11hip_rocprim7__merge17predicate_wrapperIjjNSC_7greaterIjEEEEEE10hipError_tPvRmT0_T1_T2_T3_T4_T5_mmT6_P12ihipStream_tbEUlT_E_NS1_11comp_targetILNS1_3genE9ELNS1_11target_archE1100ELNS1_3gpuE3ELNS1_3repE0EEENS1_30default_config_static_selectorELNS0_4arch9wavefront6targetE0EEEvS10_.uses_flat_scratch, 0
	.set _ZN7rocprim17ROCPRIM_400000_NS6detail17trampoline_kernelINS0_14default_configENS1_21merge_config_selectorINS0_5tupleIJjjEEENS0_10empty_typeEEEZNS1_10merge_implIS3_NS0_12zip_iteratorINS5_IJN6thrust23THRUST_200600_302600_NS6detail15normal_iteratorINSC_10device_ptrIKjEEEESI_EEEEESK_NSA_INS5_IJNSE_INSF_IjEEEESM_EEEEEPS7_SP_SP_NSC_11hip_rocprim7__merge17predicate_wrapperIjjNSC_7greaterIjEEEEEE10hipError_tPvRmT0_T1_T2_T3_T4_T5_mmT6_P12ihipStream_tbEUlT_E_NS1_11comp_targetILNS1_3genE9ELNS1_11target_archE1100ELNS1_3gpuE3ELNS1_3repE0EEENS1_30default_config_static_selectorELNS0_4arch9wavefront6targetE0EEEvS10_.has_dyn_sized_stack, 0
	.set _ZN7rocprim17ROCPRIM_400000_NS6detail17trampoline_kernelINS0_14default_configENS1_21merge_config_selectorINS0_5tupleIJjjEEENS0_10empty_typeEEEZNS1_10merge_implIS3_NS0_12zip_iteratorINS5_IJN6thrust23THRUST_200600_302600_NS6detail15normal_iteratorINSC_10device_ptrIKjEEEESI_EEEEESK_NSA_INS5_IJNSE_INSF_IjEEEESM_EEEEEPS7_SP_SP_NSC_11hip_rocprim7__merge17predicate_wrapperIjjNSC_7greaterIjEEEEEE10hipError_tPvRmT0_T1_T2_T3_T4_T5_mmT6_P12ihipStream_tbEUlT_E_NS1_11comp_targetILNS1_3genE9ELNS1_11target_archE1100ELNS1_3gpuE3ELNS1_3repE0EEENS1_30default_config_static_selectorELNS0_4arch9wavefront6targetE0EEEvS10_.has_recursion, 0
	.set _ZN7rocprim17ROCPRIM_400000_NS6detail17trampoline_kernelINS0_14default_configENS1_21merge_config_selectorINS0_5tupleIJjjEEENS0_10empty_typeEEEZNS1_10merge_implIS3_NS0_12zip_iteratorINS5_IJN6thrust23THRUST_200600_302600_NS6detail15normal_iteratorINSC_10device_ptrIKjEEEESI_EEEEESK_NSA_INS5_IJNSE_INSF_IjEEEESM_EEEEEPS7_SP_SP_NSC_11hip_rocprim7__merge17predicate_wrapperIjjNSC_7greaterIjEEEEEE10hipError_tPvRmT0_T1_T2_T3_T4_T5_mmT6_P12ihipStream_tbEUlT_E_NS1_11comp_targetILNS1_3genE9ELNS1_11target_archE1100ELNS1_3gpuE3ELNS1_3repE0EEENS1_30default_config_static_selectorELNS0_4arch9wavefront6targetE0EEEvS10_.has_indirect_call, 0
	.section	.AMDGPU.csdata,"",@progbits
; Kernel info:
; codeLenInByte = 0
; TotalNumSgprs: 0
; NumVgprs: 0
; ScratchSize: 0
; MemoryBound: 0
; FloatMode: 240
; IeeeMode: 1
; LDSByteSize: 0 bytes/workgroup (compile time only)
; SGPRBlocks: 0
; VGPRBlocks: 0
; NumSGPRsForWavesPerEU: 1
; NumVGPRsForWavesPerEU: 1
; Occupancy: 16
; WaveLimiterHint : 0
; COMPUTE_PGM_RSRC2:SCRATCH_EN: 0
; COMPUTE_PGM_RSRC2:USER_SGPR: 6
; COMPUTE_PGM_RSRC2:TRAP_HANDLER: 0
; COMPUTE_PGM_RSRC2:TGID_X_EN: 1
; COMPUTE_PGM_RSRC2:TGID_Y_EN: 0
; COMPUTE_PGM_RSRC2:TGID_Z_EN: 0
; COMPUTE_PGM_RSRC2:TIDIG_COMP_CNT: 0
	.section	.text._ZN7rocprim17ROCPRIM_400000_NS6detail17trampoline_kernelINS0_14default_configENS1_21merge_config_selectorINS0_5tupleIJjjEEENS0_10empty_typeEEEZNS1_10merge_implIS3_NS0_12zip_iteratorINS5_IJN6thrust23THRUST_200600_302600_NS6detail15normal_iteratorINSC_10device_ptrIKjEEEESI_EEEEESK_NSA_INS5_IJNSE_INSF_IjEEEESM_EEEEEPS7_SP_SP_NSC_11hip_rocprim7__merge17predicate_wrapperIjjNSC_7greaterIjEEEEEE10hipError_tPvRmT0_T1_T2_T3_T4_T5_mmT6_P12ihipStream_tbEUlT_E_NS1_11comp_targetILNS1_3genE8ELNS1_11target_archE1030ELNS1_3gpuE2ELNS1_3repE0EEENS1_30default_config_static_selectorELNS0_4arch9wavefront6targetE0EEEvS10_,"axG",@progbits,_ZN7rocprim17ROCPRIM_400000_NS6detail17trampoline_kernelINS0_14default_configENS1_21merge_config_selectorINS0_5tupleIJjjEEENS0_10empty_typeEEEZNS1_10merge_implIS3_NS0_12zip_iteratorINS5_IJN6thrust23THRUST_200600_302600_NS6detail15normal_iteratorINSC_10device_ptrIKjEEEESI_EEEEESK_NSA_INS5_IJNSE_INSF_IjEEEESM_EEEEEPS7_SP_SP_NSC_11hip_rocprim7__merge17predicate_wrapperIjjNSC_7greaterIjEEEEEE10hipError_tPvRmT0_T1_T2_T3_T4_T5_mmT6_P12ihipStream_tbEUlT_E_NS1_11comp_targetILNS1_3genE8ELNS1_11target_archE1030ELNS1_3gpuE2ELNS1_3repE0EEENS1_30default_config_static_selectorELNS0_4arch9wavefront6targetE0EEEvS10_,comdat
	.protected	_ZN7rocprim17ROCPRIM_400000_NS6detail17trampoline_kernelINS0_14default_configENS1_21merge_config_selectorINS0_5tupleIJjjEEENS0_10empty_typeEEEZNS1_10merge_implIS3_NS0_12zip_iteratorINS5_IJN6thrust23THRUST_200600_302600_NS6detail15normal_iteratorINSC_10device_ptrIKjEEEESI_EEEEESK_NSA_INS5_IJNSE_INSF_IjEEEESM_EEEEEPS7_SP_SP_NSC_11hip_rocprim7__merge17predicate_wrapperIjjNSC_7greaterIjEEEEEE10hipError_tPvRmT0_T1_T2_T3_T4_T5_mmT6_P12ihipStream_tbEUlT_E_NS1_11comp_targetILNS1_3genE8ELNS1_11target_archE1030ELNS1_3gpuE2ELNS1_3repE0EEENS1_30default_config_static_selectorELNS0_4arch9wavefront6targetE0EEEvS10_ ; -- Begin function _ZN7rocprim17ROCPRIM_400000_NS6detail17trampoline_kernelINS0_14default_configENS1_21merge_config_selectorINS0_5tupleIJjjEEENS0_10empty_typeEEEZNS1_10merge_implIS3_NS0_12zip_iteratorINS5_IJN6thrust23THRUST_200600_302600_NS6detail15normal_iteratorINSC_10device_ptrIKjEEEESI_EEEEESK_NSA_INS5_IJNSE_INSF_IjEEEESM_EEEEEPS7_SP_SP_NSC_11hip_rocprim7__merge17predicate_wrapperIjjNSC_7greaterIjEEEEEE10hipError_tPvRmT0_T1_T2_T3_T4_T5_mmT6_P12ihipStream_tbEUlT_E_NS1_11comp_targetILNS1_3genE8ELNS1_11target_archE1030ELNS1_3gpuE2ELNS1_3repE0EEENS1_30default_config_static_selectorELNS0_4arch9wavefront6targetE0EEEvS10_
	.globl	_ZN7rocprim17ROCPRIM_400000_NS6detail17trampoline_kernelINS0_14default_configENS1_21merge_config_selectorINS0_5tupleIJjjEEENS0_10empty_typeEEEZNS1_10merge_implIS3_NS0_12zip_iteratorINS5_IJN6thrust23THRUST_200600_302600_NS6detail15normal_iteratorINSC_10device_ptrIKjEEEESI_EEEEESK_NSA_INS5_IJNSE_INSF_IjEEEESM_EEEEEPS7_SP_SP_NSC_11hip_rocprim7__merge17predicate_wrapperIjjNSC_7greaterIjEEEEEE10hipError_tPvRmT0_T1_T2_T3_T4_T5_mmT6_P12ihipStream_tbEUlT_E_NS1_11comp_targetILNS1_3genE8ELNS1_11target_archE1030ELNS1_3gpuE2ELNS1_3repE0EEENS1_30default_config_static_selectorELNS0_4arch9wavefront6targetE0EEEvS10_
	.p2align	8
	.type	_ZN7rocprim17ROCPRIM_400000_NS6detail17trampoline_kernelINS0_14default_configENS1_21merge_config_selectorINS0_5tupleIJjjEEENS0_10empty_typeEEEZNS1_10merge_implIS3_NS0_12zip_iteratorINS5_IJN6thrust23THRUST_200600_302600_NS6detail15normal_iteratorINSC_10device_ptrIKjEEEESI_EEEEESK_NSA_INS5_IJNSE_INSF_IjEEEESM_EEEEEPS7_SP_SP_NSC_11hip_rocprim7__merge17predicate_wrapperIjjNSC_7greaterIjEEEEEE10hipError_tPvRmT0_T1_T2_T3_T4_T5_mmT6_P12ihipStream_tbEUlT_E_NS1_11comp_targetILNS1_3genE8ELNS1_11target_archE1030ELNS1_3gpuE2ELNS1_3repE0EEENS1_30default_config_static_selectorELNS0_4arch9wavefront6targetE0EEEvS10_,@function
_ZN7rocprim17ROCPRIM_400000_NS6detail17trampoline_kernelINS0_14default_configENS1_21merge_config_selectorINS0_5tupleIJjjEEENS0_10empty_typeEEEZNS1_10merge_implIS3_NS0_12zip_iteratorINS5_IJN6thrust23THRUST_200600_302600_NS6detail15normal_iteratorINSC_10device_ptrIKjEEEESI_EEEEESK_NSA_INS5_IJNSE_INSF_IjEEEESM_EEEEEPS7_SP_SP_NSC_11hip_rocprim7__merge17predicate_wrapperIjjNSC_7greaterIjEEEEEE10hipError_tPvRmT0_T1_T2_T3_T4_T5_mmT6_P12ihipStream_tbEUlT_E_NS1_11comp_targetILNS1_3genE8ELNS1_11target_archE1030ELNS1_3gpuE2ELNS1_3repE0EEENS1_30default_config_static_selectorELNS0_4arch9wavefront6targetE0EEEvS10_: ; @_ZN7rocprim17ROCPRIM_400000_NS6detail17trampoline_kernelINS0_14default_configENS1_21merge_config_selectorINS0_5tupleIJjjEEENS0_10empty_typeEEEZNS1_10merge_implIS3_NS0_12zip_iteratorINS5_IJN6thrust23THRUST_200600_302600_NS6detail15normal_iteratorINSC_10device_ptrIKjEEEESI_EEEEESK_NSA_INS5_IJNSE_INSF_IjEEEESM_EEEEEPS7_SP_SP_NSC_11hip_rocprim7__merge17predicate_wrapperIjjNSC_7greaterIjEEEEEE10hipError_tPvRmT0_T1_T2_T3_T4_T5_mmT6_P12ihipStream_tbEUlT_E_NS1_11comp_targetILNS1_3genE8ELNS1_11target_archE1030ELNS1_3gpuE2ELNS1_3repE0EEENS1_30default_config_static_selectorELNS0_4arch9wavefront6targetE0EEEvS10_
; %bb.0:
	s_clause 0x2
	s_load_dword s2, s[4:5], 0x38
	s_load_dword s0, s[4:5], 0x4c
	s_load_dwordx4 s[12:15], s[4:5], 0x28
	s_waitcnt lgkmcnt(0)
	v_cvt_f32_u32_e32 v1, s2
	s_and_b32 s3, s0, 0xffff
	s_add_u32 s0, s14, s12
	s_addc_u32 s1, s15, s13
	s_sub_i32 s8, 0, s2
	v_rcp_iflag_f32_e32 v1, v1
	s_add_i32 s9, s2, s0
	s_add_i32 s9, s9, -1
	v_mul_f32_e32 v1, 0x4f7ffffe, v1
	v_cvt_u32_f32_e32 v1, v1
	v_readfirstlane_b32 s7, v1
	v_mad_u64_u32 v[0:1], null, s6, s3, v[0:1]
	s_mul_i32 s8, s8, s7
	s_mul_hi_u32 s8, s7, s8
	s_add_i32 s7, s7, s8
	s_mul_hi_u32 s7, s9, s7
	s_mul_i32 s8, s7, s2
	s_sub_i32 s8, s9, s8
	s_add_i32 s9, s7, 1
	s_sub_i32 s10, s8, s2
	s_cmp_ge_u32 s8, s2
	s_cselect_b32 s3, s9, s7
	s_cselect_b32 s6, s10, s8
	s_add_i32 s7, s3, 1
	s_cmp_ge_u32 s6, s2
	s_cselect_b32 s3, s7, s3
	v_cmp_ge_u32_e32 vcc_lo, s3, v0
	s_and_saveexec_b32 s3, vcc_lo
	s_cbranch_execz .LBB379_6
; %bb.1:
	v_mul_lo_u32 v1, v0, s2
	v_mov_b32_e32 v2, 0
	s_load_dwordx4 s[8:11], s[4:5], 0x0
	v_cmp_gt_u64_e32 vcc_lo, s[0:1], v[1:2]
	v_cndmask_b32_e32 v6, s0, v1, vcc_lo
	v_cndmask_b32_e64 v7, s1, 0, vcc_lo
	v_sub_co_u32 v1, vcc_lo, v6, s14
	v_subrev_co_ci_u32_e64 v2, null, s15, v7, vcc_lo
	v_cmp_gt_u64_e64 s0, s[12:13], v[6:7]
	v_cmp_gt_u64_e32 vcc_lo, v[1:2], v[6:7]
	v_cndmask_b32_e64 v5, s13, v7, s0
	v_cndmask_b32_e64 v4, s12, v6, s0
	s_mov_b32 s0, exec_lo
	v_cndmask_b32_e64 v3, v2, 0, vcc_lo
	v_cndmask_b32_e64 v2, v1, 0, vcc_lo
	v_cmpx_lt_u64_e64 v[2:3], v[4:5]
	s_cbranch_execz .LBB379_5
; %bb.2:
	s_load_dwordx2 s[2:3], s[4:5], 0x18
	v_lshlrev_b64 v[6:7], 2, v[6:7]
	s_mov_b32 s1, 0
	s_waitcnt lgkmcnt(0)
	v_add_co_u32 v1, vcc_lo, s2, v6
	v_add_co_ci_u32_e64 v6, null, s3, v7, vcc_lo
	s_inst_prefetch 0x1
	.p2align	6
.LBB379_3:                              ; =>This Inner Loop Header: Depth=1
	v_add_co_u32 v7, vcc_lo, v4, v2
	v_add_co_ci_u32_e64 v8, null, v5, v3, vcc_lo
	v_lshrrev_b64 v[7:8], 1, v[7:8]
	v_lshlrev_b64 v[9:10], 2, v[7:8]
	v_xor_b32_e32 v11, -4, v9
	v_xor_b32_e32 v12, -1, v10
	v_add_co_u32 v9, vcc_lo, s10, v9
	v_add_co_ci_u32_e64 v10, null, s11, v10, vcc_lo
	v_add_co_u32 v11, vcc_lo, v1, v11
	v_add_co_ci_u32_e64 v12, null, v6, v12, vcc_lo
	global_load_dword v9, v[9:10], off
	global_load_dword v10, v[11:12], off
	v_add_co_u32 v11, vcc_lo, v7, 1
	v_add_co_ci_u32_e64 v12, null, 0, v8, vcc_lo
	s_waitcnt vmcnt(0)
	v_cmp_gt_u32_e32 vcc_lo, v10, v9
	v_cndmask_b32_e32 v5, v5, v8, vcc_lo
	v_cndmask_b32_e32 v4, v4, v7, vcc_lo
	;; [unrolled: 1-line block ×4, first 2 shown]
	v_cmp_ge_u64_e32 vcc_lo, v[2:3], v[4:5]
	s_or_b32 s1, vcc_lo, s1
	s_andn2_b32 exec_lo, exec_lo, s1
	s_cbranch_execnz .LBB379_3
; %bb.4:
	s_inst_prefetch 0x2
	s_or_b32 exec_lo, exec_lo, s1
.LBB379_5:
	s_or_b32 exec_lo, exec_lo, s0
	v_mov_b32_e32 v1, 0
	v_lshlrev_b64 v[0:1], 2, v[0:1]
	s_waitcnt lgkmcnt(0)
	v_add_co_u32 v0, vcc_lo, s8, v0
	v_add_co_ci_u32_e64 v1, null, s9, v1, vcc_lo
	global_store_dword v[0:1], v2, off
.LBB379_6:
	s_endpgm
	.section	.rodata,"a",@progbits
	.p2align	6, 0x0
	.amdhsa_kernel _ZN7rocprim17ROCPRIM_400000_NS6detail17trampoline_kernelINS0_14default_configENS1_21merge_config_selectorINS0_5tupleIJjjEEENS0_10empty_typeEEEZNS1_10merge_implIS3_NS0_12zip_iteratorINS5_IJN6thrust23THRUST_200600_302600_NS6detail15normal_iteratorINSC_10device_ptrIKjEEEESI_EEEEESK_NSA_INS5_IJNSE_INSF_IjEEEESM_EEEEEPS7_SP_SP_NSC_11hip_rocprim7__merge17predicate_wrapperIjjNSC_7greaterIjEEEEEE10hipError_tPvRmT0_T1_T2_T3_T4_T5_mmT6_P12ihipStream_tbEUlT_E_NS1_11comp_targetILNS1_3genE8ELNS1_11target_archE1030ELNS1_3gpuE2ELNS1_3repE0EEENS1_30default_config_static_selectorELNS0_4arch9wavefront6targetE0EEEvS10_
		.amdhsa_group_segment_fixed_size 0
		.amdhsa_private_segment_fixed_size 0
		.amdhsa_kernarg_size 320
		.amdhsa_user_sgpr_count 6
		.amdhsa_user_sgpr_private_segment_buffer 1
		.amdhsa_user_sgpr_dispatch_ptr 0
		.amdhsa_user_sgpr_queue_ptr 0
		.amdhsa_user_sgpr_kernarg_segment_ptr 1
		.amdhsa_user_sgpr_dispatch_id 0
		.amdhsa_user_sgpr_flat_scratch_init 0
		.amdhsa_user_sgpr_private_segment_size 0
		.amdhsa_wavefront_size32 1
		.amdhsa_uses_dynamic_stack 0
		.amdhsa_system_sgpr_private_segment_wavefront_offset 0
		.amdhsa_system_sgpr_workgroup_id_x 1
		.amdhsa_system_sgpr_workgroup_id_y 0
		.amdhsa_system_sgpr_workgroup_id_z 0
		.amdhsa_system_sgpr_workgroup_info 0
		.amdhsa_system_vgpr_workitem_id 0
		.amdhsa_next_free_vgpr 13
		.amdhsa_next_free_sgpr 16
		.amdhsa_reserve_vcc 1
		.amdhsa_reserve_flat_scratch 0
		.amdhsa_float_round_mode_32 0
		.amdhsa_float_round_mode_16_64 0
		.amdhsa_float_denorm_mode_32 3
		.amdhsa_float_denorm_mode_16_64 3
		.amdhsa_dx10_clamp 1
		.amdhsa_ieee_mode 1
		.amdhsa_fp16_overflow 0
		.amdhsa_workgroup_processor_mode 1
		.amdhsa_memory_ordered 1
		.amdhsa_forward_progress 1
		.amdhsa_shared_vgpr_count 0
		.amdhsa_exception_fp_ieee_invalid_op 0
		.amdhsa_exception_fp_denorm_src 0
		.amdhsa_exception_fp_ieee_div_zero 0
		.amdhsa_exception_fp_ieee_overflow 0
		.amdhsa_exception_fp_ieee_underflow 0
		.amdhsa_exception_fp_ieee_inexact 0
		.amdhsa_exception_int_div_zero 0
	.end_amdhsa_kernel
	.section	.text._ZN7rocprim17ROCPRIM_400000_NS6detail17trampoline_kernelINS0_14default_configENS1_21merge_config_selectorINS0_5tupleIJjjEEENS0_10empty_typeEEEZNS1_10merge_implIS3_NS0_12zip_iteratorINS5_IJN6thrust23THRUST_200600_302600_NS6detail15normal_iteratorINSC_10device_ptrIKjEEEESI_EEEEESK_NSA_INS5_IJNSE_INSF_IjEEEESM_EEEEEPS7_SP_SP_NSC_11hip_rocprim7__merge17predicate_wrapperIjjNSC_7greaterIjEEEEEE10hipError_tPvRmT0_T1_T2_T3_T4_T5_mmT6_P12ihipStream_tbEUlT_E_NS1_11comp_targetILNS1_3genE8ELNS1_11target_archE1030ELNS1_3gpuE2ELNS1_3repE0EEENS1_30default_config_static_selectorELNS0_4arch9wavefront6targetE0EEEvS10_,"axG",@progbits,_ZN7rocprim17ROCPRIM_400000_NS6detail17trampoline_kernelINS0_14default_configENS1_21merge_config_selectorINS0_5tupleIJjjEEENS0_10empty_typeEEEZNS1_10merge_implIS3_NS0_12zip_iteratorINS5_IJN6thrust23THRUST_200600_302600_NS6detail15normal_iteratorINSC_10device_ptrIKjEEEESI_EEEEESK_NSA_INS5_IJNSE_INSF_IjEEEESM_EEEEEPS7_SP_SP_NSC_11hip_rocprim7__merge17predicate_wrapperIjjNSC_7greaterIjEEEEEE10hipError_tPvRmT0_T1_T2_T3_T4_T5_mmT6_P12ihipStream_tbEUlT_E_NS1_11comp_targetILNS1_3genE8ELNS1_11target_archE1030ELNS1_3gpuE2ELNS1_3repE0EEENS1_30default_config_static_selectorELNS0_4arch9wavefront6targetE0EEEvS10_,comdat
.Lfunc_end379:
	.size	_ZN7rocprim17ROCPRIM_400000_NS6detail17trampoline_kernelINS0_14default_configENS1_21merge_config_selectorINS0_5tupleIJjjEEENS0_10empty_typeEEEZNS1_10merge_implIS3_NS0_12zip_iteratorINS5_IJN6thrust23THRUST_200600_302600_NS6detail15normal_iteratorINSC_10device_ptrIKjEEEESI_EEEEESK_NSA_INS5_IJNSE_INSF_IjEEEESM_EEEEEPS7_SP_SP_NSC_11hip_rocprim7__merge17predicate_wrapperIjjNSC_7greaterIjEEEEEE10hipError_tPvRmT0_T1_T2_T3_T4_T5_mmT6_P12ihipStream_tbEUlT_E_NS1_11comp_targetILNS1_3genE8ELNS1_11target_archE1030ELNS1_3gpuE2ELNS1_3repE0EEENS1_30default_config_static_selectorELNS0_4arch9wavefront6targetE0EEEvS10_, .Lfunc_end379-_ZN7rocprim17ROCPRIM_400000_NS6detail17trampoline_kernelINS0_14default_configENS1_21merge_config_selectorINS0_5tupleIJjjEEENS0_10empty_typeEEEZNS1_10merge_implIS3_NS0_12zip_iteratorINS5_IJN6thrust23THRUST_200600_302600_NS6detail15normal_iteratorINSC_10device_ptrIKjEEEESI_EEEEESK_NSA_INS5_IJNSE_INSF_IjEEEESM_EEEEEPS7_SP_SP_NSC_11hip_rocprim7__merge17predicate_wrapperIjjNSC_7greaterIjEEEEEE10hipError_tPvRmT0_T1_T2_T3_T4_T5_mmT6_P12ihipStream_tbEUlT_E_NS1_11comp_targetILNS1_3genE8ELNS1_11target_archE1030ELNS1_3gpuE2ELNS1_3repE0EEENS1_30default_config_static_selectorELNS0_4arch9wavefront6targetE0EEEvS10_
                                        ; -- End function
	.set _ZN7rocprim17ROCPRIM_400000_NS6detail17trampoline_kernelINS0_14default_configENS1_21merge_config_selectorINS0_5tupleIJjjEEENS0_10empty_typeEEEZNS1_10merge_implIS3_NS0_12zip_iteratorINS5_IJN6thrust23THRUST_200600_302600_NS6detail15normal_iteratorINSC_10device_ptrIKjEEEESI_EEEEESK_NSA_INS5_IJNSE_INSF_IjEEEESM_EEEEEPS7_SP_SP_NSC_11hip_rocprim7__merge17predicate_wrapperIjjNSC_7greaterIjEEEEEE10hipError_tPvRmT0_T1_T2_T3_T4_T5_mmT6_P12ihipStream_tbEUlT_E_NS1_11comp_targetILNS1_3genE8ELNS1_11target_archE1030ELNS1_3gpuE2ELNS1_3repE0EEENS1_30default_config_static_selectorELNS0_4arch9wavefront6targetE0EEEvS10_.num_vgpr, 13
	.set _ZN7rocprim17ROCPRIM_400000_NS6detail17trampoline_kernelINS0_14default_configENS1_21merge_config_selectorINS0_5tupleIJjjEEENS0_10empty_typeEEEZNS1_10merge_implIS3_NS0_12zip_iteratorINS5_IJN6thrust23THRUST_200600_302600_NS6detail15normal_iteratorINSC_10device_ptrIKjEEEESI_EEEEESK_NSA_INS5_IJNSE_INSF_IjEEEESM_EEEEEPS7_SP_SP_NSC_11hip_rocprim7__merge17predicate_wrapperIjjNSC_7greaterIjEEEEEE10hipError_tPvRmT0_T1_T2_T3_T4_T5_mmT6_P12ihipStream_tbEUlT_E_NS1_11comp_targetILNS1_3genE8ELNS1_11target_archE1030ELNS1_3gpuE2ELNS1_3repE0EEENS1_30default_config_static_selectorELNS0_4arch9wavefront6targetE0EEEvS10_.num_agpr, 0
	.set _ZN7rocprim17ROCPRIM_400000_NS6detail17trampoline_kernelINS0_14default_configENS1_21merge_config_selectorINS0_5tupleIJjjEEENS0_10empty_typeEEEZNS1_10merge_implIS3_NS0_12zip_iteratorINS5_IJN6thrust23THRUST_200600_302600_NS6detail15normal_iteratorINSC_10device_ptrIKjEEEESI_EEEEESK_NSA_INS5_IJNSE_INSF_IjEEEESM_EEEEEPS7_SP_SP_NSC_11hip_rocprim7__merge17predicate_wrapperIjjNSC_7greaterIjEEEEEE10hipError_tPvRmT0_T1_T2_T3_T4_T5_mmT6_P12ihipStream_tbEUlT_E_NS1_11comp_targetILNS1_3genE8ELNS1_11target_archE1030ELNS1_3gpuE2ELNS1_3repE0EEENS1_30default_config_static_selectorELNS0_4arch9wavefront6targetE0EEEvS10_.numbered_sgpr, 16
	.set _ZN7rocprim17ROCPRIM_400000_NS6detail17trampoline_kernelINS0_14default_configENS1_21merge_config_selectorINS0_5tupleIJjjEEENS0_10empty_typeEEEZNS1_10merge_implIS3_NS0_12zip_iteratorINS5_IJN6thrust23THRUST_200600_302600_NS6detail15normal_iteratorINSC_10device_ptrIKjEEEESI_EEEEESK_NSA_INS5_IJNSE_INSF_IjEEEESM_EEEEEPS7_SP_SP_NSC_11hip_rocprim7__merge17predicate_wrapperIjjNSC_7greaterIjEEEEEE10hipError_tPvRmT0_T1_T2_T3_T4_T5_mmT6_P12ihipStream_tbEUlT_E_NS1_11comp_targetILNS1_3genE8ELNS1_11target_archE1030ELNS1_3gpuE2ELNS1_3repE0EEENS1_30default_config_static_selectorELNS0_4arch9wavefront6targetE0EEEvS10_.num_named_barrier, 0
	.set _ZN7rocprim17ROCPRIM_400000_NS6detail17trampoline_kernelINS0_14default_configENS1_21merge_config_selectorINS0_5tupleIJjjEEENS0_10empty_typeEEEZNS1_10merge_implIS3_NS0_12zip_iteratorINS5_IJN6thrust23THRUST_200600_302600_NS6detail15normal_iteratorINSC_10device_ptrIKjEEEESI_EEEEESK_NSA_INS5_IJNSE_INSF_IjEEEESM_EEEEEPS7_SP_SP_NSC_11hip_rocprim7__merge17predicate_wrapperIjjNSC_7greaterIjEEEEEE10hipError_tPvRmT0_T1_T2_T3_T4_T5_mmT6_P12ihipStream_tbEUlT_E_NS1_11comp_targetILNS1_3genE8ELNS1_11target_archE1030ELNS1_3gpuE2ELNS1_3repE0EEENS1_30default_config_static_selectorELNS0_4arch9wavefront6targetE0EEEvS10_.private_seg_size, 0
	.set _ZN7rocprim17ROCPRIM_400000_NS6detail17trampoline_kernelINS0_14default_configENS1_21merge_config_selectorINS0_5tupleIJjjEEENS0_10empty_typeEEEZNS1_10merge_implIS3_NS0_12zip_iteratorINS5_IJN6thrust23THRUST_200600_302600_NS6detail15normal_iteratorINSC_10device_ptrIKjEEEESI_EEEEESK_NSA_INS5_IJNSE_INSF_IjEEEESM_EEEEEPS7_SP_SP_NSC_11hip_rocprim7__merge17predicate_wrapperIjjNSC_7greaterIjEEEEEE10hipError_tPvRmT0_T1_T2_T3_T4_T5_mmT6_P12ihipStream_tbEUlT_E_NS1_11comp_targetILNS1_3genE8ELNS1_11target_archE1030ELNS1_3gpuE2ELNS1_3repE0EEENS1_30default_config_static_selectorELNS0_4arch9wavefront6targetE0EEEvS10_.uses_vcc, 1
	.set _ZN7rocprim17ROCPRIM_400000_NS6detail17trampoline_kernelINS0_14default_configENS1_21merge_config_selectorINS0_5tupleIJjjEEENS0_10empty_typeEEEZNS1_10merge_implIS3_NS0_12zip_iteratorINS5_IJN6thrust23THRUST_200600_302600_NS6detail15normal_iteratorINSC_10device_ptrIKjEEEESI_EEEEESK_NSA_INS5_IJNSE_INSF_IjEEEESM_EEEEEPS7_SP_SP_NSC_11hip_rocprim7__merge17predicate_wrapperIjjNSC_7greaterIjEEEEEE10hipError_tPvRmT0_T1_T2_T3_T4_T5_mmT6_P12ihipStream_tbEUlT_E_NS1_11comp_targetILNS1_3genE8ELNS1_11target_archE1030ELNS1_3gpuE2ELNS1_3repE0EEENS1_30default_config_static_selectorELNS0_4arch9wavefront6targetE0EEEvS10_.uses_flat_scratch, 0
	.set _ZN7rocprim17ROCPRIM_400000_NS6detail17trampoline_kernelINS0_14default_configENS1_21merge_config_selectorINS0_5tupleIJjjEEENS0_10empty_typeEEEZNS1_10merge_implIS3_NS0_12zip_iteratorINS5_IJN6thrust23THRUST_200600_302600_NS6detail15normal_iteratorINSC_10device_ptrIKjEEEESI_EEEEESK_NSA_INS5_IJNSE_INSF_IjEEEESM_EEEEEPS7_SP_SP_NSC_11hip_rocprim7__merge17predicate_wrapperIjjNSC_7greaterIjEEEEEE10hipError_tPvRmT0_T1_T2_T3_T4_T5_mmT6_P12ihipStream_tbEUlT_E_NS1_11comp_targetILNS1_3genE8ELNS1_11target_archE1030ELNS1_3gpuE2ELNS1_3repE0EEENS1_30default_config_static_selectorELNS0_4arch9wavefront6targetE0EEEvS10_.has_dyn_sized_stack, 0
	.set _ZN7rocprim17ROCPRIM_400000_NS6detail17trampoline_kernelINS0_14default_configENS1_21merge_config_selectorINS0_5tupleIJjjEEENS0_10empty_typeEEEZNS1_10merge_implIS3_NS0_12zip_iteratorINS5_IJN6thrust23THRUST_200600_302600_NS6detail15normal_iteratorINSC_10device_ptrIKjEEEESI_EEEEESK_NSA_INS5_IJNSE_INSF_IjEEEESM_EEEEEPS7_SP_SP_NSC_11hip_rocprim7__merge17predicate_wrapperIjjNSC_7greaterIjEEEEEE10hipError_tPvRmT0_T1_T2_T3_T4_T5_mmT6_P12ihipStream_tbEUlT_E_NS1_11comp_targetILNS1_3genE8ELNS1_11target_archE1030ELNS1_3gpuE2ELNS1_3repE0EEENS1_30default_config_static_selectorELNS0_4arch9wavefront6targetE0EEEvS10_.has_recursion, 0
	.set _ZN7rocprim17ROCPRIM_400000_NS6detail17trampoline_kernelINS0_14default_configENS1_21merge_config_selectorINS0_5tupleIJjjEEENS0_10empty_typeEEEZNS1_10merge_implIS3_NS0_12zip_iteratorINS5_IJN6thrust23THRUST_200600_302600_NS6detail15normal_iteratorINSC_10device_ptrIKjEEEESI_EEEEESK_NSA_INS5_IJNSE_INSF_IjEEEESM_EEEEEPS7_SP_SP_NSC_11hip_rocprim7__merge17predicate_wrapperIjjNSC_7greaterIjEEEEEE10hipError_tPvRmT0_T1_T2_T3_T4_T5_mmT6_P12ihipStream_tbEUlT_E_NS1_11comp_targetILNS1_3genE8ELNS1_11target_archE1030ELNS1_3gpuE2ELNS1_3repE0EEENS1_30default_config_static_selectorELNS0_4arch9wavefront6targetE0EEEvS10_.has_indirect_call, 0
	.section	.AMDGPU.csdata,"",@progbits
; Kernel info:
; codeLenInByte = 520
; TotalNumSgprs: 18
; NumVgprs: 13
; ScratchSize: 0
; MemoryBound: 0
; FloatMode: 240
; IeeeMode: 1
; LDSByteSize: 0 bytes/workgroup (compile time only)
; SGPRBlocks: 0
; VGPRBlocks: 1
; NumSGPRsForWavesPerEU: 18
; NumVGPRsForWavesPerEU: 13
; Occupancy: 16
; WaveLimiterHint : 0
; COMPUTE_PGM_RSRC2:SCRATCH_EN: 0
; COMPUTE_PGM_RSRC2:USER_SGPR: 6
; COMPUTE_PGM_RSRC2:TRAP_HANDLER: 0
; COMPUTE_PGM_RSRC2:TGID_X_EN: 1
; COMPUTE_PGM_RSRC2:TGID_Y_EN: 0
; COMPUTE_PGM_RSRC2:TGID_Z_EN: 0
; COMPUTE_PGM_RSRC2:TIDIG_COMP_CNT: 0
	.section	.text._ZN7rocprim17ROCPRIM_400000_NS6detail17trampoline_kernelINS0_14default_configENS1_21merge_config_selectorINS0_5tupleIJjjEEENS0_10empty_typeEEEZNS1_10merge_implIS3_NS0_12zip_iteratorINS5_IJN6thrust23THRUST_200600_302600_NS6detail15normal_iteratorINSC_10device_ptrIKjEEEESI_EEEEESK_NSA_INS5_IJNSE_INSF_IjEEEESM_EEEEEPS7_SP_SP_NSC_11hip_rocprim7__merge17predicate_wrapperIjjNSC_7greaterIjEEEEEE10hipError_tPvRmT0_T1_T2_T3_T4_T5_mmT6_P12ihipStream_tbEUlT_E0_NS1_11comp_targetILNS1_3genE0ELNS1_11target_archE4294967295ELNS1_3gpuE0ELNS1_3repE0EEENS1_30default_config_static_selectorELNS0_4arch9wavefront6targetE0EEEvS10_,"axG",@progbits,_ZN7rocprim17ROCPRIM_400000_NS6detail17trampoline_kernelINS0_14default_configENS1_21merge_config_selectorINS0_5tupleIJjjEEENS0_10empty_typeEEEZNS1_10merge_implIS3_NS0_12zip_iteratorINS5_IJN6thrust23THRUST_200600_302600_NS6detail15normal_iteratorINSC_10device_ptrIKjEEEESI_EEEEESK_NSA_INS5_IJNSE_INSF_IjEEEESM_EEEEEPS7_SP_SP_NSC_11hip_rocprim7__merge17predicate_wrapperIjjNSC_7greaterIjEEEEEE10hipError_tPvRmT0_T1_T2_T3_T4_T5_mmT6_P12ihipStream_tbEUlT_E0_NS1_11comp_targetILNS1_3genE0ELNS1_11target_archE4294967295ELNS1_3gpuE0ELNS1_3repE0EEENS1_30default_config_static_selectorELNS0_4arch9wavefront6targetE0EEEvS10_,comdat
	.protected	_ZN7rocprim17ROCPRIM_400000_NS6detail17trampoline_kernelINS0_14default_configENS1_21merge_config_selectorINS0_5tupleIJjjEEENS0_10empty_typeEEEZNS1_10merge_implIS3_NS0_12zip_iteratorINS5_IJN6thrust23THRUST_200600_302600_NS6detail15normal_iteratorINSC_10device_ptrIKjEEEESI_EEEEESK_NSA_INS5_IJNSE_INSF_IjEEEESM_EEEEEPS7_SP_SP_NSC_11hip_rocprim7__merge17predicate_wrapperIjjNSC_7greaterIjEEEEEE10hipError_tPvRmT0_T1_T2_T3_T4_T5_mmT6_P12ihipStream_tbEUlT_E0_NS1_11comp_targetILNS1_3genE0ELNS1_11target_archE4294967295ELNS1_3gpuE0ELNS1_3repE0EEENS1_30default_config_static_selectorELNS0_4arch9wavefront6targetE0EEEvS10_ ; -- Begin function _ZN7rocprim17ROCPRIM_400000_NS6detail17trampoline_kernelINS0_14default_configENS1_21merge_config_selectorINS0_5tupleIJjjEEENS0_10empty_typeEEEZNS1_10merge_implIS3_NS0_12zip_iteratorINS5_IJN6thrust23THRUST_200600_302600_NS6detail15normal_iteratorINSC_10device_ptrIKjEEEESI_EEEEESK_NSA_INS5_IJNSE_INSF_IjEEEESM_EEEEEPS7_SP_SP_NSC_11hip_rocprim7__merge17predicate_wrapperIjjNSC_7greaterIjEEEEEE10hipError_tPvRmT0_T1_T2_T3_T4_T5_mmT6_P12ihipStream_tbEUlT_E0_NS1_11comp_targetILNS1_3genE0ELNS1_11target_archE4294967295ELNS1_3gpuE0ELNS1_3repE0EEENS1_30default_config_static_selectorELNS0_4arch9wavefront6targetE0EEEvS10_
	.globl	_ZN7rocprim17ROCPRIM_400000_NS6detail17trampoline_kernelINS0_14default_configENS1_21merge_config_selectorINS0_5tupleIJjjEEENS0_10empty_typeEEEZNS1_10merge_implIS3_NS0_12zip_iteratorINS5_IJN6thrust23THRUST_200600_302600_NS6detail15normal_iteratorINSC_10device_ptrIKjEEEESI_EEEEESK_NSA_INS5_IJNSE_INSF_IjEEEESM_EEEEEPS7_SP_SP_NSC_11hip_rocprim7__merge17predicate_wrapperIjjNSC_7greaterIjEEEEEE10hipError_tPvRmT0_T1_T2_T3_T4_T5_mmT6_P12ihipStream_tbEUlT_E0_NS1_11comp_targetILNS1_3genE0ELNS1_11target_archE4294967295ELNS1_3gpuE0ELNS1_3repE0EEENS1_30default_config_static_selectorELNS0_4arch9wavefront6targetE0EEEvS10_
	.p2align	8
	.type	_ZN7rocprim17ROCPRIM_400000_NS6detail17trampoline_kernelINS0_14default_configENS1_21merge_config_selectorINS0_5tupleIJjjEEENS0_10empty_typeEEEZNS1_10merge_implIS3_NS0_12zip_iteratorINS5_IJN6thrust23THRUST_200600_302600_NS6detail15normal_iteratorINSC_10device_ptrIKjEEEESI_EEEEESK_NSA_INS5_IJNSE_INSF_IjEEEESM_EEEEEPS7_SP_SP_NSC_11hip_rocprim7__merge17predicate_wrapperIjjNSC_7greaterIjEEEEEE10hipError_tPvRmT0_T1_T2_T3_T4_T5_mmT6_P12ihipStream_tbEUlT_E0_NS1_11comp_targetILNS1_3genE0ELNS1_11target_archE4294967295ELNS1_3gpuE0ELNS1_3repE0EEENS1_30default_config_static_selectorELNS0_4arch9wavefront6targetE0EEEvS10_,@function
_ZN7rocprim17ROCPRIM_400000_NS6detail17trampoline_kernelINS0_14default_configENS1_21merge_config_selectorINS0_5tupleIJjjEEENS0_10empty_typeEEEZNS1_10merge_implIS3_NS0_12zip_iteratorINS5_IJN6thrust23THRUST_200600_302600_NS6detail15normal_iteratorINSC_10device_ptrIKjEEEESI_EEEEESK_NSA_INS5_IJNSE_INSF_IjEEEESM_EEEEEPS7_SP_SP_NSC_11hip_rocprim7__merge17predicate_wrapperIjjNSC_7greaterIjEEEEEE10hipError_tPvRmT0_T1_T2_T3_T4_T5_mmT6_P12ihipStream_tbEUlT_E0_NS1_11comp_targetILNS1_3genE0ELNS1_11target_archE4294967295ELNS1_3gpuE0ELNS1_3repE0EEENS1_30default_config_static_selectorELNS0_4arch9wavefront6targetE0EEEvS10_: ; @_ZN7rocprim17ROCPRIM_400000_NS6detail17trampoline_kernelINS0_14default_configENS1_21merge_config_selectorINS0_5tupleIJjjEEENS0_10empty_typeEEEZNS1_10merge_implIS3_NS0_12zip_iteratorINS5_IJN6thrust23THRUST_200600_302600_NS6detail15normal_iteratorINSC_10device_ptrIKjEEEESI_EEEEESK_NSA_INS5_IJNSE_INSF_IjEEEESM_EEEEEPS7_SP_SP_NSC_11hip_rocprim7__merge17predicate_wrapperIjjNSC_7greaterIjEEEEEE10hipError_tPvRmT0_T1_T2_T3_T4_T5_mmT6_P12ihipStream_tbEUlT_E0_NS1_11comp_targetILNS1_3genE0ELNS1_11target_archE4294967295ELNS1_3gpuE0ELNS1_3repE0EEENS1_30default_config_static_selectorELNS0_4arch9wavefront6targetE0EEEvS10_
; %bb.0:
	.section	.rodata,"a",@progbits
	.p2align	6, 0x0
	.amdhsa_kernel _ZN7rocprim17ROCPRIM_400000_NS6detail17trampoline_kernelINS0_14default_configENS1_21merge_config_selectorINS0_5tupleIJjjEEENS0_10empty_typeEEEZNS1_10merge_implIS3_NS0_12zip_iteratorINS5_IJN6thrust23THRUST_200600_302600_NS6detail15normal_iteratorINSC_10device_ptrIKjEEEESI_EEEEESK_NSA_INS5_IJNSE_INSF_IjEEEESM_EEEEEPS7_SP_SP_NSC_11hip_rocprim7__merge17predicate_wrapperIjjNSC_7greaterIjEEEEEE10hipError_tPvRmT0_T1_T2_T3_T4_T5_mmT6_P12ihipStream_tbEUlT_E0_NS1_11comp_targetILNS1_3genE0ELNS1_11target_archE4294967295ELNS1_3gpuE0ELNS1_3repE0EEENS1_30default_config_static_selectorELNS0_4arch9wavefront6targetE0EEEvS10_
		.amdhsa_group_segment_fixed_size 0
		.amdhsa_private_segment_fixed_size 0
		.amdhsa_kernarg_size 112
		.amdhsa_user_sgpr_count 6
		.amdhsa_user_sgpr_private_segment_buffer 1
		.amdhsa_user_sgpr_dispatch_ptr 0
		.amdhsa_user_sgpr_queue_ptr 0
		.amdhsa_user_sgpr_kernarg_segment_ptr 1
		.amdhsa_user_sgpr_dispatch_id 0
		.amdhsa_user_sgpr_flat_scratch_init 0
		.amdhsa_user_sgpr_private_segment_size 0
		.amdhsa_wavefront_size32 1
		.amdhsa_uses_dynamic_stack 0
		.amdhsa_system_sgpr_private_segment_wavefront_offset 0
		.amdhsa_system_sgpr_workgroup_id_x 1
		.amdhsa_system_sgpr_workgroup_id_y 0
		.amdhsa_system_sgpr_workgroup_id_z 0
		.amdhsa_system_sgpr_workgroup_info 0
		.amdhsa_system_vgpr_workitem_id 0
		.amdhsa_next_free_vgpr 1
		.amdhsa_next_free_sgpr 1
		.amdhsa_reserve_vcc 0
		.amdhsa_reserve_flat_scratch 0
		.amdhsa_float_round_mode_32 0
		.amdhsa_float_round_mode_16_64 0
		.amdhsa_float_denorm_mode_32 3
		.amdhsa_float_denorm_mode_16_64 3
		.amdhsa_dx10_clamp 1
		.amdhsa_ieee_mode 1
		.amdhsa_fp16_overflow 0
		.amdhsa_workgroup_processor_mode 1
		.amdhsa_memory_ordered 1
		.amdhsa_forward_progress 1
		.amdhsa_shared_vgpr_count 0
		.amdhsa_exception_fp_ieee_invalid_op 0
		.amdhsa_exception_fp_denorm_src 0
		.amdhsa_exception_fp_ieee_div_zero 0
		.amdhsa_exception_fp_ieee_overflow 0
		.amdhsa_exception_fp_ieee_underflow 0
		.amdhsa_exception_fp_ieee_inexact 0
		.amdhsa_exception_int_div_zero 0
	.end_amdhsa_kernel
	.section	.text._ZN7rocprim17ROCPRIM_400000_NS6detail17trampoline_kernelINS0_14default_configENS1_21merge_config_selectorINS0_5tupleIJjjEEENS0_10empty_typeEEEZNS1_10merge_implIS3_NS0_12zip_iteratorINS5_IJN6thrust23THRUST_200600_302600_NS6detail15normal_iteratorINSC_10device_ptrIKjEEEESI_EEEEESK_NSA_INS5_IJNSE_INSF_IjEEEESM_EEEEEPS7_SP_SP_NSC_11hip_rocprim7__merge17predicate_wrapperIjjNSC_7greaterIjEEEEEE10hipError_tPvRmT0_T1_T2_T3_T4_T5_mmT6_P12ihipStream_tbEUlT_E0_NS1_11comp_targetILNS1_3genE0ELNS1_11target_archE4294967295ELNS1_3gpuE0ELNS1_3repE0EEENS1_30default_config_static_selectorELNS0_4arch9wavefront6targetE0EEEvS10_,"axG",@progbits,_ZN7rocprim17ROCPRIM_400000_NS6detail17trampoline_kernelINS0_14default_configENS1_21merge_config_selectorINS0_5tupleIJjjEEENS0_10empty_typeEEEZNS1_10merge_implIS3_NS0_12zip_iteratorINS5_IJN6thrust23THRUST_200600_302600_NS6detail15normal_iteratorINSC_10device_ptrIKjEEEESI_EEEEESK_NSA_INS5_IJNSE_INSF_IjEEEESM_EEEEEPS7_SP_SP_NSC_11hip_rocprim7__merge17predicate_wrapperIjjNSC_7greaterIjEEEEEE10hipError_tPvRmT0_T1_T2_T3_T4_T5_mmT6_P12ihipStream_tbEUlT_E0_NS1_11comp_targetILNS1_3genE0ELNS1_11target_archE4294967295ELNS1_3gpuE0ELNS1_3repE0EEENS1_30default_config_static_selectorELNS0_4arch9wavefront6targetE0EEEvS10_,comdat
.Lfunc_end380:
	.size	_ZN7rocprim17ROCPRIM_400000_NS6detail17trampoline_kernelINS0_14default_configENS1_21merge_config_selectorINS0_5tupleIJjjEEENS0_10empty_typeEEEZNS1_10merge_implIS3_NS0_12zip_iteratorINS5_IJN6thrust23THRUST_200600_302600_NS6detail15normal_iteratorINSC_10device_ptrIKjEEEESI_EEEEESK_NSA_INS5_IJNSE_INSF_IjEEEESM_EEEEEPS7_SP_SP_NSC_11hip_rocprim7__merge17predicate_wrapperIjjNSC_7greaterIjEEEEEE10hipError_tPvRmT0_T1_T2_T3_T4_T5_mmT6_P12ihipStream_tbEUlT_E0_NS1_11comp_targetILNS1_3genE0ELNS1_11target_archE4294967295ELNS1_3gpuE0ELNS1_3repE0EEENS1_30default_config_static_selectorELNS0_4arch9wavefront6targetE0EEEvS10_, .Lfunc_end380-_ZN7rocprim17ROCPRIM_400000_NS6detail17trampoline_kernelINS0_14default_configENS1_21merge_config_selectorINS0_5tupleIJjjEEENS0_10empty_typeEEEZNS1_10merge_implIS3_NS0_12zip_iteratorINS5_IJN6thrust23THRUST_200600_302600_NS6detail15normal_iteratorINSC_10device_ptrIKjEEEESI_EEEEESK_NSA_INS5_IJNSE_INSF_IjEEEESM_EEEEEPS7_SP_SP_NSC_11hip_rocprim7__merge17predicate_wrapperIjjNSC_7greaterIjEEEEEE10hipError_tPvRmT0_T1_T2_T3_T4_T5_mmT6_P12ihipStream_tbEUlT_E0_NS1_11comp_targetILNS1_3genE0ELNS1_11target_archE4294967295ELNS1_3gpuE0ELNS1_3repE0EEENS1_30default_config_static_selectorELNS0_4arch9wavefront6targetE0EEEvS10_
                                        ; -- End function
	.set _ZN7rocprim17ROCPRIM_400000_NS6detail17trampoline_kernelINS0_14default_configENS1_21merge_config_selectorINS0_5tupleIJjjEEENS0_10empty_typeEEEZNS1_10merge_implIS3_NS0_12zip_iteratorINS5_IJN6thrust23THRUST_200600_302600_NS6detail15normal_iteratorINSC_10device_ptrIKjEEEESI_EEEEESK_NSA_INS5_IJNSE_INSF_IjEEEESM_EEEEEPS7_SP_SP_NSC_11hip_rocprim7__merge17predicate_wrapperIjjNSC_7greaterIjEEEEEE10hipError_tPvRmT0_T1_T2_T3_T4_T5_mmT6_P12ihipStream_tbEUlT_E0_NS1_11comp_targetILNS1_3genE0ELNS1_11target_archE4294967295ELNS1_3gpuE0ELNS1_3repE0EEENS1_30default_config_static_selectorELNS0_4arch9wavefront6targetE0EEEvS10_.num_vgpr, 0
	.set _ZN7rocprim17ROCPRIM_400000_NS6detail17trampoline_kernelINS0_14default_configENS1_21merge_config_selectorINS0_5tupleIJjjEEENS0_10empty_typeEEEZNS1_10merge_implIS3_NS0_12zip_iteratorINS5_IJN6thrust23THRUST_200600_302600_NS6detail15normal_iteratorINSC_10device_ptrIKjEEEESI_EEEEESK_NSA_INS5_IJNSE_INSF_IjEEEESM_EEEEEPS7_SP_SP_NSC_11hip_rocprim7__merge17predicate_wrapperIjjNSC_7greaterIjEEEEEE10hipError_tPvRmT0_T1_T2_T3_T4_T5_mmT6_P12ihipStream_tbEUlT_E0_NS1_11comp_targetILNS1_3genE0ELNS1_11target_archE4294967295ELNS1_3gpuE0ELNS1_3repE0EEENS1_30default_config_static_selectorELNS0_4arch9wavefront6targetE0EEEvS10_.num_agpr, 0
	.set _ZN7rocprim17ROCPRIM_400000_NS6detail17trampoline_kernelINS0_14default_configENS1_21merge_config_selectorINS0_5tupleIJjjEEENS0_10empty_typeEEEZNS1_10merge_implIS3_NS0_12zip_iteratorINS5_IJN6thrust23THRUST_200600_302600_NS6detail15normal_iteratorINSC_10device_ptrIKjEEEESI_EEEEESK_NSA_INS5_IJNSE_INSF_IjEEEESM_EEEEEPS7_SP_SP_NSC_11hip_rocprim7__merge17predicate_wrapperIjjNSC_7greaterIjEEEEEE10hipError_tPvRmT0_T1_T2_T3_T4_T5_mmT6_P12ihipStream_tbEUlT_E0_NS1_11comp_targetILNS1_3genE0ELNS1_11target_archE4294967295ELNS1_3gpuE0ELNS1_3repE0EEENS1_30default_config_static_selectorELNS0_4arch9wavefront6targetE0EEEvS10_.numbered_sgpr, 0
	.set _ZN7rocprim17ROCPRIM_400000_NS6detail17trampoline_kernelINS0_14default_configENS1_21merge_config_selectorINS0_5tupleIJjjEEENS0_10empty_typeEEEZNS1_10merge_implIS3_NS0_12zip_iteratorINS5_IJN6thrust23THRUST_200600_302600_NS6detail15normal_iteratorINSC_10device_ptrIKjEEEESI_EEEEESK_NSA_INS5_IJNSE_INSF_IjEEEESM_EEEEEPS7_SP_SP_NSC_11hip_rocprim7__merge17predicate_wrapperIjjNSC_7greaterIjEEEEEE10hipError_tPvRmT0_T1_T2_T3_T4_T5_mmT6_P12ihipStream_tbEUlT_E0_NS1_11comp_targetILNS1_3genE0ELNS1_11target_archE4294967295ELNS1_3gpuE0ELNS1_3repE0EEENS1_30default_config_static_selectorELNS0_4arch9wavefront6targetE0EEEvS10_.num_named_barrier, 0
	.set _ZN7rocprim17ROCPRIM_400000_NS6detail17trampoline_kernelINS0_14default_configENS1_21merge_config_selectorINS0_5tupleIJjjEEENS0_10empty_typeEEEZNS1_10merge_implIS3_NS0_12zip_iteratorINS5_IJN6thrust23THRUST_200600_302600_NS6detail15normal_iteratorINSC_10device_ptrIKjEEEESI_EEEEESK_NSA_INS5_IJNSE_INSF_IjEEEESM_EEEEEPS7_SP_SP_NSC_11hip_rocprim7__merge17predicate_wrapperIjjNSC_7greaterIjEEEEEE10hipError_tPvRmT0_T1_T2_T3_T4_T5_mmT6_P12ihipStream_tbEUlT_E0_NS1_11comp_targetILNS1_3genE0ELNS1_11target_archE4294967295ELNS1_3gpuE0ELNS1_3repE0EEENS1_30default_config_static_selectorELNS0_4arch9wavefront6targetE0EEEvS10_.private_seg_size, 0
	.set _ZN7rocprim17ROCPRIM_400000_NS6detail17trampoline_kernelINS0_14default_configENS1_21merge_config_selectorINS0_5tupleIJjjEEENS0_10empty_typeEEEZNS1_10merge_implIS3_NS0_12zip_iteratorINS5_IJN6thrust23THRUST_200600_302600_NS6detail15normal_iteratorINSC_10device_ptrIKjEEEESI_EEEEESK_NSA_INS5_IJNSE_INSF_IjEEEESM_EEEEEPS7_SP_SP_NSC_11hip_rocprim7__merge17predicate_wrapperIjjNSC_7greaterIjEEEEEE10hipError_tPvRmT0_T1_T2_T3_T4_T5_mmT6_P12ihipStream_tbEUlT_E0_NS1_11comp_targetILNS1_3genE0ELNS1_11target_archE4294967295ELNS1_3gpuE0ELNS1_3repE0EEENS1_30default_config_static_selectorELNS0_4arch9wavefront6targetE0EEEvS10_.uses_vcc, 0
	.set _ZN7rocprim17ROCPRIM_400000_NS6detail17trampoline_kernelINS0_14default_configENS1_21merge_config_selectorINS0_5tupleIJjjEEENS0_10empty_typeEEEZNS1_10merge_implIS3_NS0_12zip_iteratorINS5_IJN6thrust23THRUST_200600_302600_NS6detail15normal_iteratorINSC_10device_ptrIKjEEEESI_EEEEESK_NSA_INS5_IJNSE_INSF_IjEEEESM_EEEEEPS7_SP_SP_NSC_11hip_rocprim7__merge17predicate_wrapperIjjNSC_7greaterIjEEEEEE10hipError_tPvRmT0_T1_T2_T3_T4_T5_mmT6_P12ihipStream_tbEUlT_E0_NS1_11comp_targetILNS1_3genE0ELNS1_11target_archE4294967295ELNS1_3gpuE0ELNS1_3repE0EEENS1_30default_config_static_selectorELNS0_4arch9wavefront6targetE0EEEvS10_.uses_flat_scratch, 0
	.set _ZN7rocprim17ROCPRIM_400000_NS6detail17trampoline_kernelINS0_14default_configENS1_21merge_config_selectorINS0_5tupleIJjjEEENS0_10empty_typeEEEZNS1_10merge_implIS3_NS0_12zip_iteratorINS5_IJN6thrust23THRUST_200600_302600_NS6detail15normal_iteratorINSC_10device_ptrIKjEEEESI_EEEEESK_NSA_INS5_IJNSE_INSF_IjEEEESM_EEEEEPS7_SP_SP_NSC_11hip_rocprim7__merge17predicate_wrapperIjjNSC_7greaterIjEEEEEE10hipError_tPvRmT0_T1_T2_T3_T4_T5_mmT6_P12ihipStream_tbEUlT_E0_NS1_11comp_targetILNS1_3genE0ELNS1_11target_archE4294967295ELNS1_3gpuE0ELNS1_3repE0EEENS1_30default_config_static_selectorELNS0_4arch9wavefront6targetE0EEEvS10_.has_dyn_sized_stack, 0
	.set _ZN7rocprim17ROCPRIM_400000_NS6detail17trampoline_kernelINS0_14default_configENS1_21merge_config_selectorINS0_5tupleIJjjEEENS0_10empty_typeEEEZNS1_10merge_implIS3_NS0_12zip_iteratorINS5_IJN6thrust23THRUST_200600_302600_NS6detail15normal_iteratorINSC_10device_ptrIKjEEEESI_EEEEESK_NSA_INS5_IJNSE_INSF_IjEEEESM_EEEEEPS7_SP_SP_NSC_11hip_rocprim7__merge17predicate_wrapperIjjNSC_7greaterIjEEEEEE10hipError_tPvRmT0_T1_T2_T3_T4_T5_mmT6_P12ihipStream_tbEUlT_E0_NS1_11comp_targetILNS1_3genE0ELNS1_11target_archE4294967295ELNS1_3gpuE0ELNS1_3repE0EEENS1_30default_config_static_selectorELNS0_4arch9wavefront6targetE0EEEvS10_.has_recursion, 0
	.set _ZN7rocprim17ROCPRIM_400000_NS6detail17trampoline_kernelINS0_14default_configENS1_21merge_config_selectorINS0_5tupleIJjjEEENS0_10empty_typeEEEZNS1_10merge_implIS3_NS0_12zip_iteratorINS5_IJN6thrust23THRUST_200600_302600_NS6detail15normal_iteratorINSC_10device_ptrIKjEEEESI_EEEEESK_NSA_INS5_IJNSE_INSF_IjEEEESM_EEEEEPS7_SP_SP_NSC_11hip_rocprim7__merge17predicate_wrapperIjjNSC_7greaterIjEEEEEE10hipError_tPvRmT0_T1_T2_T3_T4_T5_mmT6_P12ihipStream_tbEUlT_E0_NS1_11comp_targetILNS1_3genE0ELNS1_11target_archE4294967295ELNS1_3gpuE0ELNS1_3repE0EEENS1_30default_config_static_selectorELNS0_4arch9wavefront6targetE0EEEvS10_.has_indirect_call, 0
	.section	.AMDGPU.csdata,"",@progbits
; Kernel info:
; codeLenInByte = 0
; TotalNumSgprs: 0
; NumVgprs: 0
; ScratchSize: 0
; MemoryBound: 0
; FloatMode: 240
; IeeeMode: 1
; LDSByteSize: 0 bytes/workgroup (compile time only)
; SGPRBlocks: 0
; VGPRBlocks: 0
; NumSGPRsForWavesPerEU: 1
; NumVGPRsForWavesPerEU: 1
; Occupancy: 16
; WaveLimiterHint : 0
; COMPUTE_PGM_RSRC2:SCRATCH_EN: 0
; COMPUTE_PGM_RSRC2:USER_SGPR: 6
; COMPUTE_PGM_RSRC2:TRAP_HANDLER: 0
; COMPUTE_PGM_RSRC2:TGID_X_EN: 1
; COMPUTE_PGM_RSRC2:TGID_Y_EN: 0
; COMPUTE_PGM_RSRC2:TGID_Z_EN: 0
; COMPUTE_PGM_RSRC2:TIDIG_COMP_CNT: 0
	.section	.text._ZN7rocprim17ROCPRIM_400000_NS6detail17trampoline_kernelINS0_14default_configENS1_21merge_config_selectorINS0_5tupleIJjjEEENS0_10empty_typeEEEZNS1_10merge_implIS3_NS0_12zip_iteratorINS5_IJN6thrust23THRUST_200600_302600_NS6detail15normal_iteratorINSC_10device_ptrIKjEEEESI_EEEEESK_NSA_INS5_IJNSE_INSF_IjEEEESM_EEEEEPS7_SP_SP_NSC_11hip_rocprim7__merge17predicate_wrapperIjjNSC_7greaterIjEEEEEE10hipError_tPvRmT0_T1_T2_T3_T4_T5_mmT6_P12ihipStream_tbEUlT_E0_NS1_11comp_targetILNS1_3genE5ELNS1_11target_archE942ELNS1_3gpuE9ELNS1_3repE0EEENS1_30default_config_static_selectorELNS0_4arch9wavefront6targetE0EEEvS10_,"axG",@progbits,_ZN7rocprim17ROCPRIM_400000_NS6detail17trampoline_kernelINS0_14default_configENS1_21merge_config_selectorINS0_5tupleIJjjEEENS0_10empty_typeEEEZNS1_10merge_implIS3_NS0_12zip_iteratorINS5_IJN6thrust23THRUST_200600_302600_NS6detail15normal_iteratorINSC_10device_ptrIKjEEEESI_EEEEESK_NSA_INS5_IJNSE_INSF_IjEEEESM_EEEEEPS7_SP_SP_NSC_11hip_rocprim7__merge17predicate_wrapperIjjNSC_7greaterIjEEEEEE10hipError_tPvRmT0_T1_T2_T3_T4_T5_mmT6_P12ihipStream_tbEUlT_E0_NS1_11comp_targetILNS1_3genE5ELNS1_11target_archE942ELNS1_3gpuE9ELNS1_3repE0EEENS1_30default_config_static_selectorELNS0_4arch9wavefront6targetE0EEEvS10_,comdat
	.protected	_ZN7rocprim17ROCPRIM_400000_NS6detail17trampoline_kernelINS0_14default_configENS1_21merge_config_selectorINS0_5tupleIJjjEEENS0_10empty_typeEEEZNS1_10merge_implIS3_NS0_12zip_iteratorINS5_IJN6thrust23THRUST_200600_302600_NS6detail15normal_iteratorINSC_10device_ptrIKjEEEESI_EEEEESK_NSA_INS5_IJNSE_INSF_IjEEEESM_EEEEEPS7_SP_SP_NSC_11hip_rocprim7__merge17predicate_wrapperIjjNSC_7greaterIjEEEEEE10hipError_tPvRmT0_T1_T2_T3_T4_T5_mmT6_P12ihipStream_tbEUlT_E0_NS1_11comp_targetILNS1_3genE5ELNS1_11target_archE942ELNS1_3gpuE9ELNS1_3repE0EEENS1_30default_config_static_selectorELNS0_4arch9wavefront6targetE0EEEvS10_ ; -- Begin function _ZN7rocprim17ROCPRIM_400000_NS6detail17trampoline_kernelINS0_14default_configENS1_21merge_config_selectorINS0_5tupleIJjjEEENS0_10empty_typeEEEZNS1_10merge_implIS3_NS0_12zip_iteratorINS5_IJN6thrust23THRUST_200600_302600_NS6detail15normal_iteratorINSC_10device_ptrIKjEEEESI_EEEEESK_NSA_INS5_IJNSE_INSF_IjEEEESM_EEEEEPS7_SP_SP_NSC_11hip_rocprim7__merge17predicate_wrapperIjjNSC_7greaterIjEEEEEE10hipError_tPvRmT0_T1_T2_T3_T4_T5_mmT6_P12ihipStream_tbEUlT_E0_NS1_11comp_targetILNS1_3genE5ELNS1_11target_archE942ELNS1_3gpuE9ELNS1_3repE0EEENS1_30default_config_static_selectorELNS0_4arch9wavefront6targetE0EEEvS10_
	.globl	_ZN7rocprim17ROCPRIM_400000_NS6detail17trampoline_kernelINS0_14default_configENS1_21merge_config_selectorINS0_5tupleIJjjEEENS0_10empty_typeEEEZNS1_10merge_implIS3_NS0_12zip_iteratorINS5_IJN6thrust23THRUST_200600_302600_NS6detail15normal_iteratorINSC_10device_ptrIKjEEEESI_EEEEESK_NSA_INS5_IJNSE_INSF_IjEEEESM_EEEEEPS7_SP_SP_NSC_11hip_rocprim7__merge17predicate_wrapperIjjNSC_7greaterIjEEEEEE10hipError_tPvRmT0_T1_T2_T3_T4_T5_mmT6_P12ihipStream_tbEUlT_E0_NS1_11comp_targetILNS1_3genE5ELNS1_11target_archE942ELNS1_3gpuE9ELNS1_3repE0EEENS1_30default_config_static_selectorELNS0_4arch9wavefront6targetE0EEEvS10_
	.p2align	8
	.type	_ZN7rocprim17ROCPRIM_400000_NS6detail17trampoline_kernelINS0_14default_configENS1_21merge_config_selectorINS0_5tupleIJjjEEENS0_10empty_typeEEEZNS1_10merge_implIS3_NS0_12zip_iteratorINS5_IJN6thrust23THRUST_200600_302600_NS6detail15normal_iteratorINSC_10device_ptrIKjEEEESI_EEEEESK_NSA_INS5_IJNSE_INSF_IjEEEESM_EEEEEPS7_SP_SP_NSC_11hip_rocprim7__merge17predicate_wrapperIjjNSC_7greaterIjEEEEEE10hipError_tPvRmT0_T1_T2_T3_T4_T5_mmT6_P12ihipStream_tbEUlT_E0_NS1_11comp_targetILNS1_3genE5ELNS1_11target_archE942ELNS1_3gpuE9ELNS1_3repE0EEENS1_30default_config_static_selectorELNS0_4arch9wavefront6targetE0EEEvS10_,@function
_ZN7rocprim17ROCPRIM_400000_NS6detail17trampoline_kernelINS0_14default_configENS1_21merge_config_selectorINS0_5tupleIJjjEEENS0_10empty_typeEEEZNS1_10merge_implIS3_NS0_12zip_iteratorINS5_IJN6thrust23THRUST_200600_302600_NS6detail15normal_iteratorINSC_10device_ptrIKjEEEESI_EEEEESK_NSA_INS5_IJNSE_INSF_IjEEEESM_EEEEEPS7_SP_SP_NSC_11hip_rocprim7__merge17predicate_wrapperIjjNSC_7greaterIjEEEEEE10hipError_tPvRmT0_T1_T2_T3_T4_T5_mmT6_P12ihipStream_tbEUlT_E0_NS1_11comp_targetILNS1_3genE5ELNS1_11target_archE942ELNS1_3gpuE9ELNS1_3repE0EEENS1_30default_config_static_selectorELNS0_4arch9wavefront6targetE0EEEvS10_: ; @_ZN7rocprim17ROCPRIM_400000_NS6detail17trampoline_kernelINS0_14default_configENS1_21merge_config_selectorINS0_5tupleIJjjEEENS0_10empty_typeEEEZNS1_10merge_implIS3_NS0_12zip_iteratorINS5_IJN6thrust23THRUST_200600_302600_NS6detail15normal_iteratorINSC_10device_ptrIKjEEEESI_EEEEESK_NSA_INS5_IJNSE_INSF_IjEEEESM_EEEEEPS7_SP_SP_NSC_11hip_rocprim7__merge17predicate_wrapperIjjNSC_7greaterIjEEEEEE10hipError_tPvRmT0_T1_T2_T3_T4_T5_mmT6_P12ihipStream_tbEUlT_E0_NS1_11comp_targetILNS1_3genE5ELNS1_11target_archE942ELNS1_3gpuE9ELNS1_3repE0EEENS1_30default_config_static_selectorELNS0_4arch9wavefront6targetE0EEEvS10_
; %bb.0:
	.section	.rodata,"a",@progbits
	.p2align	6, 0x0
	.amdhsa_kernel _ZN7rocprim17ROCPRIM_400000_NS6detail17trampoline_kernelINS0_14default_configENS1_21merge_config_selectorINS0_5tupleIJjjEEENS0_10empty_typeEEEZNS1_10merge_implIS3_NS0_12zip_iteratorINS5_IJN6thrust23THRUST_200600_302600_NS6detail15normal_iteratorINSC_10device_ptrIKjEEEESI_EEEEESK_NSA_INS5_IJNSE_INSF_IjEEEESM_EEEEEPS7_SP_SP_NSC_11hip_rocprim7__merge17predicate_wrapperIjjNSC_7greaterIjEEEEEE10hipError_tPvRmT0_T1_T2_T3_T4_T5_mmT6_P12ihipStream_tbEUlT_E0_NS1_11comp_targetILNS1_3genE5ELNS1_11target_archE942ELNS1_3gpuE9ELNS1_3repE0EEENS1_30default_config_static_selectorELNS0_4arch9wavefront6targetE0EEEvS10_
		.amdhsa_group_segment_fixed_size 0
		.amdhsa_private_segment_fixed_size 0
		.amdhsa_kernarg_size 112
		.amdhsa_user_sgpr_count 6
		.amdhsa_user_sgpr_private_segment_buffer 1
		.amdhsa_user_sgpr_dispatch_ptr 0
		.amdhsa_user_sgpr_queue_ptr 0
		.amdhsa_user_sgpr_kernarg_segment_ptr 1
		.amdhsa_user_sgpr_dispatch_id 0
		.amdhsa_user_sgpr_flat_scratch_init 0
		.amdhsa_user_sgpr_private_segment_size 0
		.amdhsa_wavefront_size32 1
		.amdhsa_uses_dynamic_stack 0
		.amdhsa_system_sgpr_private_segment_wavefront_offset 0
		.amdhsa_system_sgpr_workgroup_id_x 1
		.amdhsa_system_sgpr_workgroup_id_y 0
		.amdhsa_system_sgpr_workgroup_id_z 0
		.amdhsa_system_sgpr_workgroup_info 0
		.amdhsa_system_vgpr_workitem_id 0
		.amdhsa_next_free_vgpr 1
		.amdhsa_next_free_sgpr 1
		.amdhsa_reserve_vcc 0
		.amdhsa_reserve_flat_scratch 0
		.amdhsa_float_round_mode_32 0
		.amdhsa_float_round_mode_16_64 0
		.amdhsa_float_denorm_mode_32 3
		.amdhsa_float_denorm_mode_16_64 3
		.amdhsa_dx10_clamp 1
		.amdhsa_ieee_mode 1
		.amdhsa_fp16_overflow 0
		.amdhsa_workgroup_processor_mode 1
		.amdhsa_memory_ordered 1
		.amdhsa_forward_progress 1
		.amdhsa_shared_vgpr_count 0
		.amdhsa_exception_fp_ieee_invalid_op 0
		.amdhsa_exception_fp_denorm_src 0
		.amdhsa_exception_fp_ieee_div_zero 0
		.amdhsa_exception_fp_ieee_overflow 0
		.amdhsa_exception_fp_ieee_underflow 0
		.amdhsa_exception_fp_ieee_inexact 0
		.amdhsa_exception_int_div_zero 0
	.end_amdhsa_kernel
	.section	.text._ZN7rocprim17ROCPRIM_400000_NS6detail17trampoline_kernelINS0_14default_configENS1_21merge_config_selectorINS0_5tupleIJjjEEENS0_10empty_typeEEEZNS1_10merge_implIS3_NS0_12zip_iteratorINS5_IJN6thrust23THRUST_200600_302600_NS6detail15normal_iteratorINSC_10device_ptrIKjEEEESI_EEEEESK_NSA_INS5_IJNSE_INSF_IjEEEESM_EEEEEPS7_SP_SP_NSC_11hip_rocprim7__merge17predicate_wrapperIjjNSC_7greaterIjEEEEEE10hipError_tPvRmT0_T1_T2_T3_T4_T5_mmT6_P12ihipStream_tbEUlT_E0_NS1_11comp_targetILNS1_3genE5ELNS1_11target_archE942ELNS1_3gpuE9ELNS1_3repE0EEENS1_30default_config_static_selectorELNS0_4arch9wavefront6targetE0EEEvS10_,"axG",@progbits,_ZN7rocprim17ROCPRIM_400000_NS6detail17trampoline_kernelINS0_14default_configENS1_21merge_config_selectorINS0_5tupleIJjjEEENS0_10empty_typeEEEZNS1_10merge_implIS3_NS0_12zip_iteratorINS5_IJN6thrust23THRUST_200600_302600_NS6detail15normal_iteratorINSC_10device_ptrIKjEEEESI_EEEEESK_NSA_INS5_IJNSE_INSF_IjEEEESM_EEEEEPS7_SP_SP_NSC_11hip_rocprim7__merge17predicate_wrapperIjjNSC_7greaterIjEEEEEE10hipError_tPvRmT0_T1_T2_T3_T4_T5_mmT6_P12ihipStream_tbEUlT_E0_NS1_11comp_targetILNS1_3genE5ELNS1_11target_archE942ELNS1_3gpuE9ELNS1_3repE0EEENS1_30default_config_static_selectorELNS0_4arch9wavefront6targetE0EEEvS10_,comdat
.Lfunc_end381:
	.size	_ZN7rocprim17ROCPRIM_400000_NS6detail17trampoline_kernelINS0_14default_configENS1_21merge_config_selectorINS0_5tupleIJjjEEENS0_10empty_typeEEEZNS1_10merge_implIS3_NS0_12zip_iteratorINS5_IJN6thrust23THRUST_200600_302600_NS6detail15normal_iteratorINSC_10device_ptrIKjEEEESI_EEEEESK_NSA_INS5_IJNSE_INSF_IjEEEESM_EEEEEPS7_SP_SP_NSC_11hip_rocprim7__merge17predicate_wrapperIjjNSC_7greaterIjEEEEEE10hipError_tPvRmT0_T1_T2_T3_T4_T5_mmT6_P12ihipStream_tbEUlT_E0_NS1_11comp_targetILNS1_3genE5ELNS1_11target_archE942ELNS1_3gpuE9ELNS1_3repE0EEENS1_30default_config_static_selectorELNS0_4arch9wavefront6targetE0EEEvS10_, .Lfunc_end381-_ZN7rocprim17ROCPRIM_400000_NS6detail17trampoline_kernelINS0_14default_configENS1_21merge_config_selectorINS0_5tupleIJjjEEENS0_10empty_typeEEEZNS1_10merge_implIS3_NS0_12zip_iteratorINS5_IJN6thrust23THRUST_200600_302600_NS6detail15normal_iteratorINSC_10device_ptrIKjEEEESI_EEEEESK_NSA_INS5_IJNSE_INSF_IjEEEESM_EEEEEPS7_SP_SP_NSC_11hip_rocprim7__merge17predicate_wrapperIjjNSC_7greaterIjEEEEEE10hipError_tPvRmT0_T1_T2_T3_T4_T5_mmT6_P12ihipStream_tbEUlT_E0_NS1_11comp_targetILNS1_3genE5ELNS1_11target_archE942ELNS1_3gpuE9ELNS1_3repE0EEENS1_30default_config_static_selectorELNS0_4arch9wavefront6targetE0EEEvS10_
                                        ; -- End function
	.set _ZN7rocprim17ROCPRIM_400000_NS6detail17trampoline_kernelINS0_14default_configENS1_21merge_config_selectorINS0_5tupleIJjjEEENS0_10empty_typeEEEZNS1_10merge_implIS3_NS0_12zip_iteratorINS5_IJN6thrust23THRUST_200600_302600_NS6detail15normal_iteratorINSC_10device_ptrIKjEEEESI_EEEEESK_NSA_INS5_IJNSE_INSF_IjEEEESM_EEEEEPS7_SP_SP_NSC_11hip_rocprim7__merge17predicate_wrapperIjjNSC_7greaterIjEEEEEE10hipError_tPvRmT0_T1_T2_T3_T4_T5_mmT6_P12ihipStream_tbEUlT_E0_NS1_11comp_targetILNS1_3genE5ELNS1_11target_archE942ELNS1_3gpuE9ELNS1_3repE0EEENS1_30default_config_static_selectorELNS0_4arch9wavefront6targetE0EEEvS10_.num_vgpr, 0
	.set _ZN7rocprim17ROCPRIM_400000_NS6detail17trampoline_kernelINS0_14default_configENS1_21merge_config_selectorINS0_5tupleIJjjEEENS0_10empty_typeEEEZNS1_10merge_implIS3_NS0_12zip_iteratorINS5_IJN6thrust23THRUST_200600_302600_NS6detail15normal_iteratorINSC_10device_ptrIKjEEEESI_EEEEESK_NSA_INS5_IJNSE_INSF_IjEEEESM_EEEEEPS7_SP_SP_NSC_11hip_rocprim7__merge17predicate_wrapperIjjNSC_7greaterIjEEEEEE10hipError_tPvRmT0_T1_T2_T3_T4_T5_mmT6_P12ihipStream_tbEUlT_E0_NS1_11comp_targetILNS1_3genE5ELNS1_11target_archE942ELNS1_3gpuE9ELNS1_3repE0EEENS1_30default_config_static_selectorELNS0_4arch9wavefront6targetE0EEEvS10_.num_agpr, 0
	.set _ZN7rocprim17ROCPRIM_400000_NS6detail17trampoline_kernelINS0_14default_configENS1_21merge_config_selectorINS0_5tupleIJjjEEENS0_10empty_typeEEEZNS1_10merge_implIS3_NS0_12zip_iteratorINS5_IJN6thrust23THRUST_200600_302600_NS6detail15normal_iteratorINSC_10device_ptrIKjEEEESI_EEEEESK_NSA_INS5_IJNSE_INSF_IjEEEESM_EEEEEPS7_SP_SP_NSC_11hip_rocprim7__merge17predicate_wrapperIjjNSC_7greaterIjEEEEEE10hipError_tPvRmT0_T1_T2_T3_T4_T5_mmT6_P12ihipStream_tbEUlT_E0_NS1_11comp_targetILNS1_3genE5ELNS1_11target_archE942ELNS1_3gpuE9ELNS1_3repE0EEENS1_30default_config_static_selectorELNS0_4arch9wavefront6targetE0EEEvS10_.numbered_sgpr, 0
	.set _ZN7rocprim17ROCPRIM_400000_NS6detail17trampoline_kernelINS0_14default_configENS1_21merge_config_selectorINS0_5tupleIJjjEEENS0_10empty_typeEEEZNS1_10merge_implIS3_NS0_12zip_iteratorINS5_IJN6thrust23THRUST_200600_302600_NS6detail15normal_iteratorINSC_10device_ptrIKjEEEESI_EEEEESK_NSA_INS5_IJNSE_INSF_IjEEEESM_EEEEEPS7_SP_SP_NSC_11hip_rocprim7__merge17predicate_wrapperIjjNSC_7greaterIjEEEEEE10hipError_tPvRmT0_T1_T2_T3_T4_T5_mmT6_P12ihipStream_tbEUlT_E0_NS1_11comp_targetILNS1_3genE5ELNS1_11target_archE942ELNS1_3gpuE9ELNS1_3repE0EEENS1_30default_config_static_selectorELNS0_4arch9wavefront6targetE0EEEvS10_.num_named_barrier, 0
	.set _ZN7rocprim17ROCPRIM_400000_NS6detail17trampoline_kernelINS0_14default_configENS1_21merge_config_selectorINS0_5tupleIJjjEEENS0_10empty_typeEEEZNS1_10merge_implIS3_NS0_12zip_iteratorINS5_IJN6thrust23THRUST_200600_302600_NS6detail15normal_iteratorINSC_10device_ptrIKjEEEESI_EEEEESK_NSA_INS5_IJNSE_INSF_IjEEEESM_EEEEEPS7_SP_SP_NSC_11hip_rocprim7__merge17predicate_wrapperIjjNSC_7greaterIjEEEEEE10hipError_tPvRmT0_T1_T2_T3_T4_T5_mmT6_P12ihipStream_tbEUlT_E0_NS1_11comp_targetILNS1_3genE5ELNS1_11target_archE942ELNS1_3gpuE9ELNS1_3repE0EEENS1_30default_config_static_selectorELNS0_4arch9wavefront6targetE0EEEvS10_.private_seg_size, 0
	.set _ZN7rocprim17ROCPRIM_400000_NS6detail17trampoline_kernelINS0_14default_configENS1_21merge_config_selectorINS0_5tupleIJjjEEENS0_10empty_typeEEEZNS1_10merge_implIS3_NS0_12zip_iteratorINS5_IJN6thrust23THRUST_200600_302600_NS6detail15normal_iteratorINSC_10device_ptrIKjEEEESI_EEEEESK_NSA_INS5_IJNSE_INSF_IjEEEESM_EEEEEPS7_SP_SP_NSC_11hip_rocprim7__merge17predicate_wrapperIjjNSC_7greaterIjEEEEEE10hipError_tPvRmT0_T1_T2_T3_T4_T5_mmT6_P12ihipStream_tbEUlT_E0_NS1_11comp_targetILNS1_3genE5ELNS1_11target_archE942ELNS1_3gpuE9ELNS1_3repE0EEENS1_30default_config_static_selectorELNS0_4arch9wavefront6targetE0EEEvS10_.uses_vcc, 0
	.set _ZN7rocprim17ROCPRIM_400000_NS6detail17trampoline_kernelINS0_14default_configENS1_21merge_config_selectorINS0_5tupleIJjjEEENS0_10empty_typeEEEZNS1_10merge_implIS3_NS0_12zip_iteratorINS5_IJN6thrust23THRUST_200600_302600_NS6detail15normal_iteratorINSC_10device_ptrIKjEEEESI_EEEEESK_NSA_INS5_IJNSE_INSF_IjEEEESM_EEEEEPS7_SP_SP_NSC_11hip_rocprim7__merge17predicate_wrapperIjjNSC_7greaterIjEEEEEE10hipError_tPvRmT0_T1_T2_T3_T4_T5_mmT6_P12ihipStream_tbEUlT_E0_NS1_11comp_targetILNS1_3genE5ELNS1_11target_archE942ELNS1_3gpuE9ELNS1_3repE0EEENS1_30default_config_static_selectorELNS0_4arch9wavefront6targetE0EEEvS10_.uses_flat_scratch, 0
	.set _ZN7rocprim17ROCPRIM_400000_NS6detail17trampoline_kernelINS0_14default_configENS1_21merge_config_selectorINS0_5tupleIJjjEEENS0_10empty_typeEEEZNS1_10merge_implIS3_NS0_12zip_iteratorINS5_IJN6thrust23THRUST_200600_302600_NS6detail15normal_iteratorINSC_10device_ptrIKjEEEESI_EEEEESK_NSA_INS5_IJNSE_INSF_IjEEEESM_EEEEEPS7_SP_SP_NSC_11hip_rocprim7__merge17predicate_wrapperIjjNSC_7greaterIjEEEEEE10hipError_tPvRmT0_T1_T2_T3_T4_T5_mmT6_P12ihipStream_tbEUlT_E0_NS1_11comp_targetILNS1_3genE5ELNS1_11target_archE942ELNS1_3gpuE9ELNS1_3repE0EEENS1_30default_config_static_selectorELNS0_4arch9wavefront6targetE0EEEvS10_.has_dyn_sized_stack, 0
	.set _ZN7rocprim17ROCPRIM_400000_NS6detail17trampoline_kernelINS0_14default_configENS1_21merge_config_selectorINS0_5tupleIJjjEEENS0_10empty_typeEEEZNS1_10merge_implIS3_NS0_12zip_iteratorINS5_IJN6thrust23THRUST_200600_302600_NS6detail15normal_iteratorINSC_10device_ptrIKjEEEESI_EEEEESK_NSA_INS5_IJNSE_INSF_IjEEEESM_EEEEEPS7_SP_SP_NSC_11hip_rocprim7__merge17predicate_wrapperIjjNSC_7greaterIjEEEEEE10hipError_tPvRmT0_T1_T2_T3_T4_T5_mmT6_P12ihipStream_tbEUlT_E0_NS1_11comp_targetILNS1_3genE5ELNS1_11target_archE942ELNS1_3gpuE9ELNS1_3repE0EEENS1_30default_config_static_selectorELNS0_4arch9wavefront6targetE0EEEvS10_.has_recursion, 0
	.set _ZN7rocprim17ROCPRIM_400000_NS6detail17trampoline_kernelINS0_14default_configENS1_21merge_config_selectorINS0_5tupleIJjjEEENS0_10empty_typeEEEZNS1_10merge_implIS3_NS0_12zip_iteratorINS5_IJN6thrust23THRUST_200600_302600_NS6detail15normal_iteratorINSC_10device_ptrIKjEEEESI_EEEEESK_NSA_INS5_IJNSE_INSF_IjEEEESM_EEEEEPS7_SP_SP_NSC_11hip_rocprim7__merge17predicate_wrapperIjjNSC_7greaterIjEEEEEE10hipError_tPvRmT0_T1_T2_T3_T4_T5_mmT6_P12ihipStream_tbEUlT_E0_NS1_11comp_targetILNS1_3genE5ELNS1_11target_archE942ELNS1_3gpuE9ELNS1_3repE0EEENS1_30default_config_static_selectorELNS0_4arch9wavefront6targetE0EEEvS10_.has_indirect_call, 0
	.section	.AMDGPU.csdata,"",@progbits
; Kernel info:
; codeLenInByte = 0
; TotalNumSgprs: 0
; NumVgprs: 0
; ScratchSize: 0
; MemoryBound: 0
; FloatMode: 240
; IeeeMode: 1
; LDSByteSize: 0 bytes/workgroup (compile time only)
; SGPRBlocks: 0
; VGPRBlocks: 0
; NumSGPRsForWavesPerEU: 1
; NumVGPRsForWavesPerEU: 1
; Occupancy: 16
; WaveLimiterHint : 0
; COMPUTE_PGM_RSRC2:SCRATCH_EN: 0
; COMPUTE_PGM_RSRC2:USER_SGPR: 6
; COMPUTE_PGM_RSRC2:TRAP_HANDLER: 0
; COMPUTE_PGM_RSRC2:TGID_X_EN: 1
; COMPUTE_PGM_RSRC2:TGID_Y_EN: 0
; COMPUTE_PGM_RSRC2:TGID_Z_EN: 0
; COMPUTE_PGM_RSRC2:TIDIG_COMP_CNT: 0
	.section	.text._ZN7rocprim17ROCPRIM_400000_NS6detail17trampoline_kernelINS0_14default_configENS1_21merge_config_selectorINS0_5tupleIJjjEEENS0_10empty_typeEEEZNS1_10merge_implIS3_NS0_12zip_iteratorINS5_IJN6thrust23THRUST_200600_302600_NS6detail15normal_iteratorINSC_10device_ptrIKjEEEESI_EEEEESK_NSA_INS5_IJNSE_INSF_IjEEEESM_EEEEEPS7_SP_SP_NSC_11hip_rocprim7__merge17predicate_wrapperIjjNSC_7greaterIjEEEEEE10hipError_tPvRmT0_T1_T2_T3_T4_T5_mmT6_P12ihipStream_tbEUlT_E0_NS1_11comp_targetILNS1_3genE4ELNS1_11target_archE910ELNS1_3gpuE8ELNS1_3repE0EEENS1_30default_config_static_selectorELNS0_4arch9wavefront6targetE0EEEvS10_,"axG",@progbits,_ZN7rocprim17ROCPRIM_400000_NS6detail17trampoline_kernelINS0_14default_configENS1_21merge_config_selectorINS0_5tupleIJjjEEENS0_10empty_typeEEEZNS1_10merge_implIS3_NS0_12zip_iteratorINS5_IJN6thrust23THRUST_200600_302600_NS6detail15normal_iteratorINSC_10device_ptrIKjEEEESI_EEEEESK_NSA_INS5_IJNSE_INSF_IjEEEESM_EEEEEPS7_SP_SP_NSC_11hip_rocprim7__merge17predicate_wrapperIjjNSC_7greaterIjEEEEEE10hipError_tPvRmT0_T1_T2_T3_T4_T5_mmT6_P12ihipStream_tbEUlT_E0_NS1_11comp_targetILNS1_3genE4ELNS1_11target_archE910ELNS1_3gpuE8ELNS1_3repE0EEENS1_30default_config_static_selectorELNS0_4arch9wavefront6targetE0EEEvS10_,comdat
	.protected	_ZN7rocprim17ROCPRIM_400000_NS6detail17trampoline_kernelINS0_14default_configENS1_21merge_config_selectorINS0_5tupleIJjjEEENS0_10empty_typeEEEZNS1_10merge_implIS3_NS0_12zip_iteratorINS5_IJN6thrust23THRUST_200600_302600_NS6detail15normal_iteratorINSC_10device_ptrIKjEEEESI_EEEEESK_NSA_INS5_IJNSE_INSF_IjEEEESM_EEEEEPS7_SP_SP_NSC_11hip_rocprim7__merge17predicate_wrapperIjjNSC_7greaterIjEEEEEE10hipError_tPvRmT0_T1_T2_T3_T4_T5_mmT6_P12ihipStream_tbEUlT_E0_NS1_11comp_targetILNS1_3genE4ELNS1_11target_archE910ELNS1_3gpuE8ELNS1_3repE0EEENS1_30default_config_static_selectorELNS0_4arch9wavefront6targetE0EEEvS10_ ; -- Begin function _ZN7rocprim17ROCPRIM_400000_NS6detail17trampoline_kernelINS0_14default_configENS1_21merge_config_selectorINS0_5tupleIJjjEEENS0_10empty_typeEEEZNS1_10merge_implIS3_NS0_12zip_iteratorINS5_IJN6thrust23THRUST_200600_302600_NS6detail15normal_iteratorINSC_10device_ptrIKjEEEESI_EEEEESK_NSA_INS5_IJNSE_INSF_IjEEEESM_EEEEEPS7_SP_SP_NSC_11hip_rocprim7__merge17predicate_wrapperIjjNSC_7greaterIjEEEEEE10hipError_tPvRmT0_T1_T2_T3_T4_T5_mmT6_P12ihipStream_tbEUlT_E0_NS1_11comp_targetILNS1_3genE4ELNS1_11target_archE910ELNS1_3gpuE8ELNS1_3repE0EEENS1_30default_config_static_selectorELNS0_4arch9wavefront6targetE0EEEvS10_
	.globl	_ZN7rocprim17ROCPRIM_400000_NS6detail17trampoline_kernelINS0_14default_configENS1_21merge_config_selectorINS0_5tupleIJjjEEENS0_10empty_typeEEEZNS1_10merge_implIS3_NS0_12zip_iteratorINS5_IJN6thrust23THRUST_200600_302600_NS6detail15normal_iteratorINSC_10device_ptrIKjEEEESI_EEEEESK_NSA_INS5_IJNSE_INSF_IjEEEESM_EEEEEPS7_SP_SP_NSC_11hip_rocprim7__merge17predicate_wrapperIjjNSC_7greaterIjEEEEEE10hipError_tPvRmT0_T1_T2_T3_T4_T5_mmT6_P12ihipStream_tbEUlT_E0_NS1_11comp_targetILNS1_3genE4ELNS1_11target_archE910ELNS1_3gpuE8ELNS1_3repE0EEENS1_30default_config_static_selectorELNS0_4arch9wavefront6targetE0EEEvS10_
	.p2align	8
	.type	_ZN7rocprim17ROCPRIM_400000_NS6detail17trampoline_kernelINS0_14default_configENS1_21merge_config_selectorINS0_5tupleIJjjEEENS0_10empty_typeEEEZNS1_10merge_implIS3_NS0_12zip_iteratorINS5_IJN6thrust23THRUST_200600_302600_NS6detail15normal_iteratorINSC_10device_ptrIKjEEEESI_EEEEESK_NSA_INS5_IJNSE_INSF_IjEEEESM_EEEEEPS7_SP_SP_NSC_11hip_rocprim7__merge17predicate_wrapperIjjNSC_7greaterIjEEEEEE10hipError_tPvRmT0_T1_T2_T3_T4_T5_mmT6_P12ihipStream_tbEUlT_E0_NS1_11comp_targetILNS1_3genE4ELNS1_11target_archE910ELNS1_3gpuE8ELNS1_3repE0EEENS1_30default_config_static_selectorELNS0_4arch9wavefront6targetE0EEEvS10_,@function
_ZN7rocprim17ROCPRIM_400000_NS6detail17trampoline_kernelINS0_14default_configENS1_21merge_config_selectorINS0_5tupleIJjjEEENS0_10empty_typeEEEZNS1_10merge_implIS3_NS0_12zip_iteratorINS5_IJN6thrust23THRUST_200600_302600_NS6detail15normal_iteratorINSC_10device_ptrIKjEEEESI_EEEEESK_NSA_INS5_IJNSE_INSF_IjEEEESM_EEEEEPS7_SP_SP_NSC_11hip_rocprim7__merge17predicate_wrapperIjjNSC_7greaterIjEEEEEE10hipError_tPvRmT0_T1_T2_T3_T4_T5_mmT6_P12ihipStream_tbEUlT_E0_NS1_11comp_targetILNS1_3genE4ELNS1_11target_archE910ELNS1_3gpuE8ELNS1_3repE0EEENS1_30default_config_static_selectorELNS0_4arch9wavefront6targetE0EEEvS10_: ; @_ZN7rocprim17ROCPRIM_400000_NS6detail17trampoline_kernelINS0_14default_configENS1_21merge_config_selectorINS0_5tupleIJjjEEENS0_10empty_typeEEEZNS1_10merge_implIS3_NS0_12zip_iteratorINS5_IJN6thrust23THRUST_200600_302600_NS6detail15normal_iteratorINSC_10device_ptrIKjEEEESI_EEEEESK_NSA_INS5_IJNSE_INSF_IjEEEESM_EEEEEPS7_SP_SP_NSC_11hip_rocprim7__merge17predicate_wrapperIjjNSC_7greaterIjEEEEEE10hipError_tPvRmT0_T1_T2_T3_T4_T5_mmT6_P12ihipStream_tbEUlT_E0_NS1_11comp_targetILNS1_3genE4ELNS1_11target_archE910ELNS1_3gpuE8ELNS1_3repE0EEENS1_30default_config_static_selectorELNS0_4arch9wavefront6targetE0EEEvS10_
; %bb.0:
	.section	.rodata,"a",@progbits
	.p2align	6, 0x0
	.amdhsa_kernel _ZN7rocprim17ROCPRIM_400000_NS6detail17trampoline_kernelINS0_14default_configENS1_21merge_config_selectorINS0_5tupleIJjjEEENS0_10empty_typeEEEZNS1_10merge_implIS3_NS0_12zip_iteratorINS5_IJN6thrust23THRUST_200600_302600_NS6detail15normal_iteratorINSC_10device_ptrIKjEEEESI_EEEEESK_NSA_INS5_IJNSE_INSF_IjEEEESM_EEEEEPS7_SP_SP_NSC_11hip_rocprim7__merge17predicate_wrapperIjjNSC_7greaterIjEEEEEE10hipError_tPvRmT0_T1_T2_T3_T4_T5_mmT6_P12ihipStream_tbEUlT_E0_NS1_11comp_targetILNS1_3genE4ELNS1_11target_archE910ELNS1_3gpuE8ELNS1_3repE0EEENS1_30default_config_static_selectorELNS0_4arch9wavefront6targetE0EEEvS10_
		.amdhsa_group_segment_fixed_size 0
		.amdhsa_private_segment_fixed_size 0
		.amdhsa_kernarg_size 112
		.amdhsa_user_sgpr_count 6
		.amdhsa_user_sgpr_private_segment_buffer 1
		.amdhsa_user_sgpr_dispatch_ptr 0
		.amdhsa_user_sgpr_queue_ptr 0
		.amdhsa_user_sgpr_kernarg_segment_ptr 1
		.amdhsa_user_sgpr_dispatch_id 0
		.amdhsa_user_sgpr_flat_scratch_init 0
		.amdhsa_user_sgpr_private_segment_size 0
		.amdhsa_wavefront_size32 1
		.amdhsa_uses_dynamic_stack 0
		.amdhsa_system_sgpr_private_segment_wavefront_offset 0
		.amdhsa_system_sgpr_workgroup_id_x 1
		.amdhsa_system_sgpr_workgroup_id_y 0
		.amdhsa_system_sgpr_workgroup_id_z 0
		.amdhsa_system_sgpr_workgroup_info 0
		.amdhsa_system_vgpr_workitem_id 0
		.amdhsa_next_free_vgpr 1
		.amdhsa_next_free_sgpr 1
		.amdhsa_reserve_vcc 0
		.amdhsa_reserve_flat_scratch 0
		.amdhsa_float_round_mode_32 0
		.amdhsa_float_round_mode_16_64 0
		.amdhsa_float_denorm_mode_32 3
		.amdhsa_float_denorm_mode_16_64 3
		.amdhsa_dx10_clamp 1
		.amdhsa_ieee_mode 1
		.amdhsa_fp16_overflow 0
		.amdhsa_workgroup_processor_mode 1
		.amdhsa_memory_ordered 1
		.amdhsa_forward_progress 1
		.amdhsa_shared_vgpr_count 0
		.amdhsa_exception_fp_ieee_invalid_op 0
		.amdhsa_exception_fp_denorm_src 0
		.amdhsa_exception_fp_ieee_div_zero 0
		.amdhsa_exception_fp_ieee_overflow 0
		.amdhsa_exception_fp_ieee_underflow 0
		.amdhsa_exception_fp_ieee_inexact 0
		.amdhsa_exception_int_div_zero 0
	.end_amdhsa_kernel
	.section	.text._ZN7rocprim17ROCPRIM_400000_NS6detail17trampoline_kernelINS0_14default_configENS1_21merge_config_selectorINS0_5tupleIJjjEEENS0_10empty_typeEEEZNS1_10merge_implIS3_NS0_12zip_iteratorINS5_IJN6thrust23THRUST_200600_302600_NS6detail15normal_iteratorINSC_10device_ptrIKjEEEESI_EEEEESK_NSA_INS5_IJNSE_INSF_IjEEEESM_EEEEEPS7_SP_SP_NSC_11hip_rocprim7__merge17predicate_wrapperIjjNSC_7greaterIjEEEEEE10hipError_tPvRmT0_T1_T2_T3_T4_T5_mmT6_P12ihipStream_tbEUlT_E0_NS1_11comp_targetILNS1_3genE4ELNS1_11target_archE910ELNS1_3gpuE8ELNS1_3repE0EEENS1_30default_config_static_selectorELNS0_4arch9wavefront6targetE0EEEvS10_,"axG",@progbits,_ZN7rocprim17ROCPRIM_400000_NS6detail17trampoline_kernelINS0_14default_configENS1_21merge_config_selectorINS0_5tupleIJjjEEENS0_10empty_typeEEEZNS1_10merge_implIS3_NS0_12zip_iteratorINS5_IJN6thrust23THRUST_200600_302600_NS6detail15normal_iteratorINSC_10device_ptrIKjEEEESI_EEEEESK_NSA_INS5_IJNSE_INSF_IjEEEESM_EEEEEPS7_SP_SP_NSC_11hip_rocprim7__merge17predicate_wrapperIjjNSC_7greaterIjEEEEEE10hipError_tPvRmT0_T1_T2_T3_T4_T5_mmT6_P12ihipStream_tbEUlT_E0_NS1_11comp_targetILNS1_3genE4ELNS1_11target_archE910ELNS1_3gpuE8ELNS1_3repE0EEENS1_30default_config_static_selectorELNS0_4arch9wavefront6targetE0EEEvS10_,comdat
.Lfunc_end382:
	.size	_ZN7rocprim17ROCPRIM_400000_NS6detail17trampoline_kernelINS0_14default_configENS1_21merge_config_selectorINS0_5tupleIJjjEEENS0_10empty_typeEEEZNS1_10merge_implIS3_NS0_12zip_iteratorINS5_IJN6thrust23THRUST_200600_302600_NS6detail15normal_iteratorINSC_10device_ptrIKjEEEESI_EEEEESK_NSA_INS5_IJNSE_INSF_IjEEEESM_EEEEEPS7_SP_SP_NSC_11hip_rocprim7__merge17predicate_wrapperIjjNSC_7greaterIjEEEEEE10hipError_tPvRmT0_T1_T2_T3_T4_T5_mmT6_P12ihipStream_tbEUlT_E0_NS1_11comp_targetILNS1_3genE4ELNS1_11target_archE910ELNS1_3gpuE8ELNS1_3repE0EEENS1_30default_config_static_selectorELNS0_4arch9wavefront6targetE0EEEvS10_, .Lfunc_end382-_ZN7rocprim17ROCPRIM_400000_NS6detail17trampoline_kernelINS0_14default_configENS1_21merge_config_selectorINS0_5tupleIJjjEEENS0_10empty_typeEEEZNS1_10merge_implIS3_NS0_12zip_iteratorINS5_IJN6thrust23THRUST_200600_302600_NS6detail15normal_iteratorINSC_10device_ptrIKjEEEESI_EEEEESK_NSA_INS5_IJNSE_INSF_IjEEEESM_EEEEEPS7_SP_SP_NSC_11hip_rocprim7__merge17predicate_wrapperIjjNSC_7greaterIjEEEEEE10hipError_tPvRmT0_T1_T2_T3_T4_T5_mmT6_P12ihipStream_tbEUlT_E0_NS1_11comp_targetILNS1_3genE4ELNS1_11target_archE910ELNS1_3gpuE8ELNS1_3repE0EEENS1_30default_config_static_selectorELNS0_4arch9wavefront6targetE0EEEvS10_
                                        ; -- End function
	.set _ZN7rocprim17ROCPRIM_400000_NS6detail17trampoline_kernelINS0_14default_configENS1_21merge_config_selectorINS0_5tupleIJjjEEENS0_10empty_typeEEEZNS1_10merge_implIS3_NS0_12zip_iteratorINS5_IJN6thrust23THRUST_200600_302600_NS6detail15normal_iteratorINSC_10device_ptrIKjEEEESI_EEEEESK_NSA_INS5_IJNSE_INSF_IjEEEESM_EEEEEPS7_SP_SP_NSC_11hip_rocprim7__merge17predicate_wrapperIjjNSC_7greaterIjEEEEEE10hipError_tPvRmT0_T1_T2_T3_T4_T5_mmT6_P12ihipStream_tbEUlT_E0_NS1_11comp_targetILNS1_3genE4ELNS1_11target_archE910ELNS1_3gpuE8ELNS1_3repE0EEENS1_30default_config_static_selectorELNS0_4arch9wavefront6targetE0EEEvS10_.num_vgpr, 0
	.set _ZN7rocprim17ROCPRIM_400000_NS6detail17trampoline_kernelINS0_14default_configENS1_21merge_config_selectorINS0_5tupleIJjjEEENS0_10empty_typeEEEZNS1_10merge_implIS3_NS0_12zip_iteratorINS5_IJN6thrust23THRUST_200600_302600_NS6detail15normal_iteratorINSC_10device_ptrIKjEEEESI_EEEEESK_NSA_INS5_IJNSE_INSF_IjEEEESM_EEEEEPS7_SP_SP_NSC_11hip_rocprim7__merge17predicate_wrapperIjjNSC_7greaterIjEEEEEE10hipError_tPvRmT0_T1_T2_T3_T4_T5_mmT6_P12ihipStream_tbEUlT_E0_NS1_11comp_targetILNS1_3genE4ELNS1_11target_archE910ELNS1_3gpuE8ELNS1_3repE0EEENS1_30default_config_static_selectorELNS0_4arch9wavefront6targetE0EEEvS10_.num_agpr, 0
	.set _ZN7rocprim17ROCPRIM_400000_NS6detail17trampoline_kernelINS0_14default_configENS1_21merge_config_selectorINS0_5tupleIJjjEEENS0_10empty_typeEEEZNS1_10merge_implIS3_NS0_12zip_iteratorINS5_IJN6thrust23THRUST_200600_302600_NS6detail15normal_iteratorINSC_10device_ptrIKjEEEESI_EEEEESK_NSA_INS5_IJNSE_INSF_IjEEEESM_EEEEEPS7_SP_SP_NSC_11hip_rocprim7__merge17predicate_wrapperIjjNSC_7greaterIjEEEEEE10hipError_tPvRmT0_T1_T2_T3_T4_T5_mmT6_P12ihipStream_tbEUlT_E0_NS1_11comp_targetILNS1_3genE4ELNS1_11target_archE910ELNS1_3gpuE8ELNS1_3repE0EEENS1_30default_config_static_selectorELNS0_4arch9wavefront6targetE0EEEvS10_.numbered_sgpr, 0
	.set _ZN7rocprim17ROCPRIM_400000_NS6detail17trampoline_kernelINS0_14default_configENS1_21merge_config_selectorINS0_5tupleIJjjEEENS0_10empty_typeEEEZNS1_10merge_implIS3_NS0_12zip_iteratorINS5_IJN6thrust23THRUST_200600_302600_NS6detail15normal_iteratorINSC_10device_ptrIKjEEEESI_EEEEESK_NSA_INS5_IJNSE_INSF_IjEEEESM_EEEEEPS7_SP_SP_NSC_11hip_rocprim7__merge17predicate_wrapperIjjNSC_7greaterIjEEEEEE10hipError_tPvRmT0_T1_T2_T3_T4_T5_mmT6_P12ihipStream_tbEUlT_E0_NS1_11comp_targetILNS1_3genE4ELNS1_11target_archE910ELNS1_3gpuE8ELNS1_3repE0EEENS1_30default_config_static_selectorELNS0_4arch9wavefront6targetE0EEEvS10_.num_named_barrier, 0
	.set _ZN7rocprim17ROCPRIM_400000_NS6detail17trampoline_kernelINS0_14default_configENS1_21merge_config_selectorINS0_5tupleIJjjEEENS0_10empty_typeEEEZNS1_10merge_implIS3_NS0_12zip_iteratorINS5_IJN6thrust23THRUST_200600_302600_NS6detail15normal_iteratorINSC_10device_ptrIKjEEEESI_EEEEESK_NSA_INS5_IJNSE_INSF_IjEEEESM_EEEEEPS7_SP_SP_NSC_11hip_rocprim7__merge17predicate_wrapperIjjNSC_7greaterIjEEEEEE10hipError_tPvRmT0_T1_T2_T3_T4_T5_mmT6_P12ihipStream_tbEUlT_E0_NS1_11comp_targetILNS1_3genE4ELNS1_11target_archE910ELNS1_3gpuE8ELNS1_3repE0EEENS1_30default_config_static_selectorELNS0_4arch9wavefront6targetE0EEEvS10_.private_seg_size, 0
	.set _ZN7rocprim17ROCPRIM_400000_NS6detail17trampoline_kernelINS0_14default_configENS1_21merge_config_selectorINS0_5tupleIJjjEEENS0_10empty_typeEEEZNS1_10merge_implIS3_NS0_12zip_iteratorINS5_IJN6thrust23THRUST_200600_302600_NS6detail15normal_iteratorINSC_10device_ptrIKjEEEESI_EEEEESK_NSA_INS5_IJNSE_INSF_IjEEEESM_EEEEEPS7_SP_SP_NSC_11hip_rocprim7__merge17predicate_wrapperIjjNSC_7greaterIjEEEEEE10hipError_tPvRmT0_T1_T2_T3_T4_T5_mmT6_P12ihipStream_tbEUlT_E0_NS1_11comp_targetILNS1_3genE4ELNS1_11target_archE910ELNS1_3gpuE8ELNS1_3repE0EEENS1_30default_config_static_selectorELNS0_4arch9wavefront6targetE0EEEvS10_.uses_vcc, 0
	.set _ZN7rocprim17ROCPRIM_400000_NS6detail17trampoline_kernelINS0_14default_configENS1_21merge_config_selectorINS0_5tupleIJjjEEENS0_10empty_typeEEEZNS1_10merge_implIS3_NS0_12zip_iteratorINS5_IJN6thrust23THRUST_200600_302600_NS6detail15normal_iteratorINSC_10device_ptrIKjEEEESI_EEEEESK_NSA_INS5_IJNSE_INSF_IjEEEESM_EEEEEPS7_SP_SP_NSC_11hip_rocprim7__merge17predicate_wrapperIjjNSC_7greaterIjEEEEEE10hipError_tPvRmT0_T1_T2_T3_T4_T5_mmT6_P12ihipStream_tbEUlT_E0_NS1_11comp_targetILNS1_3genE4ELNS1_11target_archE910ELNS1_3gpuE8ELNS1_3repE0EEENS1_30default_config_static_selectorELNS0_4arch9wavefront6targetE0EEEvS10_.uses_flat_scratch, 0
	.set _ZN7rocprim17ROCPRIM_400000_NS6detail17trampoline_kernelINS0_14default_configENS1_21merge_config_selectorINS0_5tupleIJjjEEENS0_10empty_typeEEEZNS1_10merge_implIS3_NS0_12zip_iteratorINS5_IJN6thrust23THRUST_200600_302600_NS6detail15normal_iteratorINSC_10device_ptrIKjEEEESI_EEEEESK_NSA_INS5_IJNSE_INSF_IjEEEESM_EEEEEPS7_SP_SP_NSC_11hip_rocprim7__merge17predicate_wrapperIjjNSC_7greaterIjEEEEEE10hipError_tPvRmT0_T1_T2_T3_T4_T5_mmT6_P12ihipStream_tbEUlT_E0_NS1_11comp_targetILNS1_3genE4ELNS1_11target_archE910ELNS1_3gpuE8ELNS1_3repE0EEENS1_30default_config_static_selectorELNS0_4arch9wavefront6targetE0EEEvS10_.has_dyn_sized_stack, 0
	.set _ZN7rocprim17ROCPRIM_400000_NS6detail17trampoline_kernelINS0_14default_configENS1_21merge_config_selectorINS0_5tupleIJjjEEENS0_10empty_typeEEEZNS1_10merge_implIS3_NS0_12zip_iteratorINS5_IJN6thrust23THRUST_200600_302600_NS6detail15normal_iteratorINSC_10device_ptrIKjEEEESI_EEEEESK_NSA_INS5_IJNSE_INSF_IjEEEESM_EEEEEPS7_SP_SP_NSC_11hip_rocprim7__merge17predicate_wrapperIjjNSC_7greaterIjEEEEEE10hipError_tPvRmT0_T1_T2_T3_T4_T5_mmT6_P12ihipStream_tbEUlT_E0_NS1_11comp_targetILNS1_3genE4ELNS1_11target_archE910ELNS1_3gpuE8ELNS1_3repE0EEENS1_30default_config_static_selectorELNS0_4arch9wavefront6targetE0EEEvS10_.has_recursion, 0
	.set _ZN7rocprim17ROCPRIM_400000_NS6detail17trampoline_kernelINS0_14default_configENS1_21merge_config_selectorINS0_5tupleIJjjEEENS0_10empty_typeEEEZNS1_10merge_implIS3_NS0_12zip_iteratorINS5_IJN6thrust23THRUST_200600_302600_NS6detail15normal_iteratorINSC_10device_ptrIKjEEEESI_EEEEESK_NSA_INS5_IJNSE_INSF_IjEEEESM_EEEEEPS7_SP_SP_NSC_11hip_rocprim7__merge17predicate_wrapperIjjNSC_7greaterIjEEEEEE10hipError_tPvRmT0_T1_T2_T3_T4_T5_mmT6_P12ihipStream_tbEUlT_E0_NS1_11comp_targetILNS1_3genE4ELNS1_11target_archE910ELNS1_3gpuE8ELNS1_3repE0EEENS1_30default_config_static_selectorELNS0_4arch9wavefront6targetE0EEEvS10_.has_indirect_call, 0
	.section	.AMDGPU.csdata,"",@progbits
; Kernel info:
; codeLenInByte = 0
; TotalNumSgprs: 0
; NumVgprs: 0
; ScratchSize: 0
; MemoryBound: 0
; FloatMode: 240
; IeeeMode: 1
; LDSByteSize: 0 bytes/workgroup (compile time only)
; SGPRBlocks: 0
; VGPRBlocks: 0
; NumSGPRsForWavesPerEU: 1
; NumVGPRsForWavesPerEU: 1
; Occupancy: 16
; WaveLimiterHint : 0
; COMPUTE_PGM_RSRC2:SCRATCH_EN: 0
; COMPUTE_PGM_RSRC2:USER_SGPR: 6
; COMPUTE_PGM_RSRC2:TRAP_HANDLER: 0
; COMPUTE_PGM_RSRC2:TGID_X_EN: 1
; COMPUTE_PGM_RSRC2:TGID_Y_EN: 0
; COMPUTE_PGM_RSRC2:TGID_Z_EN: 0
; COMPUTE_PGM_RSRC2:TIDIG_COMP_CNT: 0
	.section	.text._ZN7rocprim17ROCPRIM_400000_NS6detail17trampoline_kernelINS0_14default_configENS1_21merge_config_selectorINS0_5tupleIJjjEEENS0_10empty_typeEEEZNS1_10merge_implIS3_NS0_12zip_iteratorINS5_IJN6thrust23THRUST_200600_302600_NS6detail15normal_iteratorINSC_10device_ptrIKjEEEESI_EEEEESK_NSA_INS5_IJNSE_INSF_IjEEEESM_EEEEEPS7_SP_SP_NSC_11hip_rocprim7__merge17predicate_wrapperIjjNSC_7greaterIjEEEEEE10hipError_tPvRmT0_T1_T2_T3_T4_T5_mmT6_P12ihipStream_tbEUlT_E0_NS1_11comp_targetILNS1_3genE3ELNS1_11target_archE908ELNS1_3gpuE7ELNS1_3repE0EEENS1_30default_config_static_selectorELNS0_4arch9wavefront6targetE0EEEvS10_,"axG",@progbits,_ZN7rocprim17ROCPRIM_400000_NS6detail17trampoline_kernelINS0_14default_configENS1_21merge_config_selectorINS0_5tupleIJjjEEENS0_10empty_typeEEEZNS1_10merge_implIS3_NS0_12zip_iteratorINS5_IJN6thrust23THRUST_200600_302600_NS6detail15normal_iteratorINSC_10device_ptrIKjEEEESI_EEEEESK_NSA_INS5_IJNSE_INSF_IjEEEESM_EEEEEPS7_SP_SP_NSC_11hip_rocprim7__merge17predicate_wrapperIjjNSC_7greaterIjEEEEEE10hipError_tPvRmT0_T1_T2_T3_T4_T5_mmT6_P12ihipStream_tbEUlT_E0_NS1_11comp_targetILNS1_3genE3ELNS1_11target_archE908ELNS1_3gpuE7ELNS1_3repE0EEENS1_30default_config_static_selectorELNS0_4arch9wavefront6targetE0EEEvS10_,comdat
	.protected	_ZN7rocprim17ROCPRIM_400000_NS6detail17trampoline_kernelINS0_14default_configENS1_21merge_config_selectorINS0_5tupleIJjjEEENS0_10empty_typeEEEZNS1_10merge_implIS3_NS0_12zip_iteratorINS5_IJN6thrust23THRUST_200600_302600_NS6detail15normal_iteratorINSC_10device_ptrIKjEEEESI_EEEEESK_NSA_INS5_IJNSE_INSF_IjEEEESM_EEEEEPS7_SP_SP_NSC_11hip_rocprim7__merge17predicate_wrapperIjjNSC_7greaterIjEEEEEE10hipError_tPvRmT0_T1_T2_T3_T4_T5_mmT6_P12ihipStream_tbEUlT_E0_NS1_11comp_targetILNS1_3genE3ELNS1_11target_archE908ELNS1_3gpuE7ELNS1_3repE0EEENS1_30default_config_static_selectorELNS0_4arch9wavefront6targetE0EEEvS10_ ; -- Begin function _ZN7rocprim17ROCPRIM_400000_NS6detail17trampoline_kernelINS0_14default_configENS1_21merge_config_selectorINS0_5tupleIJjjEEENS0_10empty_typeEEEZNS1_10merge_implIS3_NS0_12zip_iteratorINS5_IJN6thrust23THRUST_200600_302600_NS6detail15normal_iteratorINSC_10device_ptrIKjEEEESI_EEEEESK_NSA_INS5_IJNSE_INSF_IjEEEESM_EEEEEPS7_SP_SP_NSC_11hip_rocprim7__merge17predicate_wrapperIjjNSC_7greaterIjEEEEEE10hipError_tPvRmT0_T1_T2_T3_T4_T5_mmT6_P12ihipStream_tbEUlT_E0_NS1_11comp_targetILNS1_3genE3ELNS1_11target_archE908ELNS1_3gpuE7ELNS1_3repE0EEENS1_30default_config_static_selectorELNS0_4arch9wavefront6targetE0EEEvS10_
	.globl	_ZN7rocprim17ROCPRIM_400000_NS6detail17trampoline_kernelINS0_14default_configENS1_21merge_config_selectorINS0_5tupleIJjjEEENS0_10empty_typeEEEZNS1_10merge_implIS3_NS0_12zip_iteratorINS5_IJN6thrust23THRUST_200600_302600_NS6detail15normal_iteratorINSC_10device_ptrIKjEEEESI_EEEEESK_NSA_INS5_IJNSE_INSF_IjEEEESM_EEEEEPS7_SP_SP_NSC_11hip_rocprim7__merge17predicate_wrapperIjjNSC_7greaterIjEEEEEE10hipError_tPvRmT0_T1_T2_T3_T4_T5_mmT6_P12ihipStream_tbEUlT_E0_NS1_11comp_targetILNS1_3genE3ELNS1_11target_archE908ELNS1_3gpuE7ELNS1_3repE0EEENS1_30default_config_static_selectorELNS0_4arch9wavefront6targetE0EEEvS10_
	.p2align	8
	.type	_ZN7rocprim17ROCPRIM_400000_NS6detail17trampoline_kernelINS0_14default_configENS1_21merge_config_selectorINS0_5tupleIJjjEEENS0_10empty_typeEEEZNS1_10merge_implIS3_NS0_12zip_iteratorINS5_IJN6thrust23THRUST_200600_302600_NS6detail15normal_iteratorINSC_10device_ptrIKjEEEESI_EEEEESK_NSA_INS5_IJNSE_INSF_IjEEEESM_EEEEEPS7_SP_SP_NSC_11hip_rocprim7__merge17predicate_wrapperIjjNSC_7greaterIjEEEEEE10hipError_tPvRmT0_T1_T2_T3_T4_T5_mmT6_P12ihipStream_tbEUlT_E0_NS1_11comp_targetILNS1_3genE3ELNS1_11target_archE908ELNS1_3gpuE7ELNS1_3repE0EEENS1_30default_config_static_selectorELNS0_4arch9wavefront6targetE0EEEvS10_,@function
_ZN7rocprim17ROCPRIM_400000_NS6detail17trampoline_kernelINS0_14default_configENS1_21merge_config_selectorINS0_5tupleIJjjEEENS0_10empty_typeEEEZNS1_10merge_implIS3_NS0_12zip_iteratorINS5_IJN6thrust23THRUST_200600_302600_NS6detail15normal_iteratorINSC_10device_ptrIKjEEEESI_EEEEESK_NSA_INS5_IJNSE_INSF_IjEEEESM_EEEEEPS7_SP_SP_NSC_11hip_rocprim7__merge17predicate_wrapperIjjNSC_7greaterIjEEEEEE10hipError_tPvRmT0_T1_T2_T3_T4_T5_mmT6_P12ihipStream_tbEUlT_E0_NS1_11comp_targetILNS1_3genE3ELNS1_11target_archE908ELNS1_3gpuE7ELNS1_3repE0EEENS1_30default_config_static_selectorELNS0_4arch9wavefront6targetE0EEEvS10_: ; @_ZN7rocprim17ROCPRIM_400000_NS6detail17trampoline_kernelINS0_14default_configENS1_21merge_config_selectorINS0_5tupleIJjjEEENS0_10empty_typeEEEZNS1_10merge_implIS3_NS0_12zip_iteratorINS5_IJN6thrust23THRUST_200600_302600_NS6detail15normal_iteratorINSC_10device_ptrIKjEEEESI_EEEEESK_NSA_INS5_IJNSE_INSF_IjEEEESM_EEEEEPS7_SP_SP_NSC_11hip_rocprim7__merge17predicate_wrapperIjjNSC_7greaterIjEEEEEE10hipError_tPvRmT0_T1_T2_T3_T4_T5_mmT6_P12ihipStream_tbEUlT_E0_NS1_11comp_targetILNS1_3genE3ELNS1_11target_archE908ELNS1_3gpuE7ELNS1_3repE0EEENS1_30default_config_static_selectorELNS0_4arch9wavefront6targetE0EEEvS10_
; %bb.0:
	.section	.rodata,"a",@progbits
	.p2align	6, 0x0
	.amdhsa_kernel _ZN7rocprim17ROCPRIM_400000_NS6detail17trampoline_kernelINS0_14default_configENS1_21merge_config_selectorINS0_5tupleIJjjEEENS0_10empty_typeEEEZNS1_10merge_implIS3_NS0_12zip_iteratorINS5_IJN6thrust23THRUST_200600_302600_NS6detail15normal_iteratorINSC_10device_ptrIKjEEEESI_EEEEESK_NSA_INS5_IJNSE_INSF_IjEEEESM_EEEEEPS7_SP_SP_NSC_11hip_rocprim7__merge17predicate_wrapperIjjNSC_7greaterIjEEEEEE10hipError_tPvRmT0_T1_T2_T3_T4_T5_mmT6_P12ihipStream_tbEUlT_E0_NS1_11comp_targetILNS1_3genE3ELNS1_11target_archE908ELNS1_3gpuE7ELNS1_3repE0EEENS1_30default_config_static_selectorELNS0_4arch9wavefront6targetE0EEEvS10_
		.amdhsa_group_segment_fixed_size 0
		.amdhsa_private_segment_fixed_size 0
		.amdhsa_kernarg_size 112
		.amdhsa_user_sgpr_count 6
		.amdhsa_user_sgpr_private_segment_buffer 1
		.amdhsa_user_sgpr_dispatch_ptr 0
		.amdhsa_user_sgpr_queue_ptr 0
		.amdhsa_user_sgpr_kernarg_segment_ptr 1
		.amdhsa_user_sgpr_dispatch_id 0
		.amdhsa_user_sgpr_flat_scratch_init 0
		.amdhsa_user_sgpr_private_segment_size 0
		.amdhsa_wavefront_size32 1
		.amdhsa_uses_dynamic_stack 0
		.amdhsa_system_sgpr_private_segment_wavefront_offset 0
		.amdhsa_system_sgpr_workgroup_id_x 1
		.amdhsa_system_sgpr_workgroup_id_y 0
		.amdhsa_system_sgpr_workgroup_id_z 0
		.amdhsa_system_sgpr_workgroup_info 0
		.amdhsa_system_vgpr_workitem_id 0
		.amdhsa_next_free_vgpr 1
		.amdhsa_next_free_sgpr 1
		.amdhsa_reserve_vcc 0
		.amdhsa_reserve_flat_scratch 0
		.amdhsa_float_round_mode_32 0
		.amdhsa_float_round_mode_16_64 0
		.amdhsa_float_denorm_mode_32 3
		.amdhsa_float_denorm_mode_16_64 3
		.amdhsa_dx10_clamp 1
		.amdhsa_ieee_mode 1
		.amdhsa_fp16_overflow 0
		.amdhsa_workgroup_processor_mode 1
		.amdhsa_memory_ordered 1
		.amdhsa_forward_progress 1
		.amdhsa_shared_vgpr_count 0
		.amdhsa_exception_fp_ieee_invalid_op 0
		.amdhsa_exception_fp_denorm_src 0
		.amdhsa_exception_fp_ieee_div_zero 0
		.amdhsa_exception_fp_ieee_overflow 0
		.amdhsa_exception_fp_ieee_underflow 0
		.amdhsa_exception_fp_ieee_inexact 0
		.amdhsa_exception_int_div_zero 0
	.end_amdhsa_kernel
	.section	.text._ZN7rocprim17ROCPRIM_400000_NS6detail17trampoline_kernelINS0_14default_configENS1_21merge_config_selectorINS0_5tupleIJjjEEENS0_10empty_typeEEEZNS1_10merge_implIS3_NS0_12zip_iteratorINS5_IJN6thrust23THRUST_200600_302600_NS6detail15normal_iteratorINSC_10device_ptrIKjEEEESI_EEEEESK_NSA_INS5_IJNSE_INSF_IjEEEESM_EEEEEPS7_SP_SP_NSC_11hip_rocprim7__merge17predicate_wrapperIjjNSC_7greaterIjEEEEEE10hipError_tPvRmT0_T1_T2_T3_T4_T5_mmT6_P12ihipStream_tbEUlT_E0_NS1_11comp_targetILNS1_3genE3ELNS1_11target_archE908ELNS1_3gpuE7ELNS1_3repE0EEENS1_30default_config_static_selectorELNS0_4arch9wavefront6targetE0EEEvS10_,"axG",@progbits,_ZN7rocprim17ROCPRIM_400000_NS6detail17trampoline_kernelINS0_14default_configENS1_21merge_config_selectorINS0_5tupleIJjjEEENS0_10empty_typeEEEZNS1_10merge_implIS3_NS0_12zip_iteratorINS5_IJN6thrust23THRUST_200600_302600_NS6detail15normal_iteratorINSC_10device_ptrIKjEEEESI_EEEEESK_NSA_INS5_IJNSE_INSF_IjEEEESM_EEEEEPS7_SP_SP_NSC_11hip_rocprim7__merge17predicate_wrapperIjjNSC_7greaterIjEEEEEE10hipError_tPvRmT0_T1_T2_T3_T4_T5_mmT6_P12ihipStream_tbEUlT_E0_NS1_11comp_targetILNS1_3genE3ELNS1_11target_archE908ELNS1_3gpuE7ELNS1_3repE0EEENS1_30default_config_static_selectorELNS0_4arch9wavefront6targetE0EEEvS10_,comdat
.Lfunc_end383:
	.size	_ZN7rocprim17ROCPRIM_400000_NS6detail17trampoline_kernelINS0_14default_configENS1_21merge_config_selectorINS0_5tupleIJjjEEENS0_10empty_typeEEEZNS1_10merge_implIS3_NS0_12zip_iteratorINS5_IJN6thrust23THRUST_200600_302600_NS6detail15normal_iteratorINSC_10device_ptrIKjEEEESI_EEEEESK_NSA_INS5_IJNSE_INSF_IjEEEESM_EEEEEPS7_SP_SP_NSC_11hip_rocprim7__merge17predicate_wrapperIjjNSC_7greaterIjEEEEEE10hipError_tPvRmT0_T1_T2_T3_T4_T5_mmT6_P12ihipStream_tbEUlT_E0_NS1_11comp_targetILNS1_3genE3ELNS1_11target_archE908ELNS1_3gpuE7ELNS1_3repE0EEENS1_30default_config_static_selectorELNS0_4arch9wavefront6targetE0EEEvS10_, .Lfunc_end383-_ZN7rocprim17ROCPRIM_400000_NS6detail17trampoline_kernelINS0_14default_configENS1_21merge_config_selectorINS0_5tupleIJjjEEENS0_10empty_typeEEEZNS1_10merge_implIS3_NS0_12zip_iteratorINS5_IJN6thrust23THRUST_200600_302600_NS6detail15normal_iteratorINSC_10device_ptrIKjEEEESI_EEEEESK_NSA_INS5_IJNSE_INSF_IjEEEESM_EEEEEPS7_SP_SP_NSC_11hip_rocprim7__merge17predicate_wrapperIjjNSC_7greaterIjEEEEEE10hipError_tPvRmT0_T1_T2_T3_T4_T5_mmT6_P12ihipStream_tbEUlT_E0_NS1_11comp_targetILNS1_3genE3ELNS1_11target_archE908ELNS1_3gpuE7ELNS1_3repE0EEENS1_30default_config_static_selectorELNS0_4arch9wavefront6targetE0EEEvS10_
                                        ; -- End function
	.set _ZN7rocprim17ROCPRIM_400000_NS6detail17trampoline_kernelINS0_14default_configENS1_21merge_config_selectorINS0_5tupleIJjjEEENS0_10empty_typeEEEZNS1_10merge_implIS3_NS0_12zip_iteratorINS5_IJN6thrust23THRUST_200600_302600_NS6detail15normal_iteratorINSC_10device_ptrIKjEEEESI_EEEEESK_NSA_INS5_IJNSE_INSF_IjEEEESM_EEEEEPS7_SP_SP_NSC_11hip_rocprim7__merge17predicate_wrapperIjjNSC_7greaterIjEEEEEE10hipError_tPvRmT0_T1_T2_T3_T4_T5_mmT6_P12ihipStream_tbEUlT_E0_NS1_11comp_targetILNS1_3genE3ELNS1_11target_archE908ELNS1_3gpuE7ELNS1_3repE0EEENS1_30default_config_static_selectorELNS0_4arch9wavefront6targetE0EEEvS10_.num_vgpr, 0
	.set _ZN7rocprim17ROCPRIM_400000_NS6detail17trampoline_kernelINS0_14default_configENS1_21merge_config_selectorINS0_5tupleIJjjEEENS0_10empty_typeEEEZNS1_10merge_implIS3_NS0_12zip_iteratorINS5_IJN6thrust23THRUST_200600_302600_NS6detail15normal_iteratorINSC_10device_ptrIKjEEEESI_EEEEESK_NSA_INS5_IJNSE_INSF_IjEEEESM_EEEEEPS7_SP_SP_NSC_11hip_rocprim7__merge17predicate_wrapperIjjNSC_7greaterIjEEEEEE10hipError_tPvRmT0_T1_T2_T3_T4_T5_mmT6_P12ihipStream_tbEUlT_E0_NS1_11comp_targetILNS1_3genE3ELNS1_11target_archE908ELNS1_3gpuE7ELNS1_3repE0EEENS1_30default_config_static_selectorELNS0_4arch9wavefront6targetE0EEEvS10_.num_agpr, 0
	.set _ZN7rocprim17ROCPRIM_400000_NS6detail17trampoline_kernelINS0_14default_configENS1_21merge_config_selectorINS0_5tupleIJjjEEENS0_10empty_typeEEEZNS1_10merge_implIS3_NS0_12zip_iteratorINS5_IJN6thrust23THRUST_200600_302600_NS6detail15normal_iteratorINSC_10device_ptrIKjEEEESI_EEEEESK_NSA_INS5_IJNSE_INSF_IjEEEESM_EEEEEPS7_SP_SP_NSC_11hip_rocprim7__merge17predicate_wrapperIjjNSC_7greaterIjEEEEEE10hipError_tPvRmT0_T1_T2_T3_T4_T5_mmT6_P12ihipStream_tbEUlT_E0_NS1_11comp_targetILNS1_3genE3ELNS1_11target_archE908ELNS1_3gpuE7ELNS1_3repE0EEENS1_30default_config_static_selectorELNS0_4arch9wavefront6targetE0EEEvS10_.numbered_sgpr, 0
	.set _ZN7rocprim17ROCPRIM_400000_NS6detail17trampoline_kernelINS0_14default_configENS1_21merge_config_selectorINS0_5tupleIJjjEEENS0_10empty_typeEEEZNS1_10merge_implIS3_NS0_12zip_iteratorINS5_IJN6thrust23THRUST_200600_302600_NS6detail15normal_iteratorINSC_10device_ptrIKjEEEESI_EEEEESK_NSA_INS5_IJNSE_INSF_IjEEEESM_EEEEEPS7_SP_SP_NSC_11hip_rocprim7__merge17predicate_wrapperIjjNSC_7greaterIjEEEEEE10hipError_tPvRmT0_T1_T2_T3_T4_T5_mmT6_P12ihipStream_tbEUlT_E0_NS1_11comp_targetILNS1_3genE3ELNS1_11target_archE908ELNS1_3gpuE7ELNS1_3repE0EEENS1_30default_config_static_selectorELNS0_4arch9wavefront6targetE0EEEvS10_.num_named_barrier, 0
	.set _ZN7rocprim17ROCPRIM_400000_NS6detail17trampoline_kernelINS0_14default_configENS1_21merge_config_selectorINS0_5tupleIJjjEEENS0_10empty_typeEEEZNS1_10merge_implIS3_NS0_12zip_iteratorINS5_IJN6thrust23THRUST_200600_302600_NS6detail15normal_iteratorINSC_10device_ptrIKjEEEESI_EEEEESK_NSA_INS5_IJNSE_INSF_IjEEEESM_EEEEEPS7_SP_SP_NSC_11hip_rocprim7__merge17predicate_wrapperIjjNSC_7greaterIjEEEEEE10hipError_tPvRmT0_T1_T2_T3_T4_T5_mmT6_P12ihipStream_tbEUlT_E0_NS1_11comp_targetILNS1_3genE3ELNS1_11target_archE908ELNS1_3gpuE7ELNS1_3repE0EEENS1_30default_config_static_selectorELNS0_4arch9wavefront6targetE0EEEvS10_.private_seg_size, 0
	.set _ZN7rocprim17ROCPRIM_400000_NS6detail17trampoline_kernelINS0_14default_configENS1_21merge_config_selectorINS0_5tupleIJjjEEENS0_10empty_typeEEEZNS1_10merge_implIS3_NS0_12zip_iteratorINS5_IJN6thrust23THRUST_200600_302600_NS6detail15normal_iteratorINSC_10device_ptrIKjEEEESI_EEEEESK_NSA_INS5_IJNSE_INSF_IjEEEESM_EEEEEPS7_SP_SP_NSC_11hip_rocprim7__merge17predicate_wrapperIjjNSC_7greaterIjEEEEEE10hipError_tPvRmT0_T1_T2_T3_T4_T5_mmT6_P12ihipStream_tbEUlT_E0_NS1_11comp_targetILNS1_3genE3ELNS1_11target_archE908ELNS1_3gpuE7ELNS1_3repE0EEENS1_30default_config_static_selectorELNS0_4arch9wavefront6targetE0EEEvS10_.uses_vcc, 0
	.set _ZN7rocprim17ROCPRIM_400000_NS6detail17trampoline_kernelINS0_14default_configENS1_21merge_config_selectorINS0_5tupleIJjjEEENS0_10empty_typeEEEZNS1_10merge_implIS3_NS0_12zip_iteratorINS5_IJN6thrust23THRUST_200600_302600_NS6detail15normal_iteratorINSC_10device_ptrIKjEEEESI_EEEEESK_NSA_INS5_IJNSE_INSF_IjEEEESM_EEEEEPS7_SP_SP_NSC_11hip_rocprim7__merge17predicate_wrapperIjjNSC_7greaterIjEEEEEE10hipError_tPvRmT0_T1_T2_T3_T4_T5_mmT6_P12ihipStream_tbEUlT_E0_NS1_11comp_targetILNS1_3genE3ELNS1_11target_archE908ELNS1_3gpuE7ELNS1_3repE0EEENS1_30default_config_static_selectorELNS0_4arch9wavefront6targetE0EEEvS10_.uses_flat_scratch, 0
	.set _ZN7rocprim17ROCPRIM_400000_NS6detail17trampoline_kernelINS0_14default_configENS1_21merge_config_selectorINS0_5tupleIJjjEEENS0_10empty_typeEEEZNS1_10merge_implIS3_NS0_12zip_iteratorINS5_IJN6thrust23THRUST_200600_302600_NS6detail15normal_iteratorINSC_10device_ptrIKjEEEESI_EEEEESK_NSA_INS5_IJNSE_INSF_IjEEEESM_EEEEEPS7_SP_SP_NSC_11hip_rocprim7__merge17predicate_wrapperIjjNSC_7greaterIjEEEEEE10hipError_tPvRmT0_T1_T2_T3_T4_T5_mmT6_P12ihipStream_tbEUlT_E0_NS1_11comp_targetILNS1_3genE3ELNS1_11target_archE908ELNS1_3gpuE7ELNS1_3repE0EEENS1_30default_config_static_selectorELNS0_4arch9wavefront6targetE0EEEvS10_.has_dyn_sized_stack, 0
	.set _ZN7rocprim17ROCPRIM_400000_NS6detail17trampoline_kernelINS0_14default_configENS1_21merge_config_selectorINS0_5tupleIJjjEEENS0_10empty_typeEEEZNS1_10merge_implIS3_NS0_12zip_iteratorINS5_IJN6thrust23THRUST_200600_302600_NS6detail15normal_iteratorINSC_10device_ptrIKjEEEESI_EEEEESK_NSA_INS5_IJNSE_INSF_IjEEEESM_EEEEEPS7_SP_SP_NSC_11hip_rocprim7__merge17predicate_wrapperIjjNSC_7greaterIjEEEEEE10hipError_tPvRmT0_T1_T2_T3_T4_T5_mmT6_P12ihipStream_tbEUlT_E0_NS1_11comp_targetILNS1_3genE3ELNS1_11target_archE908ELNS1_3gpuE7ELNS1_3repE0EEENS1_30default_config_static_selectorELNS0_4arch9wavefront6targetE0EEEvS10_.has_recursion, 0
	.set _ZN7rocprim17ROCPRIM_400000_NS6detail17trampoline_kernelINS0_14default_configENS1_21merge_config_selectorINS0_5tupleIJjjEEENS0_10empty_typeEEEZNS1_10merge_implIS3_NS0_12zip_iteratorINS5_IJN6thrust23THRUST_200600_302600_NS6detail15normal_iteratorINSC_10device_ptrIKjEEEESI_EEEEESK_NSA_INS5_IJNSE_INSF_IjEEEESM_EEEEEPS7_SP_SP_NSC_11hip_rocprim7__merge17predicate_wrapperIjjNSC_7greaterIjEEEEEE10hipError_tPvRmT0_T1_T2_T3_T4_T5_mmT6_P12ihipStream_tbEUlT_E0_NS1_11comp_targetILNS1_3genE3ELNS1_11target_archE908ELNS1_3gpuE7ELNS1_3repE0EEENS1_30default_config_static_selectorELNS0_4arch9wavefront6targetE0EEEvS10_.has_indirect_call, 0
	.section	.AMDGPU.csdata,"",@progbits
; Kernel info:
; codeLenInByte = 0
; TotalNumSgprs: 0
; NumVgprs: 0
; ScratchSize: 0
; MemoryBound: 0
; FloatMode: 240
; IeeeMode: 1
; LDSByteSize: 0 bytes/workgroup (compile time only)
; SGPRBlocks: 0
; VGPRBlocks: 0
; NumSGPRsForWavesPerEU: 1
; NumVGPRsForWavesPerEU: 1
; Occupancy: 16
; WaveLimiterHint : 0
; COMPUTE_PGM_RSRC2:SCRATCH_EN: 0
; COMPUTE_PGM_RSRC2:USER_SGPR: 6
; COMPUTE_PGM_RSRC2:TRAP_HANDLER: 0
; COMPUTE_PGM_RSRC2:TGID_X_EN: 1
; COMPUTE_PGM_RSRC2:TGID_Y_EN: 0
; COMPUTE_PGM_RSRC2:TGID_Z_EN: 0
; COMPUTE_PGM_RSRC2:TIDIG_COMP_CNT: 0
	.section	.text._ZN7rocprim17ROCPRIM_400000_NS6detail17trampoline_kernelINS0_14default_configENS1_21merge_config_selectorINS0_5tupleIJjjEEENS0_10empty_typeEEEZNS1_10merge_implIS3_NS0_12zip_iteratorINS5_IJN6thrust23THRUST_200600_302600_NS6detail15normal_iteratorINSC_10device_ptrIKjEEEESI_EEEEESK_NSA_INS5_IJNSE_INSF_IjEEEESM_EEEEEPS7_SP_SP_NSC_11hip_rocprim7__merge17predicate_wrapperIjjNSC_7greaterIjEEEEEE10hipError_tPvRmT0_T1_T2_T3_T4_T5_mmT6_P12ihipStream_tbEUlT_E0_NS1_11comp_targetILNS1_3genE2ELNS1_11target_archE906ELNS1_3gpuE6ELNS1_3repE0EEENS1_30default_config_static_selectorELNS0_4arch9wavefront6targetE0EEEvS10_,"axG",@progbits,_ZN7rocprim17ROCPRIM_400000_NS6detail17trampoline_kernelINS0_14default_configENS1_21merge_config_selectorINS0_5tupleIJjjEEENS0_10empty_typeEEEZNS1_10merge_implIS3_NS0_12zip_iteratorINS5_IJN6thrust23THRUST_200600_302600_NS6detail15normal_iteratorINSC_10device_ptrIKjEEEESI_EEEEESK_NSA_INS5_IJNSE_INSF_IjEEEESM_EEEEEPS7_SP_SP_NSC_11hip_rocprim7__merge17predicate_wrapperIjjNSC_7greaterIjEEEEEE10hipError_tPvRmT0_T1_T2_T3_T4_T5_mmT6_P12ihipStream_tbEUlT_E0_NS1_11comp_targetILNS1_3genE2ELNS1_11target_archE906ELNS1_3gpuE6ELNS1_3repE0EEENS1_30default_config_static_selectorELNS0_4arch9wavefront6targetE0EEEvS10_,comdat
	.protected	_ZN7rocprim17ROCPRIM_400000_NS6detail17trampoline_kernelINS0_14default_configENS1_21merge_config_selectorINS0_5tupleIJjjEEENS0_10empty_typeEEEZNS1_10merge_implIS3_NS0_12zip_iteratorINS5_IJN6thrust23THRUST_200600_302600_NS6detail15normal_iteratorINSC_10device_ptrIKjEEEESI_EEEEESK_NSA_INS5_IJNSE_INSF_IjEEEESM_EEEEEPS7_SP_SP_NSC_11hip_rocprim7__merge17predicate_wrapperIjjNSC_7greaterIjEEEEEE10hipError_tPvRmT0_T1_T2_T3_T4_T5_mmT6_P12ihipStream_tbEUlT_E0_NS1_11comp_targetILNS1_3genE2ELNS1_11target_archE906ELNS1_3gpuE6ELNS1_3repE0EEENS1_30default_config_static_selectorELNS0_4arch9wavefront6targetE0EEEvS10_ ; -- Begin function _ZN7rocprim17ROCPRIM_400000_NS6detail17trampoline_kernelINS0_14default_configENS1_21merge_config_selectorINS0_5tupleIJjjEEENS0_10empty_typeEEEZNS1_10merge_implIS3_NS0_12zip_iteratorINS5_IJN6thrust23THRUST_200600_302600_NS6detail15normal_iteratorINSC_10device_ptrIKjEEEESI_EEEEESK_NSA_INS5_IJNSE_INSF_IjEEEESM_EEEEEPS7_SP_SP_NSC_11hip_rocprim7__merge17predicate_wrapperIjjNSC_7greaterIjEEEEEE10hipError_tPvRmT0_T1_T2_T3_T4_T5_mmT6_P12ihipStream_tbEUlT_E0_NS1_11comp_targetILNS1_3genE2ELNS1_11target_archE906ELNS1_3gpuE6ELNS1_3repE0EEENS1_30default_config_static_selectorELNS0_4arch9wavefront6targetE0EEEvS10_
	.globl	_ZN7rocprim17ROCPRIM_400000_NS6detail17trampoline_kernelINS0_14default_configENS1_21merge_config_selectorINS0_5tupleIJjjEEENS0_10empty_typeEEEZNS1_10merge_implIS3_NS0_12zip_iteratorINS5_IJN6thrust23THRUST_200600_302600_NS6detail15normal_iteratorINSC_10device_ptrIKjEEEESI_EEEEESK_NSA_INS5_IJNSE_INSF_IjEEEESM_EEEEEPS7_SP_SP_NSC_11hip_rocprim7__merge17predicate_wrapperIjjNSC_7greaterIjEEEEEE10hipError_tPvRmT0_T1_T2_T3_T4_T5_mmT6_P12ihipStream_tbEUlT_E0_NS1_11comp_targetILNS1_3genE2ELNS1_11target_archE906ELNS1_3gpuE6ELNS1_3repE0EEENS1_30default_config_static_selectorELNS0_4arch9wavefront6targetE0EEEvS10_
	.p2align	8
	.type	_ZN7rocprim17ROCPRIM_400000_NS6detail17trampoline_kernelINS0_14default_configENS1_21merge_config_selectorINS0_5tupleIJjjEEENS0_10empty_typeEEEZNS1_10merge_implIS3_NS0_12zip_iteratorINS5_IJN6thrust23THRUST_200600_302600_NS6detail15normal_iteratorINSC_10device_ptrIKjEEEESI_EEEEESK_NSA_INS5_IJNSE_INSF_IjEEEESM_EEEEEPS7_SP_SP_NSC_11hip_rocprim7__merge17predicate_wrapperIjjNSC_7greaterIjEEEEEE10hipError_tPvRmT0_T1_T2_T3_T4_T5_mmT6_P12ihipStream_tbEUlT_E0_NS1_11comp_targetILNS1_3genE2ELNS1_11target_archE906ELNS1_3gpuE6ELNS1_3repE0EEENS1_30default_config_static_selectorELNS0_4arch9wavefront6targetE0EEEvS10_,@function
_ZN7rocprim17ROCPRIM_400000_NS6detail17trampoline_kernelINS0_14default_configENS1_21merge_config_selectorINS0_5tupleIJjjEEENS0_10empty_typeEEEZNS1_10merge_implIS3_NS0_12zip_iteratorINS5_IJN6thrust23THRUST_200600_302600_NS6detail15normal_iteratorINSC_10device_ptrIKjEEEESI_EEEEESK_NSA_INS5_IJNSE_INSF_IjEEEESM_EEEEEPS7_SP_SP_NSC_11hip_rocprim7__merge17predicate_wrapperIjjNSC_7greaterIjEEEEEE10hipError_tPvRmT0_T1_T2_T3_T4_T5_mmT6_P12ihipStream_tbEUlT_E0_NS1_11comp_targetILNS1_3genE2ELNS1_11target_archE906ELNS1_3gpuE6ELNS1_3repE0EEENS1_30default_config_static_selectorELNS0_4arch9wavefront6targetE0EEEvS10_: ; @_ZN7rocprim17ROCPRIM_400000_NS6detail17trampoline_kernelINS0_14default_configENS1_21merge_config_selectorINS0_5tupleIJjjEEENS0_10empty_typeEEEZNS1_10merge_implIS3_NS0_12zip_iteratorINS5_IJN6thrust23THRUST_200600_302600_NS6detail15normal_iteratorINSC_10device_ptrIKjEEEESI_EEEEESK_NSA_INS5_IJNSE_INSF_IjEEEESM_EEEEEPS7_SP_SP_NSC_11hip_rocprim7__merge17predicate_wrapperIjjNSC_7greaterIjEEEEEE10hipError_tPvRmT0_T1_T2_T3_T4_T5_mmT6_P12ihipStream_tbEUlT_E0_NS1_11comp_targetILNS1_3genE2ELNS1_11target_archE906ELNS1_3gpuE6ELNS1_3repE0EEENS1_30default_config_static_selectorELNS0_4arch9wavefront6targetE0EEEvS10_
; %bb.0:
	.section	.rodata,"a",@progbits
	.p2align	6, 0x0
	.amdhsa_kernel _ZN7rocprim17ROCPRIM_400000_NS6detail17trampoline_kernelINS0_14default_configENS1_21merge_config_selectorINS0_5tupleIJjjEEENS0_10empty_typeEEEZNS1_10merge_implIS3_NS0_12zip_iteratorINS5_IJN6thrust23THRUST_200600_302600_NS6detail15normal_iteratorINSC_10device_ptrIKjEEEESI_EEEEESK_NSA_INS5_IJNSE_INSF_IjEEEESM_EEEEEPS7_SP_SP_NSC_11hip_rocprim7__merge17predicate_wrapperIjjNSC_7greaterIjEEEEEE10hipError_tPvRmT0_T1_T2_T3_T4_T5_mmT6_P12ihipStream_tbEUlT_E0_NS1_11comp_targetILNS1_3genE2ELNS1_11target_archE906ELNS1_3gpuE6ELNS1_3repE0EEENS1_30default_config_static_selectorELNS0_4arch9wavefront6targetE0EEEvS10_
		.amdhsa_group_segment_fixed_size 0
		.amdhsa_private_segment_fixed_size 0
		.amdhsa_kernarg_size 112
		.amdhsa_user_sgpr_count 6
		.amdhsa_user_sgpr_private_segment_buffer 1
		.amdhsa_user_sgpr_dispatch_ptr 0
		.amdhsa_user_sgpr_queue_ptr 0
		.amdhsa_user_sgpr_kernarg_segment_ptr 1
		.amdhsa_user_sgpr_dispatch_id 0
		.amdhsa_user_sgpr_flat_scratch_init 0
		.amdhsa_user_sgpr_private_segment_size 0
		.amdhsa_wavefront_size32 1
		.amdhsa_uses_dynamic_stack 0
		.amdhsa_system_sgpr_private_segment_wavefront_offset 0
		.amdhsa_system_sgpr_workgroup_id_x 1
		.amdhsa_system_sgpr_workgroup_id_y 0
		.amdhsa_system_sgpr_workgroup_id_z 0
		.amdhsa_system_sgpr_workgroup_info 0
		.amdhsa_system_vgpr_workitem_id 0
		.amdhsa_next_free_vgpr 1
		.amdhsa_next_free_sgpr 1
		.amdhsa_reserve_vcc 0
		.amdhsa_reserve_flat_scratch 0
		.amdhsa_float_round_mode_32 0
		.amdhsa_float_round_mode_16_64 0
		.amdhsa_float_denorm_mode_32 3
		.amdhsa_float_denorm_mode_16_64 3
		.amdhsa_dx10_clamp 1
		.amdhsa_ieee_mode 1
		.amdhsa_fp16_overflow 0
		.amdhsa_workgroup_processor_mode 1
		.amdhsa_memory_ordered 1
		.amdhsa_forward_progress 1
		.amdhsa_shared_vgpr_count 0
		.amdhsa_exception_fp_ieee_invalid_op 0
		.amdhsa_exception_fp_denorm_src 0
		.amdhsa_exception_fp_ieee_div_zero 0
		.amdhsa_exception_fp_ieee_overflow 0
		.amdhsa_exception_fp_ieee_underflow 0
		.amdhsa_exception_fp_ieee_inexact 0
		.amdhsa_exception_int_div_zero 0
	.end_amdhsa_kernel
	.section	.text._ZN7rocprim17ROCPRIM_400000_NS6detail17trampoline_kernelINS0_14default_configENS1_21merge_config_selectorINS0_5tupleIJjjEEENS0_10empty_typeEEEZNS1_10merge_implIS3_NS0_12zip_iteratorINS5_IJN6thrust23THRUST_200600_302600_NS6detail15normal_iteratorINSC_10device_ptrIKjEEEESI_EEEEESK_NSA_INS5_IJNSE_INSF_IjEEEESM_EEEEEPS7_SP_SP_NSC_11hip_rocprim7__merge17predicate_wrapperIjjNSC_7greaterIjEEEEEE10hipError_tPvRmT0_T1_T2_T3_T4_T5_mmT6_P12ihipStream_tbEUlT_E0_NS1_11comp_targetILNS1_3genE2ELNS1_11target_archE906ELNS1_3gpuE6ELNS1_3repE0EEENS1_30default_config_static_selectorELNS0_4arch9wavefront6targetE0EEEvS10_,"axG",@progbits,_ZN7rocprim17ROCPRIM_400000_NS6detail17trampoline_kernelINS0_14default_configENS1_21merge_config_selectorINS0_5tupleIJjjEEENS0_10empty_typeEEEZNS1_10merge_implIS3_NS0_12zip_iteratorINS5_IJN6thrust23THRUST_200600_302600_NS6detail15normal_iteratorINSC_10device_ptrIKjEEEESI_EEEEESK_NSA_INS5_IJNSE_INSF_IjEEEESM_EEEEEPS7_SP_SP_NSC_11hip_rocprim7__merge17predicate_wrapperIjjNSC_7greaterIjEEEEEE10hipError_tPvRmT0_T1_T2_T3_T4_T5_mmT6_P12ihipStream_tbEUlT_E0_NS1_11comp_targetILNS1_3genE2ELNS1_11target_archE906ELNS1_3gpuE6ELNS1_3repE0EEENS1_30default_config_static_selectorELNS0_4arch9wavefront6targetE0EEEvS10_,comdat
.Lfunc_end384:
	.size	_ZN7rocprim17ROCPRIM_400000_NS6detail17trampoline_kernelINS0_14default_configENS1_21merge_config_selectorINS0_5tupleIJjjEEENS0_10empty_typeEEEZNS1_10merge_implIS3_NS0_12zip_iteratorINS5_IJN6thrust23THRUST_200600_302600_NS6detail15normal_iteratorINSC_10device_ptrIKjEEEESI_EEEEESK_NSA_INS5_IJNSE_INSF_IjEEEESM_EEEEEPS7_SP_SP_NSC_11hip_rocprim7__merge17predicate_wrapperIjjNSC_7greaterIjEEEEEE10hipError_tPvRmT0_T1_T2_T3_T4_T5_mmT6_P12ihipStream_tbEUlT_E0_NS1_11comp_targetILNS1_3genE2ELNS1_11target_archE906ELNS1_3gpuE6ELNS1_3repE0EEENS1_30default_config_static_selectorELNS0_4arch9wavefront6targetE0EEEvS10_, .Lfunc_end384-_ZN7rocprim17ROCPRIM_400000_NS6detail17trampoline_kernelINS0_14default_configENS1_21merge_config_selectorINS0_5tupleIJjjEEENS0_10empty_typeEEEZNS1_10merge_implIS3_NS0_12zip_iteratorINS5_IJN6thrust23THRUST_200600_302600_NS6detail15normal_iteratorINSC_10device_ptrIKjEEEESI_EEEEESK_NSA_INS5_IJNSE_INSF_IjEEEESM_EEEEEPS7_SP_SP_NSC_11hip_rocprim7__merge17predicate_wrapperIjjNSC_7greaterIjEEEEEE10hipError_tPvRmT0_T1_T2_T3_T4_T5_mmT6_P12ihipStream_tbEUlT_E0_NS1_11comp_targetILNS1_3genE2ELNS1_11target_archE906ELNS1_3gpuE6ELNS1_3repE0EEENS1_30default_config_static_selectorELNS0_4arch9wavefront6targetE0EEEvS10_
                                        ; -- End function
	.set _ZN7rocprim17ROCPRIM_400000_NS6detail17trampoline_kernelINS0_14default_configENS1_21merge_config_selectorINS0_5tupleIJjjEEENS0_10empty_typeEEEZNS1_10merge_implIS3_NS0_12zip_iteratorINS5_IJN6thrust23THRUST_200600_302600_NS6detail15normal_iteratorINSC_10device_ptrIKjEEEESI_EEEEESK_NSA_INS5_IJNSE_INSF_IjEEEESM_EEEEEPS7_SP_SP_NSC_11hip_rocprim7__merge17predicate_wrapperIjjNSC_7greaterIjEEEEEE10hipError_tPvRmT0_T1_T2_T3_T4_T5_mmT6_P12ihipStream_tbEUlT_E0_NS1_11comp_targetILNS1_3genE2ELNS1_11target_archE906ELNS1_3gpuE6ELNS1_3repE0EEENS1_30default_config_static_selectorELNS0_4arch9wavefront6targetE0EEEvS10_.num_vgpr, 0
	.set _ZN7rocprim17ROCPRIM_400000_NS6detail17trampoline_kernelINS0_14default_configENS1_21merge_config_selectorINS0_5tupleIJjjEEENS0_10empty_typeEEEZNS1_10merge_implIS3_NS0_12zip_iteratorINS5_IJN6thrust23THRUST_200600_302600_NS6detail15normal_iteratorINSC_10device_ptrIKjEEEESI_EEEEESK_NSA_INS5_IJNSE_INSF_IjEEEESM_EEEEEPS7_SP_SP_NSC_11hip_rocprim7__merge17predicate_wrapperIjjNSC_7greaterIjEEEEEE10hipError_tPvRmT0_T1_T2_T3_T4_T5_mmT6_P12ihipStream_tbEUlT_E0_NS1_11comp_targetILNS1_3genE2ELNS1_11target_archE906ELNS1_3gpuE6ELNS1_3repE0EEENS1_30default_config_static_selectorELNS0_4arch9wavefront6targetE0EEEvS10_.num_agpr, 0
	.set _ZN7rocprim17ROCPRIM_400000_NS6detail17trampoline_kernelINS0_14default_configENS1_21merge_config_selectorINS0_5tupleIJjjEEENS0_10empty_typeEEEZNS1_10merge_implIS3_NS0_12zip_iteratorINS5_IJN6thrust23THRUST_200600_302600_NS6detail15normal_iteratorINSC_10device_ptrIKjEEEESI_EEEEESK_NSA_INS5_IJNSE_INSF_IjEEEESM_EEEEEPS7_SP_SP_NSC_11hip_rocprim7__merge17predicate_wrapperIjjNSC_7greaterIjEEEEEE10hipError_tPvRmT0_T1_T2_T3_T4_T5_mmT6_P12ihipStream_tbEUlT_E0_NS1_11comp_targetILNS1_3genE2ELNS1_11target_archE906ELNS1_3gpuE6ELNS1_3repE0EEENS1_30default_config_static_selectorELNS0_4arch9wavefront6targetE0EEEvS10_.numbered_sgpr, 0
	.set _ZN7rocprim17ROCPRIM_400000_NS6detail17trampoline_kernelINS0_14default_configENS1_21merge_config_selectorINS0_5tupleIJjjEEENS0_10empty_typeEEEZNS1_10merge_implIS3_NS0_12zip_iteratorINS5_IJN6thrust23THRUST_200600_302600_NS6detail15normal_iteratorINSC_10device_ptrIKjEEEESI_EEEEESK_NSA_INS5_IJNSE_INSF_IjEEEESM_EEEEEPS7_SP_SP_NSC_11hip_rocprim7__merge17predicate_wrapperIjjNSC_7greaterIjEEEEEE10hipError_tPvRmT0_T1_T2_T3_T4_T5_mmT6_P12ihipStream_tbEUlT_E0_NS1_11comp_targetILNS1_3genE2ELNS1_11target_archE906ELNS1_3gpuE6ELNS1_3repE0EEENS1_30default_config_static_selectorELNS0_4arch9wavefront6targetE0EEEvS10_.num_named_barrier, 0
	.set _ZN7rocprim17ROCPRIM_400000_NS6detail17trampoline_kernelINS0_14default_configENS1_21merge_config_selectorINS0_5tupleIJjjEEENS0_10empty_typeEEEZNS1_10merge_implIS3_NS0_12zip_iteratorINS5_IJN6thrust23THRUST_200600_302600_NS6detail15normal_iteratorINSC_10device_ptrIKjEEEESI_EEEEESK_NSA_INS5_IJNSE_INSF_IjEEEESM_EEEEEPS7_SP_SP_NSC_11hip_rocprim7__merge17predicate_wrapperIjjNSC_7greaterIjEEEEEE10hipError_tPvRmT0_T1_T2_T3_T4_T5_mmT6_P12ihipStream_tbEUlT_E0_NS1_11comp_targetILNS1_3genE2ELNS1_11target_archE906ELNS1_3gpuE6ELNS1_3repE0EEENS1_30default_config_static_selectorELNS0_4arch9wavefront6targetE0EEEvS10_.private_seg_size, 0
	.set _ZN7rocprim17ROCPRIM_400000_NS6detail17trampoline_kernelINS0_14default_configENS1_21merge_config_selectorINS0_5tupleIJjjEEENS0_10empty_typeEEEZNS1_10merge_implIS3_NS0_12zip_iteratorINS5_IJN6thrust23THRUST_200600_302600_NS6detail15normal_iteratorINSC_10device_ptrIKjEEEESI_EEEEESK_NSA_INS5_IJNSE_INSF_IjEEEESM_EEEEEPS7_SP_SP_NSC_11hip_rocprim7__merge17predicate_wrapperIjjNSC_7greaterIjEEEEEE10hipError_tPvRmT0_T1_T2_T3_T4_T5_mmT6_P12ihipStream_tbEUlT_E0_NS1_11comp_targetILNS1_3genE2ELNS1_11target_archE906ELNS1_3gpuE6ELNS1_3repE0EEENS1_30default_config_static_selectorELNS0_4arch9wavefront6targetE0EEEvS10_.uses_vcc, 0
	.set _ZN7rocprim17ROCPRIM_400000_NS6detail17trampoline_kernelINS0_14default_configENS1_21merge_config_selectorINS0_5tupleIJjjEEENS0_10empty_typeEEEZNS1_10merge_implIS3_NS0_12zip_iteratorINS5_IJN6thrust23THRUST_200600_302600_NS6detail15normal_iteratorINSC_10device_ptrIKjEEEESI_EEEEESK_NSA_INS5_IJNSE_INSF_IjEEEESM_EEEEEPS7_SP_SP_NSC_11hip_rocprim7__merge17predicate_wrapperIjjNSC_7greaterIjEEEEEE10hipError_tPvRmT0_T1_T2_T3_T4_T5_mmT6_P12ihipStream_tbEUlT_E0_NS1_11comp_targetILNS1_3genE2ELNS1_11target_archE906ELNS1_3gpuE6ELNS1_3repE0EEENS1_30default_config_static_selectorELNS0_4arch9wavefront6targetE0EEEvS10_.uses_flat_scratch, 0
	.set _ZN7rocprim17ROCPRIM_400000_NS6detail17trampoline_kernelINS0_14default_configENS1_21merge_config_selectorINS0_5tupleIJjjEEENS0_10empty_typeEEEZNS1_10merge_implIS3_NS0_12zip_iteratorINS5_IJN6thrust23THRUST_200600_302600_NS6detail15normal_iteratorINSC_10device_ptrIKjEEEESI_EEEEESK_NSA_INS5_IJNSE_INSF_IjEEEESM_EEEEEPS7_SP_SP_NSC_11hip_rocprim7__merge17predicate_wrapperIjjNSC_7greaterIjEEEEEE10hipError_tPvRmT0_T1_T2_T3_T4_T5_mmT6_P12ihipStream_tbEUlT_E0_NS1_11comp_targetILNS1_3genE2ELNS1_11target_archE906ELNS1_3gpuE6ELNS1_3repE0EEENS1_30default_config_static_selectorELNS0_4arch9wavefront6targetE0EEEvS10_.has_dyn_sized_stack, 0
	.set _ZN7rocprim17ROCPRIM_400000_NS6detail17trampoline_kernelINS0_14default_configENS1_21merge_config_selectorINS0_5tupleIJjjEEENS0_10empty_typeEEEZNS1_10merge_implIS3_NS0_12zip_iteratorINS5_IJN6thrust23THRUST_200600_302600_NS6detail15normal_iteratorINSC_10device_ptrIKjEEEESI_EEEEESK_NSA_INS5_IJNSE_INSF_IjEEEESM_EEEEEPS7_SP_SP_NSC_11hip_rocprim7__merge17predicate_wrapperIjjNSC_7greaterIjEEEEEE10hipError_tPvRmT0_T1_T2_T3_T4_T5_mmT6_P12ihipStream_tbEUlT_E0_NS1_11comp_targetILNS1_3genE2ELNS1_11target_archE906ELNS1_3gpuE6ELNS1_3repE0EEENS1_30default_config_static_selectorELNS0_4arch9wavefront6targetE0EEEvS10_.has_recursion, 0
	.set _ZN7rocprim17ROCPRIM_400000_NS6detail17trampoline_kernelINS0_14default_configENS1_21merge_config_selectorINS0_5tupleIJjjEEENS0_10empty_typeEEEZNS1_10merge_implIS3_NS0_12zip_iteratorINS5_IJN6thrust23THRUST_200600_302600_NS6detail15normal_iteratorINSC_10device_ptrIKjEEEESI_EEEEESK_NSA_INS5_IJNSE_INSF_IjEEEESM_EEEEEPS7_SP_SP_NSC_11hip_rocprim7__merge17predicate_wrapperIjjNSC_7greaterIjEEEEEE10hipError_tPvRmT0_T1_T2_T3_T4_T5_mmT6_P12ihipStream_tbEUlT_E0_NS1_11comp_targetILNS1_3genE2ELNS1_11target_archE906ELNS1_3gpuE6ELNS1_3repE0EEENS1_30default_config_static_selectorELNS0_4arch9wavefront6targetE0EEEvS10_.has_indirect_call, 0
	.section	.AMDGPU.csdata,"",@progbits
; Kernel info:
; codeLenInByte = 0
; TotalNumSgprs: 0
; NumVgprs: 0
; ScratchSize: 0
; MemoryBound: 0
; FloatMode: 240
; IeeeMode: 1
; LDSByteSize: 0 bytes/workgroup (compile time only)
; SGPRBlocks: 0
; VGPRBlocks: 0
; NumSGPRsForWavesPerEU: 1
; NumVGPRsForWavesPerEU: 1
; Occupancy: 16
; WaveLimiterHint : 0
; COMPUTE_PGM_RSRC2:SCRATCH_EN: 0
; COMPUTE_PGM_RSRC2:USER_SGPR: 6
; COMPUTE_PGM_RSRC2:TRAP_HANDLER: 0
; COMPUTE_PGM_RSRC2:TGID_X_EN: 1
; COMPUTE_PGM_RSRC2:TGID_Y_EN: 0
; COMPUTE_PGM_RSRC2:TGID_Z_EN: 0
; COMPUTE_PGM_RSRC2:TIDIG_COMP_CNT: 0
	.section	.text._ZN7rocprim17ROCPRIM_400000_NS6detail17trampoline_kernelINS0_14default_configENS1_21merge_config_selectorINS0_5tupleIJjjEEENS0_10empty_typeEEEZNS1_10merge_implIS3_NS0_12zip_iteratorINS5_IJN6thrust23THRUST_200600_302600_NS6detail15normal_iteratorINSC_10device_ptrIKjEEEESI_EEEEESK_NSA_INS5_IJNSE_INSF_IjEEEESM_EEEEEPS7_SP_SP_NSC_11hip_rocprim7__merge17predicate_wrapperIjjNSC_7greaterIjEEEEEE10hipError_tPvRmT0_T1_T2_T3_T4_T5_mmT6_P12ihipStream_tbEUlT_E0_NS1_11comp_targetILNS1_3genE10ELNS1_11target_archE1201ELNS1_3gpuE5ELNS1_3repE0EEENS1_30default_config_static_selectorELNS0_4arch9wavefront6targetE0EEEvS10_,"axG",@progbits,_ZN7rocprim17ROCPRIM_400000_NS6detail17trampoline_kernelINS0_14default_configENS1_21merge_config_selectorINS0_5tupleIJjjEEENS0_10empty_typeEEEZNS1_10merge_implIS3_NS0_12zip_iteratorINS5_IJN6thrust23THRUST_200600_302600_NS6detail15normal_iteratorINSC_10device_ptrIKjEEEESI_EEEEESK_NSA_INS5_IJNSE_INSF_IjEEEESM_EEEEEPS7_SP_SP_NSC_11hip_rocprim7__merge17predicate_wrapperIjjNSC_7greaterIjEEEEEE10hipError_tPvRmT0_T1_T2_T3_T4_T5_mmT6_P12ihipStream_tbEUlT_E0_NS1_11comp_targetILNS1_3genE10ELNS1_11target_archE1201ELNS1_3gpuE5ELNS1_3repE0EEENS1_30default_config_static_selectorELNS0_4arch9wavefront6targetE0EEEvS10_,comdat
	.protected	_ZN7rocprim17ROCPRIM_400000_NS6detail17trampoline_kernelINS0_14default_configENS1_21merge_config_selectorINS0_5tupleIJjjEEENS0_10empty_typeEEEZNS1_10merge_implIS3_NS0_12zip_iteratorINS5_IJN6thrust23THRUST_200600_302600_NS6detail15normal_iteratorINSC_10device_ptrIKjEEEESI_EEEEESK_NSA_INS5_IJNSE_INSF_IjEEEESM_EEEEEPS7_SP_SP_NSC_11hip_rocprim7__merge17predicate_wrapperIjjNSC_7greaterIjEEEEEE10hipError_tPvRmT0_T1_T2_T3_T4_T5_mmT6_P12ihipStream_tbEUlT_E0_NS1_11comp_targetILNS1_3genE10ELNS1_11target_archE1201ELNS1_3gpuE5ELNS1_3repE0EEENS1_30default_config_static_selectorELNS0_4arch9wavefront6targetE0EEEvS10_ ; -- Begin function _ZN7rocprim17ROCPRIM_400000_NS6detail17trampoline_kernelINS0_14default_configENS1_21merge_config_selectorINS0_5tupleIJjjEEENS0_10empty_typeEEEZNS1_10merge_implIS3_NS0_12zip_iteratorINS5_IJN6thrust23THRUST_200600_302600_NS6detail15normal_iteratorINSC_10device_ptrIKjEEEESI_EEEEESK_NSA_INS5_IJNSE_INSF_IjEEEESM_EEEEEPS7_SP_SP_NSC_11hip_rocprim7__merge17predicate_wrapperIjjNSC_7greaterIjEEEEEE10hipError_tPvRmT0_T1_T2_T3_T4_T5_mmT6_P12ihipStream_tbEUlT_E0_NS1_11comp_targetILNS1_3genE10ELNS1_11target_archE1201ELNS1_3gpuE5ELNS1_3repE0EEENS1_30default_config_static_selectorELNS0_4arch9wavefront6targetE0EEEvS10_
	.globl	_ZN7rocprim17ROCPRIM_400000_NS6detail17trampoline_kernelINS0_14default_configENS1_21merge_config_selectorINS0_5tupleIJjjEEENS0_10empty_typeEEEZNS1_10merge_implIS3_NS0_12zip_iteratorINS5_IJN6thrust23THRUST_200600_302600_NS6detail15normal_iteratorINSC_10device_ptrIKjEEEESI_EEEEESK_NSA_INS5_IJNSE_INSF_IjEEEESM_EEEEEPS7_SP_SP_NSC_11hip_rocprim7__merge17predicate_wrapperIjjNSC_7greaterIjEEEEEE10hipError_tPvRmT0_T1_T2_T3_T4_T5_mmT6_P12ihipStream_tbEUlT_E0_NS1_11comp_targetILNS1_3genE10ELNS1_11target_archE1201ELNS1_3gpuE5ELNS1_3repE0EEENS1_30default_config_static_selectorELNS0_4arch9wavefront6targetE0EEEvS10_
	.p2align	8
	.type	_ZN7rocprim17ROCPRIM_400000_NS6detail17trampoline_kernelINS0_14default_configENS1_21merge_config_selectorINS0_5tupleIJjjEEENS0_10empty_typeEEEZNS1_10merge_implIS3_NS0_12zip_iteratorINS5_IJN6thrust23THRUST_200600_302600_NS6detail15normal_iteratorINSC_10device_ptrIKjEEEESI_EEEEESK_NSA_INS5_IJNSE_INSF_IjEEEESM_EEEEEPS7_SP_SP_NSC_11hip_rocprim7__merge17predicate_wrapperIjjNSC_7greaterIjEEEEEE10hipError_tPvRmT0_T1_T2_T3_T4_T5_mmT6_P12ihipStream_tbEUlT_E0_NS1_11comp_targetILNS1_3genE10ELNS1_11target_archE1201ELNS1_3gpuE5ELNS1_3repE0EEENS1_30default_config_static_selectorELNS0_4arch9wavefront6targetE0EEEvS10_,@function
_ZN7rocprim17ROCPRIM_400000_NS6detail17trampoline_kernelINS0_14default_configENS1_21merge_config_selectorINS0_5tupleIJjjEEENS0_10empty_typeEEEZNS1_10merge_implIS3_NS0_12zip_iteratorINS5_IJN6thrust23THRUST_200600_302600_NS6detail15normal_iteratorINSC_10device_ptrIKjEEEESI_EEEEESK_NSA_INS5_IJNSE_INSF_IjEEEESM_EEEEEPS7_SP_SP_NSC_11hip_rocprim7__merge17predicate_wrapperIjjNSC_7greaterIjEEEEEE10hipError_tPvRmT0_T1_T2_T3_T4_T5_mmT6_P12ihipStream_tbEUlT_E0_NS1_11comp_targetILNS1_3genE10ELNS1_11target_archE1201ELNS1_3gpuE5ELNS1_3repE0EEENS1_30default_config_static_selectorELNS0_4arch9wavefront6targetE0EEEvS10_: ; @_ZN7rocprim17ROCPRIM_400000_NS6detail17trampoline_kernelINS0_14default_configENS1_21merge_config_selectorINS0_5tupleIJjjEEENS0_10empty_typeEEEZNS1_10merge_implIS3_NS0_12zip_iteratorINS5_IJN6thrust23THRUST_200600_302600_NS6detail15normal_iteratorINSC_10device_ptrIKjEEEESI_EEEEESK_NSA_INS5_IJNSE_INSF_IjEEEESM_EEEEEPS7_SP_SP_NSC_11hip_rocprim7__merge17predicate_wrapperIjjNSC_7greaterIjEEEEEE10hipError_tPvRmT0_T1_T2_T3_T4_T5_mmT6_P12ihipStream_tbEUlT_E0_NS1_11comp_targetILNS1_3genE10ELNS1_11target_archE1201ELNS1_3gpuE5ELNS1_3repE0EEENS1_30default_config_static_selectorELNS0_4arch9wavefront6targetE0EEEvS10_
; %bb.0:
	.section	.rodata,"a",@progbits
	.p2align	6, 0x0
	.amdhsa_kernel _ZN7rocprim17ROCPRIM_400000_NS6detail17trampoline_kernelINS0_14default_configENS1_21merge_config_selectorINS0_5tupleIJjjEEENS0_10empty_typeEEEZNS1_10merge_implIS3_NS0_12zip_iteratorINS5_IJN6thrust23THRUST_200600_302600_NS6detail15normal_iteratorINSC_10device_ptrIKjEEEESI_EEEEESK_NSA_INS5_IJNSE_INSF_IjEEEESM_EEEEEPS7_SP_SP_NSC_11hip_rocprim7__merge17predicate_wrapperIjjNSC_7greaterIjEEEEEE10hipError_tPvRmT0_T1_T2_T3_T4_T5_mmT6_P12ihipStream_tbEUlT_E0_NS1_11comp_targetILNS1_3genE10ELNS1_11target_archE1201ELNS1_3gpuE5ELNS1_3repE0EEENS1_30default_config_static_selectorELNS0_4arch9wavefront6targetE0EEEvS10_
		.amdhsa_group_segment_fixed_size 0
		.amdhsa_private_segment_fixed_size 0
		.amdhsa_kernarg_size 112
		.amdhsa_user_sgpr_count 6
		.amdhsa_user_sgpr_private_segment_buffer 1
		.amdhsa_user_sgpr_dispatch_ptr 0
		.amdhsa_user_sgpr_queue_ptr 0
		.amdhsa_user_sgpr_kernarg_segment_ptr 1
		.amdhsa_user_sgpr_dispatch_id 0
		.amdhsa_user_sgpr_flat_scratch_init 0
		.amdhsa_user_sgpr_private_segment_size 0
		.amdhsa_wavefront_size32 1
		.amdhsa_uses_dynamic_stack 0
		.amdhsa_system_sgpr_private_segment_wavefront_offset 0
		.amdhsa_system_sgpr_workgroup_id_x 1
		.amdhsa_system_sgpr_workgroup_id_y 0
		.amdhsa_system_sgpr_workgroup_id_z 0
		.amdhsa_system_sgpr_workgroup_info 0
		.amdhsa_system_vgpr_workitem_id 0
		.amdhsa_next_free_vgpr 1
		.amdhsa_next_free_sgpr 1
		.amdhsa_reserve_vcc 0
		.amdhsa_reserve_flat_scratch 0
		.amdhsa_float_round_mode_32 0
		.amdhsa_float_round_mode_16_64 0
		.amdhsa_float_denorm_mode_32 3
		.amdhsa_float_denorm_mode_16_64 3
		.amdhsa_dx10_clamp 1
		.amdhsa_ieee_mode 1
		.amdhsa_fp16_overflow 0
		.amdhsa_workgroup_processor_mode 1
		.amdhsa_memory_ordered 1
		.amdhsa_forward_progress 1
		.amdhsa_shared_vgpr_count 0
		.amdhsa_exception_fp_ieee_invalid_op 0
		.amdhsa_exception_fp_denorm_src 0
		.amdhsa_exception_fp_ieee_div_zero 0
		.amdhsa_exception_fp_ieee_overflow 0
		.amdhsa_exception_fp_ieee_underflow 0
		.amdhsa_exception_fp_ieee_inexact 0
		.amdhsa_exception_int_div_zero 0
	.end_amdhsa_kernel
	.section	.text._ZN7rocprim17ROCPRIM_400000_NS6detail17trampoline_kernelINS0_14default_configENS1_21merge_config_selectorINS0_5tupleIJjjEEENS0_10empty_typeEEEZNS1_10merge_implIS3_NS0_12zip_iteratorINS5_IJN6thrust23THRUST_200600_302600_NS6detail15normal_iteratorINSC_10device_ptrIKjEEEESI_EEEEESK_NSA_INS5_IJNSE_INSF_IjEEEESM_EEEEEPS7_SP_SP_NSC_11hip_rocprim7__merge17predicate_wrapperIjjNSC_7greaterIjEEEEEE10hipError_tPvRmT0_T1_T2_T3_T4_T5_mmT6_P12ihipStream_tbEUlT_E0_NS1_11comp_targetILNS1_3genE10ELNS1_11target_archE1201ELNS1_3gpuE5ELNS1_3repE0EEENS1_30default_config_static_selectorELNS0_4arch9wavefront6targetE0EEEvS10_,"axG",@progbits,_ZN7rocprim17ROCPRIM_400000_NS6detail17trampoline_kernelINS0_14default_configENS1_21merge_config_selectorINS0_5tupleIJjjEEENS0_10empty_typeEEEZNS1_10merge_implIS3_NS0_12zip_iteratorINS5_IJN6thrust23THRUST_200600_302600_NS6detail15normal_iteratorINSC_10device_ptrIKjEEEESI_EEEEESK_NSA_INS5_IJNSE_INSF_IjEEEESM_EEEEEPS7_SP_SP_NSC_11hip_rocprim7__merge17predicate_wrapperIjjNSC_7greaterIjEEEEEE10hipError_tPvRmT0_T1_T2_T3_T4_T5_mmT6_P12ihipStream_tbEUlT_E0_NS1_11comp_targetILNS1_3genE10ELNS1_11target_archE1201ELNS1_3gpuE5ELNS1_3repE0EEENS1_30default_config_static_selectorELNS0_4arch9wavefront6targetE0EEEvS10_,comdat
.Lfunc_end385:
	.size	_ZN7rocprim17ROCPRIM_400000_NS6detail17trampoline_kernelINS0_14default_configENS1_21merge_config_selectorINS0_5tupleIJjjEEENS0_10empty_typeEEEZNS1_10merge_implIS3_NS0_12zip_iteratorINS5_IJN6thrust23THRUST_200600_302600_NS6detail15normal_iteratorINSC_10device_ptrIKjEEEESI_EEEEESK_NSA_INS5_IJNSE_INSF_IjEEEESM_EEEEEPS7_SP_SP_NSC_11hip_rocprim7__merge17predicate_wrapperIjjNSC_7greaterIjEEEEEE10hipError_tPvRmT0_T1_T2_T3_T4_T5_mmT6_P12ihipStream_tbEUlT_E0_NS1_11comp_targetILNS1_3genE10ELNS1_11target_archE1201ELNS1_3gpuE5ELNS1_3repE0EEENS1_30default_config_static_selectorELNS0_4arch9wavefront6targetE0EEEvS10_, .Lfunc_end385-_ZN7rocprim17ROCPRIM_400000_NS6detail17trampoline_kernelINS0_14default_configENS1_21merge_config_selectorINS0_5tupleIJjjEEENS0_10empty_typeEEEZNS1_10merge_implIS3_NS0_12zip_iteratorINS5_IJN6thrust23THRUST_200600_302600_NS6detail15normal_iteratorINSC_10device_ptrIKjEEEESI_EEEEESK_NSA_INS5_IJNSE_INSF_IjEEEESM_EEEEEPS7_SP_SP_NSC_11hip_rocprim7__merge17predicate_wrapperIjjNSC_7greaterIjEEEEEE10hipError_tPvRmT0_T1_T2_T3_T4_T5_mmT6_P12ihipStream_tbEUlT_E0_NS1_11comp_targetILNS1_3genE10ELNS1_11target_archE1201ELNS1_3gpuE5ELNS1_3repE0EEENS1_30default_config_static_selectorELNS0_4arch9wavefront6targetE0EEEvS10_
                                        ; -- End function
	.set _ZN7rocprim17ROCPRIM_400000_NS6detail17trampoline_kernelINS0_14default_configENS1_21merge_config_selectorINS0_5tupleIJjjEEENS0_10empty_typeEEEZNS1_10merge_implIS3_NS0_12zip_iteratorINS5_IJN6thrust23THRUST_200600_302600_NS6detail15normal_iteratorINSC_10device_ptrIKjEEEESI_EEEEESK_NSA_INS5_IJNSE_INSF_IjEEEESM_EEEEEPS7_SP_SP_NSC_11hip_rocprim7__merge17predicate_wrapperIjjNSC_7greaterIjEEEEEE10hipError_tPvRmT0_T1_T2_T3_T4_T5_mmT6_P12ihipStream_tbEUlT_E0_NS1_11comp_targetILNS1_3genE10ELNS1_11target_archE1201ELNS1_3gpuE5ELNS1_3repE0EEENS1_30default_config_static_selectorELNS0_4arch9wavefront6targetE0EEEvS10_.num_vgpr, 0
	.set _ZN7rocprim17ROCPRIM_400000_NS6detail17trampoline_kernelINS0_14default_configENS1_21merge_config_selectorINS0_5tupleIJjjEEENS0_10empty_typeEEEZNS1_10merge_implIS3_NS0_12zip_iteratorINS5_IJN6thrust23THRUST_200600_302600_NS6detail15normal_iteratorINSC_10device_ptrIKjEEEESI_EEEEESK_NSA_INS5_IJNSE_INSF_IjEEEESM_EEEEEPS7_SP_SP_NSC_11hip_rocprim7__merge17predicate_wrapperIjjNSC_7greaterIjEEEEEE10hipError_tPvRmT0_T1_T2_T3_T4_T5_mmT6_P12ihipStream_tbEUlT_E0_NS1_11comp_targetILNS1_3genE10ELNS1_11target_archE1201ELNS1_3gpuE5ELNS1_3repE0EEENS1_30default_config_static_selectorELNS0_4arch9wavefront6targetE0EEEvS10_.num_agpr, 0
	.set _ZN7rocprim17ROCPRIM_400000_NS6detail17trampoline_kernelINS0_14default_configENS1_21merge_config_selectorINS0_5tupleIJjjEEENS0_10empty_typeEEEZNS1_10merge_implIS3_NS0_12zip_iteratorINS5_IJN6thrust23THRUST_200600_302600_NS6detail15normal_iteratorINSC_10device_ptrIKjEEEESI_EEEEESK_NSA_INS5_IJNSE_INSF_IjEEEESM_EEEEEPS7_SP_SP_NSC_11hip_rocprim7__merge17predicate_wrapperIjjNSC_7greaterIjEEEEEE10hipError_tPvRmT0_T1_T2_T3_T4_T5_mmT6_P12ihipStream_tbEUlT_E0_NS1_11comp_targetILNS1_3genE10ELNS1_11target_archE1201ELNS1_3gpuE5ELNS1_3repE0EEENS1_30default_config_static_selectorELNS0_4arch9wavefront6targetE0EEEvS10_.numbered_sgpr, 0
	.set _ZN7rocprim17ROCPRIM_400000_NS6detail17trampoline_kernelINS0_14default_configENS1_21merge_config_selectorINS0_5tupleIJjjEEENS0_10empty_typeEEEZNS1_10merge_implIS3_NS0_12zip_iteratorINS5_IJN6thrust23THRUST_200600_302600_NS6detail15normal_iteratorINSC_10device_ptrIKjEEEESI_EEEEESK_NSA_INS5_IJNSE_INSF_IjEEEESM_EEEEEPS7_SP_SP_NSC_11hip_rocprim7__merge17predicate_wrapperIjjNSC_7greaterIjEEEEEE10hipError_tPvRmT0_T1_T2_T3_T4_T5_mmT6_P12ihipStream_tbEUlT_E0_NS1_11comp_targetILNS1_3genE10ELNS1_11target_archE1201ELNS1_3gpuE5ELNS1_3repE0EEENS1_30default_config_static_selectorELNS0_4arch9wavefront6targetE0EEEvS10_.num_named_barrier, 0
	.set _ZN7rocprim17ROCPRIM_400000_NS6detail17trampoline_kernelINS0_14default_configENS1_21merge_config_selectorINS0_5tupleIJjjEEENS0_10empty_typeEEEZNS1_10merge_implIS3_NS0_12zip_iteratorINS5_IJN6thrust23THRUST_200600_302600_NS6detail15normal_iteratorINSC_10device_ptrIKjEEEESI_EEEEESK_NSA_INS5_IJNSE_INSF_IjEEEESM_EEEEEPS7_SP_SP_NSC_11hip_rocprim7__merge17predicate_wrapperIjjNSC_7greaterIjEEEEEE10hipError_tPvRmT0_T1_T2_T3_T4_T5_mmT6_P12ihipStream_tbEUlT_E0_NS1_11comp_targetILNS1_3genE10ELNS1_11target_archE1201ELNS1_3gpuE5ELNS1_3repE0EEENS1_30default_config_static_selectorELNS0_4arch9wavefront6targetE0EEEvS10_.private_seg_size, 0
	.set _ZN7rocprim17ROCPRIM_400000_NS6detail17trampoline_kernelINS0_14default_configENS1_21merge_config_selectorINS0_5tupleIJjjEEENS0_10empty_typeEEEZNS1_10merge_implIS3_NS0_12zip_iteratorINS5_IJN6thrust23THRUST_200600_302600_NS6detail15normal_iteratorINSC_10device_ptrIKjEEEESI_EEEEESK_NSA_INS5_IJNSE_INSF_IjEEEESM_EEEEEPS7_SP_SP_NSC_11hip_rocprim7__merge17predicate_wrapperIjjNSC_7greaterIjEEEEEE10hipError_tPvRmT0_T1_T2_T3_T4_T5_mmT6_P12ihipStream_tbEUlT_E0_NS1_11comp_targetILNS1_3genE10ELNS1_11target_archE1201ELNS1_3gpuE5ELNS1_3repE0EEENS1_30default_config_static_selectorELNS0_4arch9wavefront6targetE0EEEvS10_.uses_vcc, 0
	.set _ZN7rocprim17ROCPRIM_400000_NS6detail17trampoline_kernelINS0_14default_configENS1_21merge_config_selectorINS0_5tupleIJjjEEENS0_10empty_typeEEEZNS1_10merge_implIS3_NS0_12zip_iteratorINS5_IJN6thrust23THRUST_200600_302600_NS6detail15normal_iteratorINSC_10device_ptrIKjEEEESI_EEEEESK_NSA_INS5_IJNSE_INSF_IjEEEESM_EEEEEPS7_SP_SP_NSC_11hip_rocprim7__merge17predicate_wrapperIjjNSC_7greaterIjEEEEEE10hipError_tPvRmT0_T1_T2_T3_T4_T5_mmT6_P12ihipStream_tbEUlT_E0_NS1_11comp_targetILNS1_3genE10ELNS1_11target_archE1201ELNS1_3gpuE5ELNS1_3repE0EEENS1_30default_config_static_selectorELNS0_4arch9wavefront6targetE0EEEvS10_.uses_flat_scratch, 0
	.set _ZN7rocprim17ROCPRIM_400000_NS6detail17trampoline_kernelINS0_14default_configENS1_21merge_config_selectorINS0_5tupleIJjjEEENS0_10empty_typeEEEZNS1_10merge_implIS3_NS0_12zip_iteratorINS5_IJN6thrust23THRUST_200600_302600_NS6detail15normal_iteratorINSC_10device_ptrIKjEEEESI_EEEEESK_NSA_INS5_IJNSE_INSF_IjEEEESM_EEEEEPS7_SP_SP_NSC_11hip_rocprim7__merge17predicate_wrapperIjjNSC_7greaterIjEEEEEE10hipError_tPvRmT0_T1_T2_T3_T4_T5_mmT6_P12ihipStream_tbEUlT_E0_NS1_11comp_targetILNS1_3genE10ELNS1_11target_archE1201ELNS1_3gpuE5ELNS1_3repE0EEENS1_30default_config_static_selectorELNS0_4arch9wavefront6targetE0EEEvS10_.has_dyn_sized_stack, 0
	.set _ZN7rocprim17ROCPRIM_400000_NS6detail17trampoline_kernelINS0_14default_configENS1_21merge_config_selectorINS0_5tupleIJjjEEENS0_10empty_typeEEEZNS1_10merge_implIS3_NS0_12zip_iteratorINS5_IJN6thrust23THRUST_200600_302600_NS6detail15normal_iteratorINSC_10device_ptrIKjEEEESI_EEEEESK_NSA_INS5_IJNSE_INSF_IjEEEESM_EEEEEPS7_SP_SP_NSC_11hip_rocprim7__merge17predicate_wrapperIjjNSC_7greaterIjEEEEEE10hipError_tPvRmT0_T1_T2_T3_T4_T5_mmT6_P12ihipStream_tbEUlT_E0_NS1_11comp_targetILNS1_3genE10ELNS1_11target_archE1201ELNS1_3gpuE5ELNS1_3repE0EEENS1_30default_config_static_selectorELNS0_4arch9wavefront6targetE0EEEvS10_.has_recursion, 0
	.set _ZN7rocprim17ROCPRIM_400000_NS6detail17trampoline_kernelINS0_14default_configENS1_21merge_config_selectorINS0_5tupleIJjjEEENS0_10empty_typeEEEZNS1_10merge_implIS3_NS0_12zip_iteratorINS5_IJN6thrust23THRUST_200600_302600_NS6detail15normal_iteratorINSC_10device_ptrIKjEEEESI_EEEEESK_NSA_INS5_IJNSE_INSF_IjEEEESM_EEEEEPS7_SP_SP_NSC_11hip_rocprim7__merge17predicate_wrapperIjjNSC_7greaterIjEEEEEE10hipError_tPvRmT0_T1_T2_T3_T4_T5_mmT6_P12ihipStream_tbEUlT_E0_NS1_11comp_targetILNS1_3genE10ELNS1_11target_archE1201ELNS1_3gpuE5ELNS1_3repE0EEENS1_30default_config_static_selectorELNS0_4arch9wavefront6targetE0EEEvS10_.has_indirect_call, 0
	.section	.AMDGPU.csdata,"",@progbits
; Kernel info:
; codeLenInByte = 0
; TotalNumSgprs: 0
; NumVgprs: 0
; ScratchSize: 0
; MemoryBound: 0
; FloatMode: 240
; IeeeMode: 1
; LDSByteSize: 0 bytes/workgroup (compile time only)
; SGPRBlocks: 0
; VGPRBlocks: 0
; NumSGPRsForWavesPerEU: 1
; NumVGPRsForWavesPerEU: 1
; Occupancy: 16
; WaveLimiterHint : 0
; COMPUTE_PGM_RSRC2:SCRATCH_EN: 0
; COMPUTE_PGM_RSRC2:USER_SGPR: 6
; COMPUTE_PGM_RSRC2:TRAP_HANDLER: 0
; COMPUTE_PGM_RSRC2:TGID_X_EN: 1
; COMPUTE_PGM_RSRC2:TGID_Y_EN: 0
; COMPUTE_PGM_RSRC2:TGID_Z_EN: 0
; COMPUTE_PGM_RSRC2:TIDIG_COMP_CNT: 0
	.section	.text._ZN7rocprim17ROCPRIM_400000_NS6detail17trampoline_kernelINS0_14default_configENS1_21merge_config_selectorINS0_5tupleIJjjEEENS0_10empty_typeEEEZNS1_10merge_implIS3_NS0_12zip_iteratorINS5_IJN6thrust23THRUST_200600_302600_NS6detail15normal_iteratorINSC_10device_ptrIKjEEEESI_EEEEESK_NSA_INS5_IJNSE_INSF_IjEEEESM_EEEEEPS7_SP_SP_NSC_11hip_rocprim7__merge17predicate_wrapperIjjNSC_7greaterIjEEEEEE10hipError_tPvRmT0_T1_T2_T3_T4_T5_mmT6_P12ihipStream_tbEUlT_E0_NS1_11comp_targetILNS1_3genE10ELNS1_11target_archE1200ELNS1_3gpuE4ELNS1_3repE0EEENS1_30default_config_static_selectorELNS0_4arch9wavefront6targetE0EEEvS10_,"axG",@progbits,_ZN7rocprim17ROCPRIM_400000_NS6detail17trampoline_kernelINS0_14default_configENS1_21merge_config_selectorINS0_5tupleIJjjEEENS0_10empty_typeEEEZNS1_10merge_implIS3_NS0_12zip_iteratorINS5_IJN6thrust23THRUST_200600_302600_NS6detail15normal_iteratorINSC_10device_ptrIKjEEEESI_EEEEESK_NSA_INS5_IJNSE_INSF_IjEEEESM_EEEEEPS7_SP_SP_NSC_11hip_rocprim7__merge17predicate_wrapperIjjNSC_7greaterIjEEEEEE10hipError_tPvRmT0_T1_T2_T3_T4_T5_mmT6_P12ihipStream_tbEUlT_E0_NS1_11comp_targetILNS1_3genE10ELNS1_11target_archE1200ELNS1_3gpuE4ELNS1_3repE0EEENS1_30default_config_static_selectorELNS0_4arch9wavefront6targetE0EEEvS10_,comdat
	.protected	_ZN7rocprim17ROCPRIM_400000_NS6detail17trampoline_kernelINS0_14default_configENS1_21merge_config_selectorINS0_5tupleIJjjEEENS0_10empty_typeEEEZNS1_10merge_implIS3_NS0_12zip_iteratorINS5_IJN6thrust23THRUST_200600_302600_NS6detail15normal_iteratorINSC_10device_ptrIKjEEEESI_EEEEESK_NSA_INS5_IJNSE_INSF_IjEEEESM_EEEEEPS7_SP_SP_NSC_11hip_rocprim7__merge17predicate_wrapperIjjNSC_7greaterIjEEEEEE10hipError_tPvRmT0_T1_T2_T3_T4_T5_mmT6_P12ihipStream_tbEUlT_E0_NS1_11comp_targetILNS1_3genE10ELNS1_11target_archE1200ELNS1_3gpuE4ELNS1_3repE0EEENS1_30default_config_static_selectorELNS0_4arch9wavefront6targetE0EEEvS10_ ; -- Begin function _ZN7rocprim17ROCPRIM_400000_NS6detail17trampoline_kernelINS0_14default_configENS1_21merge_config_selectorINS0_5tupleIJjjEEENS0_10empty_typeEEEZNS1_10merge_implIS3_NS0_12zip_iteratorINS5_IJN6thrust23THRUST_200600_302600_NS6detail15normal_iteratorINSC_10device_ptrIKjEEEESI_EEEEESK_NSA_INS5_IJNSE_INSF_IjEEEESM_EEEEEPS7_SP_SP_NSC_11hip_rocprim7__merge17predicate_wrapperIjjNSC_7greaterIjEEEEEE10hipError_tPvRmT0_T1_T2_T3_T4_T5_mmT6_P12ihipStream_tbEUlT_E0_NS1_11comp_targetILNS1_3genE10ELNS1_11target_archE1200ELNS1_3gpuE4ELNS1_3repE0EEENS1_30default_config_static_selectorELNS0_4arch9wavefront6targetE0EEEvS10_
	.globl	_ZN7rocprim17ROCPRIM_400000_NS6detail17trampoline_kernelINS0_14default_configENS1_21merge_config_selectorINS0_5tupleIJjjEEENS0_10empty_typeEEEZNS1_10merge_implIS3_NS0_12zip_iteratorINS5_IJN6thrust23THRUST_200600_302600_NS6detail15normal_iteratorINSC_10device_ptrIKjEEEESI_EEEEESK_NSA_INS5_IJNSE_INSF_IjEEEESM_EEEEEPS7_SP_SP_NSC_11hip_rocprim7__merge17predicate_wrapperIjjNSC_7greaterIjEEEEEE10hipError_tPvRmT0_T1_T2_T3_T4_T5_mmT6_P12ihipStream_tbEUlT_E0_NS1_11comp_targetILNS1_3genE10ELNS1_11target_archE1200ELNS1_3gpuE4ELNS1_3repE0EEENS1_30default_config_static_selectorELNS0_4arch9wavefront6targetE0EEEvS10_
	.p2align	8
	.type	_ZN7rocprim17ROCPRIM_400000_NS6detail17trampoline_kernelINS0_14default_configENS1_21merge_config_selectorINS0_5tupleIJjjEEENS0_10empty_typeEEEZNS1_10merge_implIS3_NS0_12zip_iteratorINS5_IJN6thrust23THRUST_200600_302600_NS6detail15normal_iteratorINSC_10device_ptrIKjEEEESI_EEEEESK_NSA_INS5_IJNSE_INSF_IjEEEESM_EEEEEPS7_SP_SP_NSC_11hip_rocprim7__merge17predicate_wrapperIjjNSC_7greaterIjEEEEEE10hipError_tPvRmT0_T1_T2_T3_T4_T5_mmT6_P12ihipStream_tbEUlT_E0_NS1_11comp_targetILNS1_3genE10ELNS1_11target_archE1200ELNS1_3gpuE4ELNS1_3repE0EEENS1_30default_config_static_selectorELNS0_4arch9wavefront6targetE0EEEvS10_,@function
_ZN7rocprim17ROCPRIM_400000_NS6detail17trampoline_kernelINS0_14default_configENS1_21merge_config_selectorINS0_5tupleIJjjEEENS0_10empty_typeEEEZNS1_10merge_implIS3_NS0_12zip_iteratorINS5_IJN6thrust23THRUST_200600_302600_NS6detail15normal_iteratorINSC_10device_ptrIKjEEEESI_EEEEESK_NSA_INS5_IJNSE_INSF_IjEEEESM_EEEEEPS7_SP_SP_NSC_11hip_rocprim7__merge17predicate_wrapperIjjNSC_7greaterIjEEEEEE10hipError_tPvRmT0_T1_T2_T3_T4_T5_mmT6_P12ihipStream_tbEUlT_E0_NS1_11comp_targetILNS1_3genE10ELNS1_11target_archE1200ELNS1_3gpuE4ELNS1_3repE0EEENS1_30default_config_static_selectorELNS0_4arch9wavefront6targetE0EEEvS10_: ; @_ZN7rocprim17ROCPRIM_400000_NS6detail17trampoline_kernelINS0_14default_configENS1_21merge_config_selectorINS0_5tupleIJjjEEENS0_10empty_typeEEEZNS1_10merge_implIS3_NS0_12zip_iteratorINS5_IJN6thrust23THRUST_200600_302600_NS6detail15normal_iteratorINSC_10device_ptrIKjEEEESI_EEEEESK_NSA_INS5_IJNSE_INSF_IjEEEESM_EEEEEPS7_SP_SP_NSC_11hip_rocprim7__merge17predicate_wrapperIjjNSC_7greaterIjEEEEEE10hipError_tPvRmT0_T1_T2_T3_T4_T5_mmT6_P12ihipStream_tbEUlT_E0_NS1_11comp_targetILNS1_3genE10ELNS1_11target_archE1200ELNS1_3gpuE4ELNS1_3repE0EEENS1_30default_config_static_selectorELNS0_4arch9wavefront6targetE0EEEvS10_
; %bb.0:
	.section	.rodata,"a",@progbits
	.p2align	6, 0x0
	.amdhsa_kernel _ZN7rocprim17ROCPRIM_400000_NS6detail17trampoline_kernelINS0_14default_configENS1_21merge_config_selectorINS0_5tupleIJjjEEENS0_10empty_typeEEEZNS1_10merge_implIS3_NS0_12zip_iteratorINS5_IJN6thrust23THRUST_200600_302600_NS6detail15normal_iteratorINSC_10device_ptrIKjEEEESI_EEEEESK_NSA_INS5_IJNSE_INSF_IjEEEESM_EEEEEPS7_SP_SP_NSC_11hip_rocprim7__merge17predicate_wrapperIjjNSC_7greaterIjEEEEEE10hipError_tPvRmT0_T1_T2_T3_T4_T5_mmT6_P12ihipStream_tbEUlT_E0_NS1_11comp_targetILNS1_3genE10ELNS1_11target_archE1200ELNS1_3gpuE4ELNS1_3repE0EEENS1_30default_config_static_selectorELNS0_4arch9wavefront6targetE0EEEvS10_
		.amdhsa_group_segment_fixed_size 0
		.amdhsa_private_segment_fixed_size 0
		.amdhsa_kernarg_size 112
		.amdhsa_user_sgpr_count 6
		.amdhsa_user_sgpr_private_segment_buffer 1
		.amdhsa_user_sgpr_dispatch_ptr 0
		.amdhsa_user_sgpr_queue_ptr 0
		.amdhsa_user_sgpr_kernarg_segment_ptr 1
		.amdhsa_user_sgpr_dispatch_id 0
		.amdhsa_user_sgpr_flat_scratch_init 0
		.amdhsa_user_sgpr_private_segment_size 0
		.amdhsa_wavefront_size32 1
		.amdhsa_uses_dynamic_stack 0
		.amdhsa_system_sgpr_private_segment_wavefront_offset 0
		.amdhsa_system_sgpr_workgroup_id_x 1
		.amdhsa_system_sgpr_workgroup_id_y 0
		.amdhsa_system_sgpr_workgroup_id_z 0
		.amdhsa_system_sgpr_workgroup_info 0
		.amdhsa_system_vgpr_workitem_id 0
		.amdhsa_next_free_vgpr 1
		.amdhsa_next_free_sgpr 1
		.amdhsa_reserve_vcc 0
		.amdhsa_reserve_flat_scratch 0
		.amdhsa_float_round_mode_32 0
		.amdhsa_float_round_mode_16_64 0
		.amdhsa_float_denorm_mode_32 3
		.amdhsa_float_denorm_mode_16_64 3
		.amdhsa_dx10_clamp 1
		.amdhsa_ieee_mode 1
		.amdhsa_fp16_overflow 0
		.amdhsa_workgroup_processor_mode 1
		.amdhsa_memory_ordered 1
		.amdhsa_forward_progress 1
		.amdhsa_shared_vgpr_count 0
		.amdhsa_exception_fp_ieee_invalid_op 0
		.amdhsa_exception_fp_denorm_src 0
		.amdhsa_exception_fp_ieee_div_zero 0
		.amdhsa_exception_fp_ieee_overflow 0
		.amdhsa_exception_fp_ieee_underflow 0
		.amdhsa_exception_fp_ieee_inexact 0
		.amdhsa_exception_int_div_zero 0
	.end_amdhsa_kernel
	.section	.text._ZN7rocprim17ROCPRIM_400000_NS6detail17trampoline_kernelINS0_14default_configENS1_21merge_config_selectorINS0_5tupleIJjjEEENS0_10empty_typeEEEZNS1_10merge_implIS3_NS0_12zip_iteratorINS5_IJN6thrust23THRUST_200600_302600_NS6detail15normal_iteratorINSC_10device_ptrIKjEEEESI_EEEEESK_NSA_INS5_IJNSE_INSF_IjEEEESM_EEEEEPS7_SP_SP_NSC_11hip_rocprim7__merge17predicate_wrapperIjjNSC_7greaterIjEEEEEE10hipError_tPvRmT0_T1_T2_T3_T4_T5_mmT6_P12ihipStream_tbEUlT_E0_NS1_11comp_targetILNS1_3genE10ELNS1_11target_archE1200ELNS1_3gpuE4ELNS1_3repE0EEENS1_30default_config_static_selectorELNS0_4arch9wavefront6targetE0EEEvS10_,"axG",@progbits,_ZN7rocprim17ROCPRIM_400000_NS6detail17trampoline_kernelINS0_14default_configENS1_21merge_config_selectorINS0_5tupleIJjjEEENS0_10empty_typeEEEZNS1_10merge_implIS3_NS0_12zip_iteratorINS5_IJN6thrust23THRUST_200600_302600_NS6detail15normal_iteratorINSC_10device_ptrIKjEEEESI_EEEEESK_NSA_INS5_IJNSE_INSF_IjEEEESM_EEEEEPS7_SP_SP_NSC_11hip_rocprim7__merge17predicate_wrapperIjjNSC_7greaterIjEEEEEE10hipError_tPvRmT0_T1_T2_T3_T4_T5_mmT6_P12ihipStream_tbEUlT_E0_NS1_11comp_targetILNS1_3genE10ELNS1_11target_archE1200ELNS1_3gpuE4ELNS1_3repE0EEENS1_30default_config_static_selectorELNS0_4arch9wavefront6targetE0EEEvS10_,comdat
.Lfunc_end386:
	.size	_ZN7rocprim17ROCPRIM_400000_NS6detail17trampoline_kernelINS0_14default_configENS1_21merge_config_selectorINS0_5tupleIJjjEEENS0_10empty_typeEEEZNS1_10merge_implIS3_NS0_12zip_iteratorINS5_IJN6thrust23THRUST_200600_302600_NS6detail15normal_iteratorINSC_10device_ptrIKjEEEESI_EEEEESK_NSA_INS5_IJNSE_INSF_IjEEEESM_EEEEEPS7_SP_SP_NSC_11hip_rocprim7__merge17predicate_wrapperIjjNSC_7greaterIjEEEEEE10hipError_tPvRmT0_T1_T2_T3_T4_T5_mmT6_P12ihipStream_tbEUlT_E0_NS1_11comp_targetILNS1_3genE10ELNS1_11target_archE1200ELNS1_3gpuE4ELNS1_3repE0EEENS1_30default_config_static_selectorELNS0_4arch9wavefront6targetE0EEEvS10_, .Lfunc_end386-_ZN7rocprim17ROCPRIM_400000_NS6detail17trampoline_kernelINS0_14default_configENS1_21merge_config_selectorINS0_5tupleIJjjEEENS0_10empty_typeEEEZNS1_10merge_implIS3_NS0_12zip_iteratorINS5_IJN6thrust23THRUST_200600_302600_NS6detail15normal_iteratorINSC_10device_ptrIKjEEEESI_EEEEESK_NSA_INS5_IJNSE_INSF_IjEEEESM_EEEEEPS7_SP_SP_NSC_11hip_rocprim7__merge17predicate_wrapperIjjNSC_7greaterIjEEEEEE10hipError_tPvRmT0_T1_T2_T3_T4_T5_mmT6_P12ihipStream_tbEUlT_E0_NS1_11comp_targetILNS1_3genE10ELNS1_11target_archE1200ELNS1_3gpuE4ELNS1_3repE0EEENS1_30default_config_static_selectorELNS0_4arch9wavefront6targetE0EEEvS10_
                                        ; -- End function
	.set _ZN7rocprim17ROCPRIM_400000_NS6detail17trampoline_kernelINS0_14default_configENS1_21merge_config_selectorINS0_5tupleIJjjEEENS0_10empty_typeEEEZNS1_10merge_implIS3_NS0_12zip_iteratorINS5_IJN6thrust23THRUST_200600_302600_NS6detail15normal_iteratorINSC_10device_ptrIKjEEEESI_EEEEESK_NSA_INS5_IJNSE_INSF_IjEEEESM_EEEEEPS7_SP_SP_NSC_11hip_rocprim7__merge17predicate_wrapperIjjNSC_7greaterIjEEEEEE10hipError_tPvRmT0_T1_T2_T3_T4_T5_mmT6_P12ihipStream_tbEUlT_E0_NS1_11comp_targetILNS1_3genE10ELNS1_11target_archE1200ELNS1_3gpuE4ELNS1_3repE0EEENS1_30default_config_static_selectorELNS0_4arch9wavefront6targetE0EEEvS10_.num_vgpr, 0
	.set _ZN7rocprim17ROCPRIM_400000_NS6detail17trampoline_kernelINS0_14default_configENS1_21merge_config_selectorINS0_5tupleIJjjEEENS0_10empty_typeEEEZNS1_10merge_implIS3_NS0_12zip_iteratorINS5_IJN6thrust23THRUST_200600_302600_NS6detail15normal_iteratorINSC_10device_ptrIKjEEEESI_EEEEESK_NSA_INS5_IJNSE_INSF_IjEEEESM_EEEEEPS7_SP_SP_NSC_11hip_rocprim7__merge17predicate_wrapperIjjNSC_7greaterIjEEEEEE10hipError_tPvRmT0_T1_T2_T3_T4_T5_mmT6_P12ihipStream_tbEUlT_E0_NS1_11comp_targetILNS1_3genE10ELNS1_11target_archE1200ELNS1_3gpuE4ELNS1_3repE0EEENS1_30default_config_static_selectorELNS0_4arch9wavefront6targetE0EEEvS10_.num_agpr, 0
	.set _ZN7rocprim17ROCPRIM_400000_NS6detail17trampoline_kernelINS0_14default_configENS1_21merge_config_selectorINS0_5tupleIJjjEEENS0_10empty_typeEEEZNS1_10merge_implIS3_NS0_12zip_iteratorINS5_IJN6thrust23THRUST_200600_302600_NS6detail15normal_iteratorINSC_10device_ptrIKjEEEESI_EEEEESK_NSA_INS5_IJNSE_INSF_IjEEEESM_EEEEEPS7_SP_SP_NSC_11hip_rocprim7__merge17predicate_wrapperIjjNSC_7greaterIjEEEEEE10hipError_tPvRmT0_T1_T2_T3_T4_T5_mmT6_P12ihipStream_tbEUlT_E0_NS1_11comp_targetILNS1_3genE10ELNS1_11target_archE1200ELNS1_3gpuE4ELNS1_3repE0EEENS1_30default_config_static_selectorELNS0_4arch9wavefront6targetE0EEEvS10_.numbered_sgpr, 0
	.set _ZN7rocprim17ROCPRIM_400000_NS6detail17trampoline_kernelINS0_14default_configENS1_21merge_config_selectorINS0_5tupleIJjjEEENS0_10empty_typeEEEZNS1_10merge_implIS3_NS0_12zip_iteratorINS5_IJN6thrust23THRUST_200600_302600_NS6detail15normal_iteratorINSC_10device_ptrIKjEEEESI_EEEEESK_NSA_INS5_IJNSE_INSF_IjEEEESM_EEEEEPS7_SP_SP_NSC_11hip_rocprim7__merge17predicate_wrapperIjjNSC_7greaterIjEEEEEE10hipError_tPvRmT0_T1_T2_T3_T4_T5_mmT6_P12ihipStream_tbEUlT_E0_NS1_11comp_targetILNS1_3genE10ELNS1_11target_archE1200ELNS1_3gpuE4ELNS1_3repE0EEENS1_30default_config_static_selectorELNS0_4arch9wavefront6targetE0EEEvS10_.num_named_barrier, 0
	.set _ZN7rocprim17ROCPRIM_400000_NS6detail17trampoline_kernelINS0_14default_configENS1_21merge_config_selectorINS0_5tupleIJjjEEENS0_10empty_typeEEEZNS1_10merge_implIS3_NS0_12zip_iteratorINS5_IJN6thrust23THRUST_200600_302600_NS6detail15normal_iteratorINSC_10device_ptrIKjEEEESI_EEEEESK_NSA_INS5_IJNSE_INSF_IjEEEESM_EEEEEPS7_SP_SP_NSC_11hip_rocprim7__merge17predicate_wrapperIjjNSC_7greaterIjEEEEEE10hipError_tPvRmT0_T1_T2_T3_T4_T5_mmT6_P12ihipStream_tbEUlT_E0_NS1_11comp_targetILNS1_3genE10ELNS1_11target_archE1200ELNS1_3gpuE4ELNS1_3repE0EEENS1_30default_config_static_selectorELNS0_4arch9wavefront6targetE0EEEvS10_.private_seg_size, 0
	.set _ZN7rocprim17ROCPRIM_400000_NS6detail17trampoline_kernelINS0_14default_configENS1_21merge_config_selectorINS0_5tupleIJjjEEENS0_10empty_typeEEEZNS1_10merge_implIS3_NS0_12zip_iteratorINS5_IJN6thrust23THRUST_200600_302600_NS6detail15normal_iteratorINSC_10device_ptrIKjEEEESI_EEEEESK_NSA_INS5_IJNSE_INSF_IjEEEESM_EEEEEPS7_SP_SP_NSC_11hip_rocprim7__merge17predicate_wrapperIjjNSC_7greaterIjEEEEEE10hipError_tPvRmT0_T1_T2_T3_T4_T5_mmT6_P12ihipStream_tbEUlT_E0_NS1_11comp_targetILNS1_3genE10ELNS1_11target_archE1200ELNS1_3gpuE4ELNS1_3repE0EEENS1_30default_config_static_selectorELNS0_4arch9wavefront6targetE0EEEvS10_.uses_vcc, 0
	.set _ZN7rocprim17ROCPRIM_400000_NS6detail17trampoline_kernelINS0_14default_configENS1_21merge_config_selectorINS0_5tupleIJjjEEENS0_10empty_typeEEEZNS1_10merge_implIS3_NS0_12zip_iteratorINS5_IJN6thrust23THRUST_200600_302600_NS6detail15normal_iteratorINSC_10device_ptrIKjEEEESI_EEEEESK_NSA_INS5_IJNSE_INSF_IjEEEESM_EEEEEPS7_SP_SP_NSC_11hip_rocprim7__merge17predicate_wrapperIjjNSC_7greaterIjEEEEEE10hipError_tPvRmT0_T1_T2_T3_T4_T5_mmT6_P12ihipStream_tbEUlT_E0_NS1_11comp_targetILNS1_3genE10ELNS1_11target_archE1200ELNS1_3gpuE4ELNS1_3repE0EEENS1_30default_config_static_selectorELNS0_4arch9wavefront6targetE0EEEvS10_.uses_flat_scratch, 0
	.set _ZN7rocprim17ROCPRIM_400000_NS6detail17trampoline_kernelINS0_14default_configENS1_21merge_config_selectorINS0_5tupleIJjjEEENS0_10empty_typeEEEZNS1_10merge_implIS3_NS0_12zip_iteratorINS5_IJN6thrust23THRUST_200600_302600_NS6detail15normal_iteratorINSC_10device_ptrIKjEEEESI_EEEEESK_NSA_INS5_IJNSE_INSF_IjEEEESM_EEEEEPS7_SP_SP_NSC_11hip_rocprim7__merge17predicate_wrapperIjjNSC_7greaterIjEEEEEE10hipError_tPvRmT0_T1_T2_T3_T4_T5_mmT6_P12ihipStream_tbEUlT_E0_NS1_11comp_targetILNS1_3genE10ELNS1_11target_archE1200ELNS1_3gpuE4ELNS1_3repE0EEENS1_30default_config_static_selectorELNS0_4arch9wavefront6targetE0EEEvS10_.has_dyn_sized_stack, 0
	.set _ZN7rocprim17ROCPRIM_400000_NS6detail17trampoline_kernelINS0_14default_configENS1_21merge_config_selectorINS0_5tupleIJjjEEENS0_10empty_typeEEEZNS1_10merge_implIS3_NS0_12zip_iteratorINS5_IJN6thrust23THRUST_200600_302600_NS6detail15normal_iteratorINSC_10device_ptrIKjEEEESI_EEEEESK_NSA_INS5_IJNSE_INSF_IjEEEESM_EEEEEPS7_SP_SP_NSC_11hip_rocprim7__merge17predicate_wrapperIjjNSC_7greaterIjEEEEEE10hipError_tPvRmT0_T1_T2_T3_T4_T5_mmT6_P12ihipStream_tbEUlT_E0_NS1_11comp_targetILNS1_3genE10ELNS1_11target_archE1200ELNS1_3gpuE4ELNS1_3repE0EEENS1_30default_config_static_selectorELNS0_4arch9wavefront6targetE0EEEvS10_.has_recursion, 0
	.set _ZN7rocprim17ROCPRIM_400000_NS6detail17trampoline_kernelINS0_14default_configENS1_21merge_config_selectorINS0_5tupleIJjjEEENS0_10empty_typeEEEZNS1_10merge_implIS3_NS0_12zip_iteratorINS5_IJN6thrust23THRUST_200600_302600_NS6detail15normal_iteratorINSC_10device_ptrIKjEEEESI_EEEEESK_NSA_INS5_IJNSE_INSF_IjEEEESM_EEEEEPS7_SP_SP_NSC_11hip_rocprim7__merge17predicate_wrapperIjjNSC_7greaterIjEEEEEE10hipError_tPvRmT0_T1_T2_T3_T4_T5_mmT6_P12ihipStream_tbEUlT_E0_NS1_11comp_targetILNS1_3genE10ELNS1_11target_archE1200ELNS1_3gpuE4ELNS1_3repE0EEENS1_30default_config_static_selectorELNS0_4arch9wavefront6targetE0EEEvS10_.has_indirect_call, 0
	.section	.AMDGPU.csdata,"",@progbits
; Kernel info:
; codeLenInByte = 0
; TotalNumSgprs: 0
; NumVgprs: 0
; ScratchSize: 0
; MemoryBound: 0
; FloatMode: 240
; IeeeMode: 1
; LDSByteSize: 0 bytes/workgroup (compile time only)
; SGPRBlocks: 0
; VGPRBlocks: 0
; NumSGPRsForWavesPerEU: 1
; NumVGPRsForWavesPerEU: 1
; Occupancy: 16
; WaveLimiterHint : 0
; COMPUTE_PGM_RSRC2:SCRATCH_EN: 0
; COMPUTE_PGM_RSRC2:USER_SGPR: 6
; COMPUTE_PGM_RSRC2:TRAP_HANDLER: 0
; COMPUTE_PGM_RSRC2:TGID_X_EN: 1
; COMPUTE_PGM_RSRC2:TGID_Y_EN: 0
; COMPUTE_PGM_RSRC2:TGID_Z_EN: 0
; COMPUTE_PGM_RSRC2:TIDIG_COMP_CNT: 0
	.section	.text._ZN7rocprim17ROCPRIM_400000_NS6detail17trampoline_kernelINS0_14default_configENS1_21merge_config_selectorINS0_5tupleIJjjEEENS0_10empty_typeEEEZNS1_10merge_implIS3_NS0_12zip_iteratorINS5_IJN6thrust23THRUST_200600_302600_NS6detail15normal_iteratorINSC_10device_ptrIKjEEEESI_EEEEESK_NSA_INS5_IJNSE_INSF_IjEEEESM_EEEEEPS7_SP_SP_NSC_11hip_rocprim7__merge17predicate_wrapperIjjNSC_7greaterIjEEEEEE10hipError_tPvRmT0_T1_T2_T3_T4_T5_mmT6_P12ihipStream_tbEUlT_E0_NS1_11comp_targetILNS1_3genE9ELNS1_11target_archE1100ELNS1_3gpuE3ELNS1_3repE0EEENS1_30default_config_static_selectorELNS0_4arch9wavefront6targetE0EEEvS10_,"axG",@progbits,_ZN7rocprim17ROCPRIM_400000_NS6detail17trampoline_kernelINS0_14default_configENS1_21merge_config_selectorINS0_5tupleIJjjEEENS0_10empty_typeEEEZNS1_10merge_implIS3_NS0_12zip_iteratorINS5_IJN6thrust23THRUST_200600_302600_NS6detail15normal_iteratorINSC_10device_ptrIKjEEEESI_EEEEESK_NSA_INS5_IJNSE_INSF_IjEEEESM_EEEEEPS7_SP_SP_NSC_11hip_rocprim7__merge17predicate_wrapperIjjNSC_7greaterIjEEEEEE10hipError_tPvRmT0_T1_T2_T3_T4_T5_mmT6_P12ihipStream_tbEUlT_E0_NS1_11comp_targetILNS1_3genE9ELNS1_11target_archE1100ELNS1_3gpuE3ELNS1_3repE0EEENS1_30default_config_static_selectorELNS0_4arch9wavefront6targetE0EEEvS10_,comdat
	.protected	_ZN7rocprim17ROCPRIM_400000_NS6detail17trampoline_kernelINS0_14default_configENS1_21merge_config_selectorINS0_5tupleIJjjEEENS0_10empty_typeEEEZNS1_10merge_implIS3_NS0_12zip_iteratorINS5_IJN6thrust23THRUST_200600_302600_NS6detail15normal_iteratorINSC_10device_ptrIKjEEEESI_EEEEESK_NSA_INS5_IJNSE_INSF_IjEEEESM_EEEEEPS7_SP_SP_NSC_11hip_rocprim7__merge17predicate_wrapperIjjNSC_7greaterIjEEEEEE10hipError_tPvRmT0_T1_T2_T3_T4_T5_mmT6_P12ihipStream_tbEUlT_E0_NS1_11comp_targetILNS1_3genE9ELNS1_11target_archE1100ELNS1_3gpuE3ELNS1_3repE0EEENS1_30default_config_static_selectorELNS0_4arch9wavefront6targetE0EEEvS10_ ; -- Begin function _ZN7rocprim17ROCPRIM_400000_NS6detail17trampoline_kernelINS0_14default_configENS1_21merge_config_selectorINS0_5tupleIJjjEEENS0_10empty_typeEEEZNS1_10merge_implIS3_NS0_12zip_iteratorINS5_IJN6thrust23THRUST_200600_302600_NS6detail15normal_iteratorINSC_10device_ptrIKjEEEESI_EEEEESK_NSA_INS5_IJNSE_INSF_IjEEEESM_EEEEEPS7_SP_SP_NSC_11hip_rocprim7__merge17predicate_wrapperIjjNSC_7greaterIjEEEEEE10hipError_tPvRmT0_T1_T2_T3_T4_T5_mmT6_P12ihipStream_tbEUlT_E0_NS1_11comp_targetILNS1_3genE9ELNS1_11target_archE1100ELNS1_3gpuE3ELNS1_3repE0EEENS1_30default_config_static_selectorELNS0_4arch9wavefront6targetE0EEEvS10_
	.globl	_ZN7rocprim17ROCPRIM_400000_NS6detail17trampoline_kernelINS0_14default_configENS1_21merge_config_selectorINS0_5tupleIJjjEEENS0_10empty_typeEEEZNS1_10merge_implIS3_NS0_12zip_iteratorINS5_IJN6thrust23THRUST_200600_302600_NS6detail15normal_iteratorINSC_10device_ptrIKjEEEESI_EEEEESK_NSA_INS5_IJNSE_INSF_IjEEEESM_EEEEEPS7_SP_SP_NSC_11hip_rocprim7__merge17predicate_wrapperIjjNSC_7greaterIjEEEEEE10hipError_tPvRmT0_T1_T2_T3_T4_T5_mmT6_P12ihipStream_tbEUlT_E0_NS1_11comp_targetILNS1_3genE9ELNS1_11target_archE1100ELNS1_3gpuE3ELNS1_3repE0EEENS1_30default_config_static_selectorELNS0_4arch9wavefront6targetE0EEEvS10_
	.p2align	8
	.type	_ZN7rocprim17ROCPRIM_400000_NS6detail17trampoline_kernelINS0_14default_configENS1_21merge_config_selectorINS0_5tupleIJjjEEENS0_10empty_typeEEEZNS1_10merge_implIS3_NS0_12zip_iteratorINS5_IJN6thrust23THRUST_200600_302600_NS6detail15normal_iteratorINSC_10device_ptrIKjEEEESI_EEEEESK_NSA_INS5_IJNSE_INSF_IjEEEESM_EEEEEPS7_SP_SP_NSC_11hip_rocprim7__merge17predicate_wrapperIjjNSC_7greaterIjEEEEEE10hipError_tPvRmT0_T1_T2_T3_T4_T5_mmT6_P12ihipStream_tbEUlT_E0_NS1_11comp_targetILNS1_3genE9ELNS1_11target_archE1100ELNS1_3gpuE3ELNS1_3repE0EEENS1_30default_config_static_selectorELNS0_4arch9wavefront6targetE0EEEvS10_,@function
_ZN7rocprim17ROCPRIM_400000_NS6detail17trampoline_kernelINS0_14default_configENS1_21merge_config_selectorINS0_5tupleIJjjEEENS0_10empty_typeEEEZNS1_10merge_implIS3_NS0_12zip_iteratorINS5_IJN6thrust23THRUST_200600_302600_NS6detail15normal_iteratorINSC_10device_ptrIKjEEEESI_EEEEESK_NSA_INS5_IJNSE_INSF_IjEEEESM_EEEEEPS7_SP_SP_NSC_11hip_rocprim7__merge17predicate_wrapperIjjNSC_7greaterIjEEEEEE10hipError_tPvRmT0_T1_T2_T3_T4_T5_mmT6_P12ihipStream_tbEUlT_E0_NS1_11comp_targetILNS1_3genE9ELNS1_11target_archE1100ELNS1_3gpuE3ELNS1_3repE0EEENS1_30default_config_static_selectorELNS0_4arch9wavefront6targetE0EEEvS10_: ; @_ZN7rocprim17ROCPRIM_400000_NS6detail17trampoline_kernelINS0_14default_configENS1_21merge_config_selectorINS0_5tupleIJjjEEENS0_10empty_typeEEEZNS1_10merge_implIS3_NS0_12zip_iteratorINS5_IJN6thrust23THRUST_200600_302600_NS6detail15normal_iteratorINSC_10device_ptrIKjEEEESI_EEEEESK_NSA_INS5_IJNSE_INSF_IjEEEESM_EEEEEPS7_SP_SP_NSC_11hip_rocprim7__merge17predicate_wrapperIjjNSC_7greaterIjEEEEEE10hipError_tPvRmT0_T1_T2_T3_T4_T5_mmT6_P12ihipStream_tbEUlT_E0_NS1_11comp_targetILNS1_3genE9ELNS1_11target_archE1100ELNS1_3gpuE3ELNS1_3repE0EEENS1_30default_config_static_selectorELNS0_4arch9wavefront6targetE0EEEvS10_
; %bb.0:
	.section	.rodata,"a",@progbits
	.p2align	6, 0x0
	.amdhsa_kernel _ZN7rocprim17ROCPRIM_400000_NS6detail17trampoline_kernelINS0_14default_configENS1_21merge_config_selectorINS0_5tupleIJjjEEENS0_10empty_typeEEEZNS1_10merge_implIS3_NS0_12zip_iteratorINS5_IJN6thrust23THRUST_200600_302600_NS6detail15normal_iteratorINSC_10device_ptrIKjEEEESI_EEEEESK_NSA_INS5_IJNSE_INSF_IjEEEESM_EEEEEPS7_SP_SP_NSC_11hip_rocprim7__merge17predicate_wrapperIjjNSC_7greaterIjEEEEEE10hipError_tPvRmT0_T1_T2_T3_T4_T5_mmT6_P12ihipStream_tbEUlT_E0_NS1_11comp_targetILNS1_3genE9ELNS1_11target_archE1100ELNS1_3gpuE3ELNS1_3repE0EEENS1_30default_config_static_selectorELNS0_4arch9wavefront6targetE0EEEvS10_
		.amdhsa_group_segment_fixed_size 0
		.amdhsa_private_segment_fixed_size 0
		.amdhsa_kernarg_size 112
		.amdhsa_user_sgpr_count 6
		.amdhsa_user_sgpr_private_segment_buffer 1
		.amdhsa_user_sgpr_dispatch_ptr 0
		.amdhsa_user_sgpr_queue_ptr 0
		.amdhsa_user_sgpr_kernarg_segment_ptr 1
		.amdhsa_user_sgpr_dispatch_id 0
		.amdhsa_user_sgpr_flat_scratch_init 0
		.amdhsa_user_sgpr_private_segment_size 0
		.amdhsa_wavefront_size32 1
		.amdhsa_uses_dynamic_stack 0
		.amdhsa_system_sgpr_private_segment_wavefront_offset 0
		.amdhsa_system_sgpr_workgroup_id_x 1
		.amdhsa_system_sgpr_workgroup_id_y 0
		.amdhsa_system_sgpr_workgroup_id_z 0
		.amdhsa_system_sgpr_workgroup_info 0
		.amdhsa_system_vgpr_workitem_id 0
		.amdhsa_next_free_vgpr 1
		.amdhsa_next_free_sgpr 1
		.amdhsa_reserve_vcc 0
		.amdhsa_reserve_flat_scratch 0
		.amdhsa_float_round_mode_32 0
		.amdhsa_float_round_mode_16_64 0
		.amdhsa_float_denorm_mode_32 3
		.amdhsa_float_denorm_mode_16_64 3
		.amdhsa_dx10_clamp 1
		.amdhsa_ieee_mode 1
		.amdhsa_fp16_overflow 0
		.amdhsa_workgroup_processor_mode 1
		.amdhsa_memory_ordered 1
		.amdhsa_forward_progress 1
		.amdhsa_shared_vgpr_count 0
		.amdhsa_exception_fp_ieee_invalid_op 0
		.amdhsa_exception_fp_denorm_src 0
		.amdhsa_exception_fp_ieee_div_zero 0
		.amdhsa_exception_fp_ieee_overflow 0
		.amdhsa_exception_fp_ieee_underflow 0
		.amdhsa_exception_fp_ieee_inexact 0
		.amdhsa_exception_int_div_zero 0
	.end_amdhsa_kernel
	.section	.text._ZN7rocprim17ROCPRIM_400000_NS6detail17trampoline_kernelINS0_14default_configENS1_21merge_config_selectorINS0_5tupleIJjjEEENS0_10empty_typeEEEZNS1_10merge_implIS3_NS0_12zip_iteratorINS5_IJN6thrust23THRUST_200600_302600_NS6detail15normal_iteratorINSC_10device_ptrIKjEEEESI_EEEEESK_NSA_INS5_IJNSE_INSF_IjEEEESM_EEEEEPS7_SP_SP_NSC_11hip_rocprim7__merge17predicate_wrapperIjjNSC_7greaterIjEEEEEE10hipError_tPvRmT0_T1_T2_T3_T4_T5_mmT6_P12ihipStream_tbEUlT_E0_NS1_11comp_targetILNS1_3genE9ELNS1_11target_archE1100ELNS1_3gpuE3ELNS1_3repE0EEENS1_30default_config_static_selectorELNS0_4arch9wavefront6targetE0EEEvS10_,"axG",@progbits,_ZN7rocprim17ROCPRIM_400000_NS6detail17trampoline_kernelINS0_14default_configENS1_21merge_config_selectorINS0_5tupleIJjjEEENS0_10empty_typeEEEZNS1_10merge_implIS3_NS0_12zip_iteratorINS5_IJN6thrust23THRUST_200600_302600_NS6detail15normal_iteratorINSC_10device_ptrIKjEEEESI_EEEEESK_NSA_INS5_IJNSE_INSF_IjEEEESM_EEEEEPS7_SP_SP_NSC_11hip_rocprim7__merge17predicate_wrapperIjjNSC_7greaterIjEEEEEE10hipError_tPvRmT0_T1_T2_T3_T4_T5_mmT6_P12ihipStream_tbEUlT_E0_NS1_11comp_targetILNS1_3genE9ELNS1_11target_archE1100ELNS1_3gpuE3ELNS1_3repE0EEENS1_30default_config_static_selectorELNS0_4arch9wavefront6targetE0EEEvS10_,comdat
.Lfunc_end387:
	.size	_ZN7rocprim17ROCPRIM_400000_NS6detail17trampoline_kernelINS0_14default_configENS1_21merge_config_selectorINS0_5tupleIJjjEEENS0_10empty_typeEEEZNS1_10merge_implIS3_NS0_12zip_iteratorINS5_IJN6thrust23THRUST_200600_302600_NS6detail15normal_iteratorINSC_10device_ptrIKjEEEESI_EEEEESK_NSA_INS5_IJNSE_INSF_IjEEEESM_EEEEEPS7_SP_SP_NSC_11hip_rocprim7__merge17predicate_wrapperIjjNSC_7greaterIjEEEEEE10hipError_tPvRmT0_T1_T2_T3_T4_T5_mmT6_P12ihipStream_tbEUlT_E0_NS1_11comp_targetILNS1_3genE9ELNS1_11target_archE1100ELNS1_3gpuE3ELNS1_3repE0EEENS1_30default_config_static_selectorELNS0_4arch9wavefront6targetE0EEEvS10_, .Lfunc_end387-_ZN7rocprim17ROCPRIM_400000_NS6detail17trampoline_kernelINS0_14default_configENS1_21merge_config_selectorINS0_5tupleIJjjEEENS0_10empty_typeEEEZNS1_10merge_implIS3_NS0_12zip_iteratorINS5_IJN6thrust23THRUST_200600_302600_NS6detail15normal_iteratorINSC_10device_ptrIKjEEEESI_EEEEESK_NSA_INS5_IJNSE_INSF_IjEEEESM_EEEEEPS7_SP_SP_NSC_11hip_rocprim7__merge17predicate_wrapperIjjNSC_7greaterIjEEEEEE10hipError_tPvRmT0_T1_T2_T3_T4_T5_mmT6_P12ihipStream_tbEUlT_E0_NS1_11comp_targetILNS1_3genE9ELNS1_11target_archE1100ELNS1_3gpuE3ELNS1_3repE0EEENS1_30default_config_static_selectorELNS0_4arch9wavefront6targetE0EEEvS10_
                                        ; -- End function
	.set _ZN7rocprim17ROCPRIM_400000_NS6detail17trampoline_kernelINS0_14default_configENS1_21merge_config_selectorINS0_5tupleIJjjEEENS0_10empty_typeEEEZNS1_10merge_implIS3_NS0_12zip_iteratorINS5_IJN6thrust23THRUST_200600_302600_NS6detail15normal_iteratorINSC_10device_ptrIKjEEEESI_EEEEESK_NSA_INS5_IJNSE_INSF_IjEEEESM_EEEEEPS7_SP_SP_NSC_11hip_rocprim7__merge17predicate_wrapperIjjNSC_7greaterIjEEEEEE10hipError_tPvRmT0_T1_T2_T3_T4_T5_mmT6_P12ihipStream_tbEUlT_E0_NS1_11comp_targetILNS1_3genE9ELNS1_11target_archE1100ELNS1_3gpuE3ELNS1_3repE0EEENS1_30default_config_static_selectorELNS0_4arch9wavefront6targetE0EEEvS10_.num_vgpr, 0
	.set _ZN7rocprim17ROCPRIM_400000_NS6detail17trampoline_kernelINS0_14default_configENS1_21merge_config_selectorINS0_5tupleIJjjEEENS0_10empty_typeEEEZNS1_10merge_implIS3_NS0_12zip_iteratorINS5_IJN6thrust23THRUST_200600_302600_NS6detail15normal_iteratorINSC_10device_ptrIKjEEEESI_EEEEESK_NSA_INS5_IJNSE_INSF_IjEEEESM_EEEEEPS7_SP_SP_NSC_11hip_rocprim7__merge17predicate_wrapperIjjNSC_7greaterIjEEEEEE10hipError_tPvRmT0_T1_T2_T3_T4_T5_mmT6_P12ihipStream_tbEUlT_E0_NS1_11comp_targetILNS1_3genE9ELNS1_11target_archE1100ELNS1_3gpuE3ELNS1_3repE0EEENS1_30default_config_static_selectorELNS0_4arch9wavefront6targetE0EEEvS10_.num_agpr, 0
	.set _ZN7rocprim17ROCPRIM_400000_NS6detail17trampoline_kernelINS0_14default_configENS1_21merge_config_selectorINS0_5tupleIJjjEEENS0_10empty_typeEEEZNS1_10merge_implIS3_NS0_12zip_iteratorINS5_IJN6thrust23THRUST_200600_302600_NS6detail15normal_iteratorINSC_10device_ptrIKjEEEESI_EEEEESK_NSA_INS5_IJNSE_INSF_IjEEEESM_EEEEEPS7_SP_SP_NSC_11hip_rocprim7__merge17predicate_wrapperIjjNSC_7greaterIjEEEEEE10hipError_tPvRmT0_T1_T2_T3_T4_T5_mmT6_P12ihipStream_tbEUlT_E0_NS1_11comp_targetILNS1_3genE9ELNS1_11target_archE1100ELNS1_3gpuE3ELNS1_3repE0EEENS1_30default_config_static_selectorELNS0_4arch9wavefront6targetE0EEEvS10_.numbered_sgpr, 0
	.set _ZN7rocprim17ROCPRIM_400000_NS6detail17trampoline_kernelINS0_14default_configENS1_21merge_config_selectorINS0_5tupleIJjjEEENS0_10empty_typeEEEZNS1_10merge_implIS3_NS0_12zip_iteratorINS5_IJN6thrust23THRUST_200600_302600_NS6detail15normal_iteratorINSC_10device_ptrIKjEEEESI_EEEEESK_NSA_INS5_IJNSE_INSF_IjEEEESM_EEEEEPS7_SP_SP_NSC_11hip_rocprim7__merge17predicate_wrapperIjjNSC_7greaterIjEEEEEE10hipError_tPvRmT0_T1_T2_T3_T4_T5_mmT6_P12ihipStream_tbEUlT_E0_NS1_11comp_targetILNS1_3genE9ELNS1_11target_archE1100ELNS1_3gpuE3ELNS1_3repE0EEENS1_30default_config_static_selectorELNS0_4arch9wavefront6targetE0EEEvS10_.num_named_barrier, 0
	.set _ZN7rocprim17ROCPRIM_400000_NS6detail17trampoline_kernelINS0_14default_configENS1_21merge_config_selectorINS0_5tupleIJjjEEENS0_10empty_typeEEEZNS1_10merge_implIS3_NS0_12zip_iteratorINS5_IJN6thrust23THRUST_200600_302600_NS6detail15normal_iteratorINSC_10device_ptrIKjEEEESI_EEEEESK_NSA_INS5_IJNSE_INSF_IjEEEESM_EEEEEPS7_SP_SP_NSC_11hip_rocprim7__merge17predicate_wrapperIjjNSC_7greaterIjEEEEEE10hipError_tPvRmT0_T1_T2_T3_T4_T5_mmT6_P12ihipStream_tbEUlT_E0_NS1_11comp_targetILNS1_3genE9ELNS1_11target_archE1100ELNS1_3gpuE3ELNS1_3repE0EEENS1_30default_config_static_selectorELNS0_4arch9wavefront6targetE0EEEvS10_.private_seg_size, 0
	.set _ZN7rocprim17ROCPRIM_400000_NS6detail17trampoline_kernelINS0_14default_configENS1_21merge_config_selectorINS0_5tupleIJjjEEENS0_10empty_typeEEEZNS1_10merge_implIS3_NS0_12zip_iteratorINS5_IJN6thrust23THRUST_200600_302600_NS6detail15normal_iteratorINSC_10device_ptrIKjEEEESI_EEEEESK_NSA_INS5_IJNSE_INSF_IjEEEESM_EEEEEPS7_SP_SP_NSC_11hip_rocprim7__merge17predicate_wrapperIjjNSC_7greaterIjEEEEEE10hipError_tPvRmT0_T1_T2_T3_T4_T5_mmT6_P12ihipStream_tbEUlT_E0_NS1_11comp_targetILNS1_3genE9ELNS1_11target_archE1100ELNS1_3gpuE3ELNS1_3repE0EEENS1_30default_config_static_selectorELNS0_4arch9wavefront6targetE0EEEvS10_.uses_vcc, 0
	.set _ZN7rocprim17ROCPRIM_400000_NS6detail17trampoline_kernelINS0_14default_configENS1_21merge_config_selectorINS0_5tupleIJjjEEENS0_10empty_typeEEEZNS1_10merge_implIS3_NS0_12zip_iteratorINS5_IJN6thrust23THRUST_200600_302600_NS6detail15normal_iteratorINSC_10device_ptrIKjEEEESI_EEEEESK_NSA_INS5_IJNSE_INSF_IjEEEESM_EEEEEPS7_SP_SP_NSC_11hip_rocprim7__merge17predicate_wrapperIjjNSC_7greaterIjEEEEEE10hipError_tPvRmT0_T1_T2_T3_T4_T5_mmT6_P12ihipStream_tbEUlT_E0_NS1_11comp_targetILNS1_3genE9ELNS1_11target_archE1100ELNS1_3gpuE3ELNS1_3repE0EEENS1_30default_config_static_selectorELNS0_4arch9wavefront6targetE0EEEvS10_.uses_flat_scratch, 0
	.set _ZN7rocprim17ROCPRIM_400000_NS6detail17trampoline_kernelINS0_14default_configENS1_21merge_config_selectorINS0_5tupleIJjjEEENS0_10empty_typeEEEZNS1_10merge_implIS3_NS0_12zip_iteratorINS5_IJN6thrust23THRUST_200600_302600_NS6detail15normal_iteratorINSC_10device_ptrIKjEEEESI_EEEEESK_NSA_INS5_IJNSE_INSF_IjEEEESM_EEEEEPS7_SP_SP_NSC_11hip_rocprim7__merge17predicate_wrapperIjjNSC_7greaterIjEEEEEE10hipError_tPvRmT0_T1_T2_T3_T4_T5_mmT6_P12ihipStream_tbEUlT_E0_NS1_11comp_targetILNS1_3genE9ELNS1_11target_archE1100ELNS1_3gpuE3ELNS1_3repE0EEENS1_30default_config_static_selectorELNS0_4arch9wavefront6targetE0EEEvS10_.has_dyn_sized_stack, 0
	.set _ZN7rocprim17ROCPRIM_400000_NS6detail17trampoline_kernelINS0_14default_configENS1_21merge_config_selectorINS0_5tupleIJjjEEENS0_10empty_typeEEEZNS1_10merge_implIS3_NS0_12zip_iteratorINS5_IJN6thrust23THRUST_200600_302600_NS6detail15normal_iteratorINSC_10device_ptrIKjEEEESI_EEEEESK_NSA_INS5_IJNSE_INSF_IjEEEESM_EEEEEPS7_SP_SP_NSC_11hip_rocprim7__merge17predicate_wrapperIjjNSC_7greaterIjEEEEEE10hipError_tPvRmT0_T1_T2_T3_T4_T5_mmT6_P12ihipStream_tbEUlT_E0_NS1_11comp_targetILNS1_3genE9ELNS1_11target_archE1100ELNS1_3gpuE3ELNS1_3repE0EEENS1_30default_config_static_selectorELNS0_4arch9wavefront6targetE0EEEvS10_.has_recursion, 0
	.set _ZN7rocprim17ROCPRIM_400000_NS6detail17trampoline_kernelINS0_14default_configENS1_21merge_config_selectorINS0_5tupleIJjjEEENS0_10empty_typeEEEZNS1_10merge_implIS3_NS0_12zip_iteratorINS5_IJN6thrust23THRUST_200600_302600_NS6detail15normal_iteratorINSC_10device_ptrIKjEEEESI_EEEEESK_NSA_INS5_IJNSE_INSF_IjEEEESM_EEEEEPS7_SP_SP_NSC_11hip_rocprim7__merge17predicate_wrapperIjjNSC_7greaterIjEEEEEE10hipError_tPvRmT0_T1_T2_T3_T4_T5_mmT6_P12ihipStream_tbEUlT_E0_NS1_11comp_targetILNS1_3genE9ELNS1_11target_archE1100ELNS1_3gpuE3ELNS1_3repE0EEENS1_30default_config_static_selectorELNS0_4arch9wavefront6targetE0EEEvS10_.has_indirect_call, 0
	.section	.AMDGPU.csdata,"",@progbits
; Kernel info:
; codeLenInByte = 0
; TotalNumSgprs: 0
; NumVgprs: 0
; ScratchSize: 0
; MemoryBound: 0
; FloatMode: 240
; IeeeMode: 1
; LDSByteSize: 0 bytes/workgroup (compile time only)
; SGPRBlocks: 0
; VGPRBlocks: 0
; NumSGPRsForWavesPerEU: 1
; NumVGPRsForWavesPerEU: 1
; Occupancy: 16
; WaveLimiterHint : 0
; COMPUTE_PGM_RSRC2:SCRATCH_EN: 0
; COMPUTE_PGM_RSRC2:USER_SGPR: 6
; COMPUTE_PGM_RSRC2:TRAP_HANDLER: 0
; COMPUTE_PGM_RSRC2:TGID_X_EN: 1
; COMPUTE_PGM_RSRC2:TGID_Y_EN: 0
; COMPUTE_PGM_RSRC2:TGID_Z_EN: 0
; COMPUTE_PGM_RSRC2:TIDIG_COMP_CNT: 0
	.section	.text._ZN7rocprim17ROCPRIM_400000_NS6detail17trampoline_kernelINS0_14default_configENS1_21merge_config_selectorINS0_5tupleIJjjEEENS0_10empty_typeEEEZNS1_10merge_implIS3_NS0_12zip_iteratorINS5_IJN6thrust23THRUST_200600_302600_NS6detail15normal_iteratorINSC_10device_ptrIKjEEEESI_EEEEESK_NSA_INS5_IJNSE_INSF_IjEEEESM_EEEEEPS7_SP_SP_NSC_11hip_rocprim7__merge17predicate_wrapperIjjNSC_7greaterIjEEEEEE10hipError_tPvRmT0_T1_T2_T3_T4_T5_mmT6_P12ihipStream_tbEUlT_E0_NS1_11comp_targetILNS1_3genE8ELNS1_11target_archE1030ELNS1_3gpuE2ELNS1_3repE0EEENS1_30default_config_static_selectorELNS0_4arch9wavefront6targetE0EEEvS10_,"axG",@progbits,_ZN7rocprim17ROCPRIM_400000_NS6detail17trampoline_kernelINS0_14default_configENS1_21merge_config_selectorINS0_5tupleIJjjEEENS0_10empty_typeEEEZNS1_10merge_implIS3_NS0_12zip_iteratorINS5_IJN6thrust23THRUST_200600_302600_NS6detail15normal_iteratorINSC_10device_ptrIKjEEEESI_EEEEESK_NSA_INS5_IJNSE_INSF_IjEEEESM_EEEEEPS7_SP_SP_NSC_11hip_rocprim7__merge17predicate_wrapperIjjNSC_7greaterIjEEEEEE10hipError_tPvRmT0_T1_T2_T3_T4_T5_mmT6_P12ihipStream_tbEUlT_E0_NS1_11comp_targetILNS1_3genE8ELNS1_11target_archE1030ELNS1_3gpuE2ELNS1_3repE0EEENS1_30default_config_static_selectorELNS0_4arch9wavefront6targetE0EEEvS10_,comdat
	.protected	_ZN7rocprim17ROCPRIM_400000_NS6detail17trampoline_kernelINS0_14default_configENS1_21merge_config_selectorINS0_5tupleIJjjEEENS0_10empty_typeEEEZNS1_10merge_implIS3_NS0_12zip_iteratorINS5_IJN6thrust23THRUST_200600_302600_NS6detail15normal_iteratorINSC_10device_ptrIKjEEEESI_EEEEESK_NSA_INS5_IJNSE_INSF_IjEEEESM_EEEEEPS7_SP_SP_NSC_11hip_rocprim7__merge17predicate_wrapperIjjNSC_7greaterIjEEEEEE10hipError_tPvRmT0_T1_T2_T3_T4_T5_mmT6_P12ihipStream_tbEUlT_E0_NS1_11comp_targetILNS1_3genE8ELNS1_11target_archE1030ELNS1_3gpuE2ELNS1_3repE0EEENS1_30default_config_static_selectorELNS0_4arch9wavefront6targetE0EEEvS10_ ; -- Begin function _ZN7rocprim17ROCPRIM_400000_NS6detail17trampoline_kernelINS0_14default_configENS1_21merge_config_selectorINS0_5tupleIJjjEEENS0_10empty_typeEEEZNS1_10merge_implIS3_NS0_12zip_iteratorINS5_IJN6thrust23THRUST_200600_302600_NS6detail15normal_iteratorINSC_10device_ptrIKjEEEESI_EEEEESK_NSA_INS5_IJNSE_INSF_IjEEEESM_EEEEEPS7_SP_SP_NSC_11hip_rocprim7__merge17predicate_wrapperIjjNSC_7greaterIjEEEEEE10hipError_tPvRmT0_T1_T2_T3_T4_T5_mmT6_P12ihipStream_tbEUlT_E0_NS1_11comp_targetILNS1_3genE8ELNS1_11target_archE1030ELNS1_3gpuE2ELNS1_3repE0EEENS1_30default_config_static_selectorELNS0_4arch9wavefront6targetE0EEEvS10_
	.globl	_ZN7rocprim17ROCPRIM_400000_NS6detail17trampoline_kernelINS0_14default_configENS1_21merge_config_selectorINS0_5tupleIJjjEEENS0_10empty_typeEEEZNS1_10merge_implIS3_NS0_12zip_iteratorINS5_IJN6thrust23THRUST_200600_302600_NS6detail15normal_iteratorINSC_10device_ptrIKjEEEESI_EEEEESK_NSA_INS5_IJNSE_INSF_IjEEEESM_EEEEEPS7_SP_SP_NSC_11hip_rocprim7__merge17predicate_wrapperIjjNSC_7greaterIjEEEEEE10hipError_tPvRmT0_T1_T2_T3_T4_T5_mmT6_P12ihipStream_tbEUlT_E0_NS1_11comp_targetILNS1_3genE8ELNS1_11target_archE1030ELNS1_3gpuE2ELNS1_3repE0EEENS1_30default_config_static_selectorELNS0_4arch9wavefront6targetE0EEEvS10_
	.p2align	8
	.type	_ZN7rocprim17ROCPRIM_400000_NS6detail17trampoline_kernelINS0_14default_configENS1_21merge_config_selectorINS0_5tupleIJjjEEENS0_10empty_typeEEEZNS1_10merge_implIS3_NS0_12zip_iteratorINS5_IJN6thrust23THRUST_200600_302600_NS6detail15normal_iteratorINSC_10device_ptrIKjEEEESI_EEEEESK_NSA_INS5_IJNSE_INSF_IjEEEESM_EEEEEPS7_SP_SP_NSC_11hip_rocprim7__merge17predicate_wrapperIjjNSC_7greaterIjEEEEEE10hipError_tPvRmT0_T1_T2_T3_T4_T5_mmT6_P12ihipStream_tbEUlT_E0_NS1_11comp_targetILNS1_3genE8ELNS1_11target_archE1030ELNS1_3gpuE2ELNS1_3repE0EEENS1_30default_config_static_selectorELNS0_4arch9wavefront6targetE0EEEvS10_,@function
_ZN7rocprim17ROCPRIM_400000_NS6detail17trampoline_kernelINS0_14default_configENS1_21merge_config_selectorINS0_5tupleIJjjEEENS0_10empty_typeEEEZNS1_10merge_implIS3_NS0_12zip_iteratorINS5_IJN6thrust23THRUST_200600_302600_NS6detail15normal_iteratorINSC_10device_ptrIKjEEEESI_EEEEESK_NSA_INS5_IJNSE_INSF_IjEEEESM_EEEEEPS7_SP_SP_NSC_11hip_rocprim7__merge17predicate_wrapperIjjNSC_7greaterIjEEEEEE10hipError_tPvRmT0_T1_T2_T3_T4_T5_mmT6_P12ihipStream_tbEUlT_E0_NS1_11comp_targetILNS1_3genE8ELNS1_11target_archE1030ELNS1_3gpuE2ELNS1_3repE0EEENS1_30default_config_static_selectorELNS0_4arch9wavefront6targetE0EEEvS10_: ; @_ZN7rocprim17ROCPRIM_400000_NS6detail17trampoline_kernelINS0_14default_configENS1_21merge_config_selectorINS0_5tupleIJjjEEENS0_10empty_typeEEEZNS1_10merge_implIS3_NS0_12zip_iteratorINS5_IJN6thrust23THRUST_200600_302600_NS6detail15normal_iteratorINSC_10device_ptrIKjEEEESI_EEEEESK_NSA_INS5_IJNSE_INSF_IjEEEESM_EEEEEPS7_SP_SP_NSC_11hip_rocprim7__merge17predicate_wrapperIjjNSC_7greaterIjEEEEEE10hipError_tPvRmT0_T1_T2_T3_T4_T5_mmT6_P12ihipStream_tbEUlT_E0_NS1_11comp_targetILNS1_3genE8ELNS1_11target_archE1030ELNS1_3gpuE2ELNS1_3repE0EEENS1_30default_config_static_selectorELNS0_4arch9wavefront6targetE0EEEvS10_
; %bb.0:
	s_clause 0x2
	s_load_dwordx4 s[0:3], s[4:5], 0x58
	s_load_dwordx8 s[8:15], s[4:5], 0x8
	s_load_dwordx4 s[16:19], s[4:5], 0x28
	s_lshl_b32 s20, s6, 12
	s_mov_b32 s25, 0
	v_mov_b32_e32 v1, 0
	s_mov_b32 s27, s25
	s_waitcnt lgkmcnt(0)
	s_add_i32 s22, s2, s0
	s_add_i32 s0, s22, 0xfff
	s_lshr_b32 s0, s0, 12
	s_min_u32 s1, s6, s0
	s_lshl_b32 s1, s1, 2
	s_load_dword s24, s[8:9], s1 offset:0x0
	s_add_i32 s1, s6, 1
	s_min_u32 s0, s1, s0
	s_lshl_b32 s0, s0, 2
	s_load_dword s21, s[8:9], s0 offset:0x0
	s_add_i32 s0, s20, 0x1000
	s_min_u32 s23, s22, s0
	s_waitcnt lgkmcnt(0)
	s_lshl_b64 s[2:3], s[24:25], 2
	s_sub_i32 s26, s20, s24
	s_add_u32 s0, s10, s2
	s_addc_u32 s1, s11, s3
	s_add_u32 s2, s12, s2
	s_addc_u32 s3, s13, s3
	s_lshl_b64 s[8:9], s[26:27], 2
	s_mov_b32 s13, exec_lo
	s_add_u32 s6, s14, s8
	s_addc_u32 s7, s15, s9
	s_add_u32 s8, s16, s8
	s_addc_u32 s9, s17, s9
	s_add_i32 s10, s26, s21
	s_sub_i32 s15, s21, s24
	s_sub_i32 s12, s23, s10
	s_add_u32 s10, s12, s15
	s_addc_u32 s11, 0, 0
	v_cmpx_le_u32_e64 s15, v0
	s_xor_b32 s13, exec_lo, s13
	s_cbranch_execz .LBB388_4
; %bb.1:
	s_mov_b32 s14, exec_lo
	v_cmpx_gt_u64_e64 s[10:11], v[0:1]
	s_cbranch_execz .LBB388_3
; %bb.2:
	v_subrev_nc_u32_e32 v1, s15, v0
	v_lshlrev_b32_e32 v3, 3, v0
	v_lshlrev_b32_e32 v2, 2, v1
	s_clause 0x1
	global_load_dword v1, v2, s[6:7]
	global_load_dword v2, v2, s[8:9]
	s_waitcnt vmcnt(0)
	ds_write_b64 v3, v[1:2]
.LBB388_3:
	s_or_b32 exec_lo, exec_lo, s14
.LBB388_4:
	s_or_saveexec_b32 s13, s13
	v_lshlrev_b32_e32 v50, 2, v0
	v_lshlrev_b32_e32 v51, 3, v0
	s_xor_b32 exec_lo, exec_lo, s13
	s_cbranch_execz .LBB388_6
; %bb.5:
	s_clause 0x1
	global_load_dword v1, v50, s[0:1]
	global_load_dword v2, v50, s[2:3]
	s_waitcnt vmcnt(0)
	ds_write_b64 v51, v[1:2]
.LBB388_6:
	s_or_b32 exec_lo, exec_lo, s13
	v_or_b32_e32 v1, 0x100, v0
	v_mov_b32_e32 v2, 0
	s_mov_b32 s13, exec_lo
	v_cmpx_le_u32_e64 s15, v1
	s_xor_b32 s13, exec_lo, s13
	s_cbranch_execz .LBB388_10
; %bb.7:
	s_mov_b32 s14, exec_lo
	v_cmpx_gt_u64_e64 s[10:11], v[1:2]
	s_cbranch_execz .LBB388_9
; %bb.8:
	v_sub_co_u32 v2, s16, v0, s15
	v_sub_co_ci_u32_e64 v3, null, 0, 0, s16
	v_lshlrev_b64 v[2:3], 2, v[2:3]
	v_add_co_u32 v4, vcc_lo, s6, v2
	v_add_co_ci_u32_e64 v5, null, s7, v3, vcc_lo
	v_add_co_u32 v2, vcc_lo, s8, v2
	v_add_co_ci_u32_e64 v3, null, s9, v3, vcc_lo
	global_load_dword v4, v[4:5], off offset:1024
	global_load_dword v5, v[2:3], off offset:1024
	s_waitcnt vmcnt(0)
	ds_write_b64 v51, v[4:5] offset:2048
.LBB388_9:
	s_or_b32 exec_lo, exec_lo, s14
.LBB388_10:
	s_andn2_saveexec_b32 s13, s13
	s_cbranch_execz .LBB388_12
; %bb.11:
	s_clause 0x1
	global_load_dword v2, v50, s[0:1] offset:1024
	global_load_dword v3, v50, s[2:3] offset:1024
	s_waitcnt vmcnt(0)
	ds_write_b64 v51, v[2:3] offset:2048
.LBB388_12:
	s_or_b32 exec_lo, exec_lo, s13
	v_or_b32_e32 v2, 0x200, v0
	v_mov_b32_e32 v3, 0
	s_mov_b32 s13, exec_lo
	v_cmpx_le_u32_e64 s15, v2
	s_xor_b32 s13, exec_lo, s13
	s_cbranch_execz .LBB388_16
; %bb.13:
	s_mov_b32 s14, exec_lo
	v_cmpx_gt_u64_e64 s[10:11], v[2:3]
	s_cbranch_execz .LBB388_15
; %bb.14:
	v_subrev_nc_u32_e32 v3, s15, v2
	v_lshlrev_b32_e32 v4, 2, v3
	s_clause 0x1
	global_load_dword v3, v4, s[6:7]
	global_load_dword v4, v4, s[8:9]
	s_waitcnt vmcnt(0)
	ds_write_b64 v51, v[3:4] offset:4096
.LBB388_15:
	s_or_b32 exec_lo, exec_lo, s14
.LBB388_16:
	s_andn2_saveexec_b32 s13, s13
	s_cbranch_execz .LBB388_18
; %bb.17:
	v_lshlrev_b32_e32 v4, 2, v2
	s_clause 0x1
	global_load_dword v3, v4, s[0:1]
	global_load_dword v4, v4, s[2:3]
	s_waitcnt vmcnt(0)
	ds_write_b64 v51, v[3:4] offset:4096
.LBB388_18:
	s_or_b32 exec_lo, exec_lo, s13
	v_or_b32_e32 v3, 0x300, v0
	v_mov_b32_e32 v4, 0
	s_mov_b32 s13, exec_lo
	v_cmpx_le_u32_e64 s15, v3
	s_xor_b32 s13, exec_lo, s13
	s_cbranch_execz .LBB388_22
; %bb.19:
	s_mov_b32 s14, exec_lo
	v_cmpx_gt_u64_e64 s[10:11], v[3:4]
	s_cbranch_execz .LBB388_21
; %bb.20:
	v_subrev_nc_u32_e32 v4, s15, v3
	v_lshlrev_b32_e32 v5, 2, v4
	s_clause 0x1
	global_load_dword v4, v5, s[6:7]
	global_load_dword v5, v5, s[8:9]
	s_waitcnt vmcnt(0)
	ds_write_b64 v51, v[4:5] offset:6144
.LBB388_21:
	s_or_b32 exec_lo, exec_lo, s14
.LBB388_22:
	s_andn2_saveexec_b32 s13, s13
	s_cbranch_execz .LBB388_24
; %bb.23:
	v_lshlrev_b32_e32 v5, 2, v3
	s_clause 0x1
	global_load_dword v4, v5, s[0:1]
	global_load_dword v5, v5, s[2:3]
	s_waitcnt vmcnt(0)
	ds_write_b64 v51, v[4:5] offset:6144
.LBB388_24:
	;; [unrolled: 32-line block ×13, first 2 shown]
	s_or_b32 exec_lo, exec_lo, s13
	v_or_b32_e32 v15, 0xf00, v0
	v_mov_b32_e32 v16, 0
	s_mov_b32 s13, exec_lo
	v_cmpx_le_u32_e64 s15, v15
	s_xor_b32 s13, exec_lo, s13
	s_cbranch_execz .LBB388_94
; %bb.91:
	v_cmp_gt_u64_e32 vcc_lo, s[10:11], v[15:16]
	s_and_saveexec_b32 s10, vcc_lo
	s_cbranch_execz .LBB388_93
; %bb.92:
	v_subrev_nc_u32_e32 v16, s15, v15
	v_lshlrev_b32_e32 v17, 2, v16
	s_clause 0x1
	global_load_dword v16, v17, s[6:7]
	global_load_dword v17, v17, s[8:9]
	s_waitcnt vmcnt(0)
	ds_write_b64 v51, v[16:17] offset:30720
.LBB388_93:
	s_or_b32 exec_lo, exec_lo, s10
.LBB388_94:
	s_or_saveexec_b32 s6, s13
	s_load_dwordx2 s[16:17], s[4:5], 0x38
	s_xor_b32 exec_lo, exec_lo, s6
	s_cbranch_execz .LBB388_96
; %bb.95:
	v_lshlrev_b32_e32 v17, 2, v15
	s_clause 0x1
	global_load_dword v16, v17, s[0:1]
	global_load_dword v17, v17, s[2:3]
	s_waitcnt vmcnt(0)
	ds_write_b64 v51, v[16:17] offset:30720
.LBB388_96:
	s_or_b32 exec_lo, exec_lo, s6
	v_lshlrev_b32_e32 v48, 4, v0
	s_mov_b32 s0, exec_lo
	s_waitcnt lgkmcnt(0)
	s_barrier
	buffer_gl0_inv
	v_sub_nc_u32_e64 v49, v48, s12 clamp
	v_min_u32_e32 v16, s15, v48
	v_cmpx_lt_u32_e64 v49, v16
	s_cbranch_execz .LBB388_100
; %bb.97:
	v_lshlrev_b32_e32 v17, 3, v48
	s_mov_b32 s1, 0
	v_lshl_add_u32 v17, s15, 3, v17
	.p2align	6
.LBB388_98:                             ; =>This Inner Loop Header: Depth=1
	v_add_nc_u32_e32 v18, v16, v49
	v_lshrrev_b32_e32 v18, 1, v18
	v_not_b32_e32 v19, v18
	v_lshlrev_b32_e32 v20, 3, v18
	v_add_nc_u32_e32 v21, 1, v18
	v_lshl_add_u32 v19, v19, 3, v17
	ds_read_b32 v20, v20
	ds_read_b32 v19, v19
	s_waitcnt lgkmcnt(0)
	v_cmp_gt_u32_e32 vcc_lo, v19, v20
	v_cndmask_b32_e32 v16, v16, v18, vcc_lo
	v_cndmask_b32_e32 v49, v21, v49, vcc_lo
	v_cmp_ge_u32_e32 vcc_lo, v49, v16
	s_or_b32 s1, vcc_lo, s1
	s_andn2_b32 exec_lo, exec_lo, s1
	s_cbranch_execnz .LBB388_98
; %bb.99:
	s_or_b32 exec_lo, exec_lo, s1
.LBB388_100:
	s_or_b32 exec_lo, exec_lo, s0
	v_add_nc_u32_e32 v18, s15, v48
	s_add_i32 s23, s12, s15
	v_cmp_ge_u32_e32 vcc_lo, s15, v49
	v_mov_b32_e32 v16, 0
	v_mov_b32_e32 v20, 0
	v_sub_nc_u32_e32 v52, v18, v49
	v_mov_b32_e32 v18, 0
	v_mov_b32_e32 v22, 0
	;; [unrolled: 1-line block ×4, first 2 shown]
	v_cmp_ge_u32_e64 s0, s23, v52
	v_mov_b32_e32 v36, 0
	v_mov_b32_e32 v38, 0
	;; [unrolled: 1-line block ×26, first 2 shown]
	s_or_b32 s0, vcc_lo, s0
	s_and_saveexec_b32 s21, s0
	s_cbranch_execz .LBB388_106
; %bb.101:
	v_cmp_gt_u32_e32 vcc_lo, s15, v49
	v_mov_b32_e32 v16, 0
	v_mov_b32_e32 v18, 0
	v_mov_b32_e32 v19, 0
	s_and_saveexec_b32 s0, vcc_lo
; %bb.102:
	v_lshlrev_b32_e32 v17, 3, v49
	ds_read_b64 v[18:19], v17
; %bb.103:
	s_or_b32 exec_lo, exec_lo, s0
	v_cmp_le_u32_e64 s0, s23, v52
	v_mov_b32_e32 v17, 0
	s_mov_b32 s2, exec_lo
	v_cmpx_gt_u32_e64 s23, v52
; %bb.104:
	v_lshlrev_b32_e32 v16, 3, v52
	ds_read_b64 v[16:17], v16
; %bb.105:
	s_or_b32 exec_lo, exec_lo, s2
	s_waitcnt lgkmcnt(0)
	v_cmp_le_u32_e64 s1, v16, v18
	v_mov_b32_e32 v42, s15
	s_and_b32 s1, vcc_lo, s1
	s_or_b32 vcc_lo, s0, s1
	v_cndmask_b32_e32 v20, v52, v49, vcc_lo
	v_cndmask_b32_e32 v21, s23, v42, vcc_lo
	v_add_nc_u32_e32 v22, 1, v20
	v_add_nc_u32_e32 v20, -1, v21
	v_cndmask_b32_e32 v24, v49, v22, vcc_lo
	v_min_u32_e32 v20, v22, v20
	v_cndmask_b32_e32 v25, v22, v52, vcc_lo
	v_cmp_gt_u32_e64 s0, s15, v24
	v_lshlrev_b32_e32 v20, 3, v20
	v_cmp_le_u32_e64 s2, s23, v25
	ds_read_b64 v[20:21], v20
	s_waitcnt lgkmcnt(0)
	v_cndmask_b32_e32 v47, v20, v16, vcc_lo
	v_cndmask_b32_e32 v20, v18, v20, vcc_lo
	;; [unrolled: 1-line block ×3, first 2 shown]
	v_cmp_le_u32_e64 s1, v47, v20
	s_and_b32 s0, s0, s1
	s_or_b32 s0, s2, s0
	v_cndmask_b32_e64 v22, v25, v24, s0
	v_cndmask_b32_e64 v23, s23, v42, s0
	v_add_nc_u32_e32 v26, 1, v22
	v_add_nc_u32_e32 v22, -1, v23
	v_cndmask_b32_e64 v27, v24, v26, s0
	v_min_u32_e32 v22, v26, v22
	v_cndmask_b32_e64 v26, v26, v25, s0
	v_cmp_gt_u32_e64 s1, s15, v27
	v_lshlrev_b32_e32 v22, 3, v22
	v_cmp_le_u32_e64 s3, s23, v26
	ds_read_b64 v[22:23], v22
	s_waitcnt lgkmcnt(0)
	v_cndmask_b32_e64 v49, v22, v47, s0
	v_cndmask_b32_e64 v22, v20, v22, s0
	;; [unrolled: 1-line block ×3, first 2 shown]
	v_cmp_le_u32_e64 s2, v49, v22
	s_and_b32 s1, s1, s2
	s_or_b32 s1, s3, s1
	v_cndmask_b32_e64 v24, v26, v27, s1
	v_cndmask_b32_e64 v25, s23, v42, s1
	;; [unrolled: 1-line block ×3, first 2 shown]
	v_add_nc_u32_e32 v28, 1, v24
	v_add_nc_u32_e32 v24, -1, v25
	v_cndmask_b32_e64 v29, v27, v28, s1
	v_min_u32_e32 v24, v28, v24
	v_cndmask_b32_e64 v28, v28, v26, s1
	v_cmp_gt_u32_e64 s2, s15, v29
	v_lshlrev_b32_e32 v24, 3, v24
	v_cmp_le_u32_e64 s4, s23, v28
	ds_read_b64 v[24:25], v24
	s_waitcnt lgkmcnt(0)
	v_cndmask_b32_e64 v54, v24, v49, s1
	v_cndmask_b32_e64 v24, v22, v24, s1
	v_cmp_le_u32_e64 s3, v54, v24
	s_and_b32 s2, s2, s3
	s_or_b32 s2, s4, s2
	v_cndmask_b32_e64 v26, v28, v29, s2
	v_cndmask_b32_e64 v27, s23, v42, s2
	;; [unrolled: 1-line block ×3, first 2 shown]
	v_add_nc_u32_e32 v30, 1, v26
	v_add_nc_u32_e32 v26, -1, v27
	v_cndmask_b32_e64 v31, v29, v30, s2
	v_min_u32_e32 v26, v30, v26
	v_cndmask_b32_e64 v30, v30, v28, s2
	v_cmp_gt_u32_e64 s3, s15, v31
	v_lshlrev_b32_e32 v26, 3, v26
	v_cmp_le_u32_e64 s5, s23, v30
	ds_read_b64 v[26:27], v26
	s_waitcnt lgkmcnt(0)
	v_cndmask_b32_e64 v55, v26, v54, s2
	v_cndmask_b32_e64 v26, v24, v26, s2
	v_cmp_le_u32_e64 s4, v55, v26
	s_and_b32 s3, s3, s4
	s_or_b32 s3, s5, s3
	v_cndmask_b32_e64 v28, v30, v31, s3
	v_cndmask_b32_e64 v29, s23, v42, s3
	v_add_nc_u32_e32 v32, 1, v28
	v_add_nc_u32_e32 v28, -1, v29
	v_cndmask_b32_e64 v33, v31, v32, s3
	v_min_u32_e32 v28, v32, v28
	v_cndmask_b32_e64 v32, v32, v30, s3
	v_cmp_gt_u32_e64 s4, s15, v33
	v_lshlrev_b32_e32 v28, 3, v28
	v_cmp_le_u32_e64 s6, s23, v32
	ds_read_b64 v[28:29], v28
	s_waitcnt lgkmcnt(0)
	v_cndmask_b32_e64 v56, v28, v55, s3
	v_cndmask_b32_e64 v28, v26, v28, s3
	v_cmp_le_u32_e64 s5, v56, v28
	s_and_b32 s4, s4, s5
	s_or_b32 s4, s6, s4
	v_cndmask_b32_e64 v30, v32, v33, s4
	v_cndmask_b32_e64 v31, s23, v42, s4
	;; [unrolled: 17-line block ×4, first 2 shown]
	v_add_nc_u32_e32 v38, 1, v34
	v_add_nc_u32_e32 v34, -1, v35
	v_cndmask_b32_e64 v39, v37, v38, s6
	v_min_u32_e32 v34, v38, v34
	v_cmp_gt_u32_e64 s7, s15, v39
	v_lshlrev_b32_e32 v34, 3, v34
	ds_read_b64 v[34:35], v34
	s_waitcnt lgkmcnt(0)
	v_cndmask_b32_e64 v59, v34, v58, s6
	v_cndmask_b32_e64 v60, v32, v34, s6
	;; [unrolled: 1-line block ×3, first 2 shown]
	v_cmp_le_u32_e64 s8, v59, v60
	v_cmp_le_u32_e64 s9, s23, v34
	s_and_b32 s7, s7, s8
	s_or_b32 s7, s9, s7
	v_cndmask_b32_e64 v36, v34, v39, s7
	v_cndmask_b32_e64 v37, s23, v42, s7
	v_add_nc_u32_e32 v38, 1, v36
	v_add_nc_u32_e32 v36, -1, v37
	v_cndmask_b32_e64 v40, v39, v38, s7
	v_min_u32_e32 v36, v38, v36
	v_cndmask_b32_e64 v34, v38, v34, s7
	v_cmp_gt_u32_e64 s8, s15, v40
	v_lshlrev_b32_e32 v36, 3, v36
	v_cmp_le_u32_e64 s10, s23, v34
	ds_read_b64 v[36:37], v36
	s_waitcnt lgkmcnt(0)
	v_cndmask_b32_e64 v61, v36, v59, s7
	v_cndmask_b32_e64 v62, v60, v36, s7
	v_cmp_le_u32_e64 s9, v61, v62
	s_and_b32 s8, s8, s9
	s_or_b32 s8, s10, s8
	v_cndmask_b32_e64 v36, v34, v40, s8
	v_cndmask_b32_e64 v38, s23, v42, s8
	v_add_nc_u32_e32 v36, 1, v36
	v_add_nc_u32_e32 v38, -1, v38
	v_cndmask_b32_e64 v43, v40, v36, s8
	v_min_u32_e32 v38, v36, v38
	v_cndmask_b32_e64 v34, v36, v34, s8
	v_cmp_gt_u32_e64 s9, s15, v43
	v_lshlrev_b32_e32 v38, 3, v38
	v_cmp_le_u32_e64 s11, s23, v34
	ds_read_b64 v[38:39], v38
	s_waitcnt lgkmcnt(0)
	v_cndmask_b32_e64 v63, v38, v61, s8
	v_cndmask_b32_e64 v64, v62, v38, s8
	v_cmp_le_u32_e64 s10, v63, v64
	s_and_b32 s9, s9, s10
	s_or_b32 s9, s11, s9
	v_cndmask_b32_e64 v36, v34, v43, s9
	v_cndmask_b32_e64 v38, s23, v42, s9
	v_add_nc_u32_e32 v36, 1, v36
	v_add_nc_u32_e32 v38, -1, v38
	v_cndmask_b32_e64 v34, v36, v34, s9
	v_min_u32_e32 v38, v36, v38
	v_cmp_le_u32_e64 s12, s23, v34
	v_lshlrev_b32_e32 v38, 3, v38
	ds_read_b64 v[40:41], v38
	v_cndmask_b32_e64 v38, v43, v36, s9
	v_cmp_gt_u32_e64 s10, s15, v38
	s_waitcnt lgkmcnt(0)
	v_cndmask_b32_e64 v65, v40, v63, s9
	v_cndmask_b32_e64 v66, v64, v40, s9
	v_cmp_le_u32_e64 s11, v65, v66
	s_and_b32 s10, s10, s11
	s_or_b32 s10, s12, s10
	v_cndmask_b32_e64 v36, v34, v38, s10
	v_cndmask_b32_e64 v40, s23, v42, s10
	v_add_nc_u32_e32 v36, 1, v36
	v_add_nc_u32_e32 v40, -1, v40
	v_cndmask_b32_e64 v38, v38, v36, s10
	v_min_u32_e32 v40, v36, v40
	v_cndmask_b32_e64 v34, v36, v34, s10
	v_cmp_gt_u32_e64 s11, s15, v38
	v_lshlrev_b32_e32 v40, 3, v40
	v_cmp_le_u32_e64 s13, s23, v34
	ds_read_b64 v[43:44], v40
	s_waitcnt lgkmcnt(0)
	v_cndmask_b32_e64 v67, v43, v65, s10
	v_cndmask_b32_e64 v68, v66, v43, s10
	v_cndmask_b32_e32 v43, v21, v17, vcc_lo
	v_cndmask_b32_e32 v21, v19, v21, vcc_lo
	v_cndmask_b32_e32 v17, v17, v19, vcc_lo
	v_cmp_le_u32_e64 s12, v67, v68
	s_and_b32 s11, s11, s12
	s_or_b32 s11, s13, s11
	v_cndmask_b32_e64 v36, v34, v38, s11
	v_cndmask_b32_e64 v40, s23, v42, s11
	v_add_nc_u32_e32 v36, 1, v36
	v_add_nc_u32_e32 v40, -1, v40
	v_cndmask_b32_e64 v38, v38, v36, s11
	v_min_u32_e32 v40, v36, v40
	v_cndmask_b32_e64 v34, v36, v34, s11
	v_cmp_gt_u32_e64 s12, s15, v38
	v_lshlrev_b32_e32 v40, 3, v40
	v_cmp_le_u32_e64 s14, s23, v34
	ds_read_b64 v[45:46], v40
	s_waitcnt lgkmcnt(0)
	v_cndmask_b32_e64 v69, v45, v67, s11
	v_cndmask_b32_e64 v45, v68, v45, s11
	v_cmp_le_u32_e64 s13, v69, v45
	s_and_b32 s12, s12, s13
	s_or_b32 s12, s14, s12
	v_cndmask_b32_e64 v36, v34, v38, s12
	v_cndmask_b32_e64 v40, s23, v42, s12
	v_add_nc_u32_e32 v36, 1, v36
	v_add_nc_u32_e32 v40, -1, v40
	v_cndmask_b32_e64 v47, v38, v36, s12
	v_min_u32_e32 v40, v36, v40
	v_cmp_gt_u32_e32 vcc_lo, s15, v47
	v_lshlrev_b32_e32 v40, 3, v40
	ds_read_b64 v[52:53], v40
	v_cndmask_b32_e64 v40, v23, v43, s0
	v_cndmask_b32_e64 v23, v21, v23, s0
	;; [unrolled: 1-line block ×11, first 2 shown]
	v_cmp_le_u32_e64 s1, s23, v70
	v_cndmask_b32_e64 v29, v25, v29, s3
	s_waitcnt lgkmcnt(0)
	v_cndmask_b32_e64 v49, v52, v69, s12
	v_cndmask_b32_e64 v52, v45, v52, s12
	;; [unrolled: 1-line block ×6, first 2 shown]
	v_cmp_le_u32_e64 s0, v49, v52
	v_cndmask_b32_e64 v40, v33, v36, s5
	v_cndmask_b32_e64 v33, v31, v33, s5
	s_and_b32 s0, vcc_lo, s0
	s_or_b32 vcc_lo, s1, s0
	v_cndmask_b32_e64 v43, v33, v35, s6
	v_cndmask_b32_e32 v34, v70, v47, vcc_lo
	v_cndmask_b32_e32 v38, s23, v42, vcc_lo
	v_cndmask_b32_e64 v42, v35, v40, s6
	v_cndmask_b32_e64 v35, v27, v29, s4
	v_add_nc_u32_e32 v71, 1, v34
	v_add_nc_u32_e32 v26, -1, v38
	v_cndmask_b32_e64 v34, v56, v28, s4
	v_cndmask_b32_e64 v27, v37, v42, s7
	;; [unrolled: 1-line block ×4, first 2 shown]
	v_min_u32_e32 v26, v71, v26
	v_cndmask_b32_e64 v36, v57, v30, s5
	v_cndmask_b32_e64 v29, v39, v27, s8
	;; [unrolled: 1-line block ×4, first 2 shown]
	v_lshlrev_b32_e32 v26, 3, v26
	v_cndmask_b32_e64 v39, v40, v33, s6
	v_cndmask_b32_e64 v31, v41, v29, s9
	;; [unrolled: 1-line block ×4, first 2 shown]
	ds_read_b64 v[54:55], v26
	v_cndmask_b32_e64 v43, v27, v28, s8
	v_cndmask_b32_e64 v33, v44, v31, s10
	;; [unrolled: 1-line block ×9, first 2 shown]
	v_cndmask_b32_e32 v44, v47, v71, vcc_lo
	v_cndmask_b32_e32 v47, v71, v70, vcc_lo
	v_cndmask_b32_e64 v45, v53, v56, s12
	v_cndmask_b32_e64 v33, v56, v46, s12
	;; [unrolled: 1-line block ×3, first 2 shown]
	v_cmp_gt_u32_e64 s0, s15, v44
	v_cmp_le_u32_e64 s2, s23, v47
	v_cndmask_b32_e32 v44, v49, v52, vcc_lo
	v_cndmask_b32_e64 v40, v59, v60, s7
	v_cndmask_b32_e64 v42, v61, v62, s8
	s_waitcnt lgkmcnt(0)
	v_cndmask_b32_e32 v57, v54, v49, vcc_lo
	v_cndmask_b32_e32 v54, v52, v54, vcc_lo
	;; [unrolled: 1-line block ×5, first 2 shown]
	v_cndmask_b32_e64 v26, v63, v64, s9
	v_cmp_le_u32_e64 s1, v57, v54
	v_cndmask_b32_e64 v28, v65, v66, s10
	v_cndmask_b32_e64 v30, v67, v68, s11
	s_and_b32 s0, s0, s1
	s_or_b32 vcc_lo, s2, s0
	v_cndmask_b32_e32 v47, v53, v47, vcc_lo
	v_cndmask_b32_e32 v46, v57, v54, vcc_lo
.LBB388_106:
	s_or_b32 exec_lo, exec_lo, s21
	v_and_b32_e32 v49, 0x3f8, v50
	s_mov_b32 s21, 0
	s_sub_i32 s4, s22, s20
	s_lshl_b64 s[2:3], s[20:21], 2
	v_lshl_add_u32 v48, v48, 3, v49
	s_add_u32 s0, s18, s2
	s_addc_u32 s1, s19, s3
	s_barrier
	buffer_gl0_inv
	ds_write2_b64 v48, v[16:17], v[20:21] offset1:1
	ds_write2_b64 v48, v[18:19], v[22:23] offset0:2 offset1:3
	ds_write2_b64 v48, v[24:25], v[34:35] offset0:4 offset1:5
	;; [unrolled: 1-line block ×4, first 2 shown]
	v_lshrrev_b32_e32 v40, 2, v1
	v_lshrrev_b32_e32 v39, 2, v2
	;; [unrolled: 1-line block ×15, first 2 shown]
	s_add_u32 s2, s16, s2
	s_addc_u32 s3, s17, s3
	s_cmpk_gt_u32 s4, 0xfff
	ds_write2_b64 v48, v[26:27], v[28:29] offset0:10 offset1:11
	ds_write2_b64 v48, v[30:31], v[32:33] offset0:12 offset1:13
	;; [unrolled: 1-line block ×3, first 2 shown]
	s_waitcnt lgkmcnt(0)
	s_cbranch_scc0 .LBB388_108
; %bb.107:
	v_lshrrev_b32_e32 v16, 2, v0
	v_and_b32_e32 v17, 0x78, v40
	v_and_b32_e32 v26, 0xf8, v39
	;; [unrolled: 1-line block ×5, first 2 shown]
	v_add_nc_u32_e32 v17, v17, v51
	v_and_b32_e32 v42, 0x1f8, v36
	v_add_nc_u32_e32 v30, v26, v51
	v_and_b32_e32 v43, 0x1f8, v35
	v_add_nc_u32_e32 v16, v16, v51
	v_add_nc_u32_e32 v32, v27, v51
	v_and_b32_e32 v44, 0x1f8, v34
	s_barrier
	buffer_gl0_inv
	ds_read_b64 v[26:27], v16
	ds_read_b64 v[28:29], v17 offset:2048
	ds_read_b64 v[30:31], v30 offset:4096
	;; [unrolled: 1-line block ×3, first 2 shown]
	v_add_nc_u32_e32 v16, v41, v51
	v_and_b32_e32 v52, 0x3f8, v24
	v_add_nc_u32_e32 v17, v42, v51
	v_and_b32_e32 v49, 0x3f8, v25
	v_and_b32_e32 v53, 0x3f8, v23
	v_add_nc_u32_e32 v45, v43, v51
	v_add_nc_u32_e32 v47, v44, v51
	ds_read_b64 v[41:42], v16 offset:8192
	ds_read_b64 v[43:44], v17 offset:10240
	;; [unrolled: 1-line block ×4, first 2 shown]
	v_add_nc_u32_e32 v17, v52, v51
	v_and_b32_e32 v52, 0x3f8, v22
	v_add_nc_u32_e32 v16, v49, v51
	v_add_nc_u32_e32 v49, v53, v51
	v_and_b32_e32 v53, 0x3f8, v21
	v_and_b32_e32 v54, 0x3f8, v20
	v_and_b32_e32 v55, 0x3f8, v19
	v_and_b32_e32 v56, 0x3f8, v18
	v_add_nc_u32_e32 v58, v52, v51
	v_add_nc_u32_e32 v60, v53, v51
	;; [unrolled: 1-line block ×5, first 2 shown]
	ds_read_b64 v[52:53], v16 offset:16384
	ds_read_b64 v[54:55], v17 offset:18432
	ds_read_b64 v[56:57], v49 offset:20480
	ds_read_b64 v[58:59], v58 offset:22528
	ds_read_b64 v[60:61], v60 offset:24576
	ds_read_b64 v[62:63], v62 offset:26624
	ds_read_b64 v[64:65], v64 offset:28672
	ds_read_b64 v[16:17], v66 offset:30720
	v_add_co_u32 v49, s5, s0, v50
	v_add_co_ci_u32_e64 v70, null, s1, 0, s5
	v_add_co_u32 v71, s5, s2, v50
	s_waitcnt lgkmcnt(15)
	global_store_dword v50, v26, s[0:1]
	global_store_dword v50, v27, s[2:3]
	s_waitcnt lgkmcnt(14)
	global_store_dword v50, v28, s[0:1] offset:1024
	global_store_dword v50, v29, s[2:3] offset:1024
	v_add_co_u32 v26, vcc_lo, 0x800, v49
	v_add_co_ci_u32_e64 v72, null, s3, 0, s5
	v_add_co_ci_u32_e64 v27, null, 0, v70, vcc_lo
	v_add_co_u32 v28, vcc_lo, v49, 0x1000
	v_add_co_ci_u32_e64 v29, null, 0, v70, vcc_lo
	v_add_co_u32 v66, vcc_lo, v71, 0x1000
	;; [unrolled: 2-line block ×3, first 2 shown]
	v_add_co_ci_u32_e64 v69, null, 0, v72, vcc_lo
	s_waitcnt lgkmcnt(13)
	global_store_dword v[28:29], v30, off offset:-2048
	global_store_dword v[66:67], v31, off offset:-2048
	s_waitcnt lgkmcnt(12)
	global_store_dword v[26:27], v32, off offset:1024
	global_store_dword v[68:69], v33, off offset:1024
	v_add_co_u32 v26, vcc_lo, 0x1000, v49
	v_add_co_ci_u32_e64 v27, null, 0, v70, vcc_lo
	s_waitcnt lgkmcnt(11)
	global_store_dword v[28:29], v41, off
	v_add_co_u32 v28, vcc_lo, 0x1000, v71
	v_add_co_ci_u32_e64 v29, null, 0, v72, vcc_lo
	global_store_dword v[66:67], v42, off
	s_waitcnt lgkmcnt(10)
	global_store_dword v[26:27], v43, off offset:1024
	v_add_co_u32 v26, vcc_lo, 0x1800, v49
	v_add_co_ci_u32_e64 v27, null, 0, v70, vcc_lo
	v_add_co_u32 v30, vcc_lo, v49, 0x2000
	v_add_co_ci_u32_e64 v31, null, 0, v70, vcc_lo
	;; [unrolled: 2-line block ×4, first 2 shown]
	global_store_dword v[28:29], v44, off offset:1024
	s_waitcnt lgkmcnt(9)
	global_store_dword v[30:31], v45, off offset:-2048
	global_store_dword v[32:33], v46, off offset:-2048
	s_waitcnt lgkmcnt(8)
	global_store_dword v[26:27], v47, off offset:1024
	global_store_dword v[41:42], v48, off offset:1024
	v_add_co_u32 v26, vcc_lo, 0x2000, v49
	v_add_co_ci_u32_e64 v27, null, 0, v70, vcc_lo
	v_add_co_u32 v28, vcc_lo, 0x2000, v71
	s_waitcnt lgkmcnt(7)
	global_store_dword v[30:31], v52, off
	v_add_co_ci_u32_e64 v29, null, 0, v72, vcc_lo
	global_store_dword v[32:33], v53, off
	s_waitcnt lgkmcnt(6)
	global_store_dword v[26:27], v54, off offset:1024
	v_add_co_u32 v26, vcc_lo, 0x2800, v49
	v_add_co_ci_u32_e64 v27, null, 0, v70, vcc_lo
	v_add_co_u32 v30, vcc_lo, v49, 0x3000
	v_add_co_ci_u32_e64 v31, null, 0, v70, vcc_lo
	;; [unrolled: 2-line block ×4, first 2 shown]
	global_store_dword v[28:29], v55, off offset:1024
	s_waitcnt lgkmcnt(5)
	global_store_dword v[30:31], v56, off offset:-2048
	global_store_dword v[32:33], v57, off offset:-2048
	s_waitcnt lgkmcnt(4)
	global_store_dword v[26:27], v58, off offset:1024
	global_store_dword v[41:42], v59, off offset:1024
	v_add_co_u32 v26, vcc_lo, 0x3000, v49
	v_add_co_ci_u32_e64 v27, null, 0, v70, vcc_lo
	v_add_co_u32 v28, vcc_lo, 0x3000, v71
	s_waitcnt lgkmcnt(3)
	global_store_dword v[30:31], v60, off
	v_add_co_ci_u32_e64 v29, null, 0, v72, vcc_lo
	v_add_co_u32 v30, vcc_lo, 0x3800, v49
	global_store_dword v[32:33], v61, off
	v_add_co_ci_u32_e64 v31, null, 0, v70, vcc_lo
	v_add_co_u32 v32, vcc_lo, 0x3800, v71
	v_add_co_ci_u32_e64 v33, null, 0, v72, vcc_lo
	s_waitcnt lgkmcnt(2)
	global_store_dword v[26:27], v62, off offset:1024
	global_store_dword v[28:29], v63, off offset:1024
	s_waitcnt lgkmcnt(1)
	global_store_dword v[30:31], v64, off
	s_mov_b32 s21, -1
	global_store_dword v[32:33], v65, off
	s_cbranch_execz .LBB388_109
	s_branch .LBB388_126
.LBB388_108:
                                        ; implicit-def: $vgpr17
.LBB388_109:
	s_waitcnt lgkmcnt(0)
	v_and_b32_e32 v16, 0x78, v40
	v_and_b32_e32 v17, 0xf8, v39
	v_and_b32_e32 v26, 0xf8, v38
	v_and_b32_e32 v27, 0x1f8, v37
	v_and_b32_e32 v28, 0x1f8, v36
	v_add_nc_u32_e32 v16, v16, v51
	v_add_nc_u32_e32 v17, v17, v51
	v_and_b32_e32 v29, 0x1f8, v35
	v_add_nc_u32_e32 v26, v26, v51
	v_and_b32_e32 v30, 0x1f8, v34
	;; [unrolled: 2-line block ×3, first 2 shown]
	s_barrier
	s_waitcnt_vscnt null, 0x0
	buffer_gl0_inv
	ds_read_b64 v[48:49], v16 offset:2048
	ds_read_b64 v[46:47], v17 offset:4096
	;; [unrolled: 1-line block ×4, first 2 shown]
	v_add_nc_u32_e32 v16, v28, v51
	v_and_b32_e32 v24, 0x3f8, v24
	v_add_nc_u32_e32 v17, v29, v51
	v_and_b32_e32 v23, 0x3f8, v23
	v_add_nc_u32_e32 v26, v30, v51
	v_and_b32_e32 v22, 0x3f8, v22
	v_add_nc_u32_e32 v25, v25, v51
	v_and_b32_e32 v21, 0x3f8, v21
	v_and_b32_e32 v20, 0x3f8, v20
	v_and_b32_e32 v19, 0x3f8, v19
	ds_read_b64 v[40:41], v16 offset:10240
	ds_read_b64 v[38:39], v17 offset:12288
	ds_read_b64 v[36:37], v26 offset:14336
	ds_read_b64 v[32:33], v25 offset:16384
	v_add_nc_u32_e32 v16, v24, v51
	v_and_b32_e32 v18, 0x3f8, v18
	v_add_nc_u32_e32 v17, v23, v51
	v_add_nc_u32_e32 v22, v22, v51
	v_add_nc_u32_e32 v21, v21, v51
	v_add_nc_u32_e32 v20, v20, v51
	v_add_nc_u32_e32 v19, v19, v51
	v_add_nc_u32_e32 v23, v18, v51
	ds_read_b64 v[34:35], v16 offset:18432
	ds_read_b64 v[30:31], v17 offset:20480
	;; [unrolled: 1-line block ×7, first 2 shown]
	v_add_co_u32 v22, s5, s0, v50
	v_add_co_ci_u32_e64 v23, null, s1, 0, s5
	v_add_co_u32 v20, s5, s2, v50
	v_add_co_ci_u32_e64 v21, null, s3, 0, s5
	s_mov_b32 s5, exec_lo
	v_cmpx_gt_u32_e64 s4, v0
	s_cbranch_execnz .LBB388_129
; %bb.110:
	s_or_b32 exec_lo, exec_lo, s5
	s_mov_b32 s5, exec_lo
	v_cmpx_gt_u32_e64 s4, v1
	s_cbranch_execnz .LBB388_130
.LBB388_111:
	s_or_b32 exec_lo, exec_lo, s5
	s_mov_b32 s5, exec_lo
	v_cmpx_gt_u32_e64 s4, v2
	s_cbranch_execnz .LBB388_131
.LBB388_112:
	s_or_b32 exec_lo, exec_lo, s5
	s_mov_b32 s5, exec_lo
	v_cmpx_gt_u32_e64 s4, v3
	s_cbranch_execnz .LBB388_132
.LBB388_113:
	s_or_b32 exec_lo, exec_lo, s5
	s_mov_b32 s5, exec_lo
	v_cmpx_gt_u32_e64 s4, v4
	s_cbranch_execnz .LBB388_133
.LBB388_114:
	s_or_b32 exec_lo, exec_lo, s5
	s_mov_b32 s5, exec_lo
	v_cmpx_gt_u32_e64 s4, v5
	s_cbranch_execnz .LBB388_134
.LBB388_115:
	s_or_b32 exec_lo, exec_lo, s5
	s_mov_b32 s5, exec_lo
	v_cmpx_gt_u32_e64 s4, v6
	s_cbranch_execnz .LBB388_135
.LBB388_116:
	s_or_b32 exec_lo, exec_lo, s5
	s_mov_b32 s5, exec_lo
	v_cmpx_gt_u32_e64 s4, v7
	s_cbranch_execnz .LBB388_136
.LBB388_117:
	s_or_b32 exec_lo, exec_lo, s5
	s_mov_b32 s5, exec_lo
	v_cmpx_gt_u32_e64 s4, v8
	s_cbranch_execnz .LBB388_137
.LBB388_118:
	s_or_b32 exec_lo, exec_lo, s5
	s_mov_b32 s5, exec_lo
	v_cmpx_gt_u32_e64 s4, v9
	s_cbranch_execnz .LBB388_138
.LBB388_119:
	s_or_b32 exec_lo, exec_lo, s5
	s_mov_b32 s5, exec_lo
	v_cmpx_gt_u32_e64 s4, v10
	s_cbranch_execnz .LBB388_139
.LBB388_120:
	s_or_b32 exec_lo, exec_lo, s5
	s_mov_b32 s5, exec_lo
	v_cmpx_gt_u32_e64 s4, v11
	s_cbranch_execnz .LBB388_140
.LBB388_121:
	s_or_b32 exec_lo, exec_lo, s5
	s_mov_b32 s5, exec_lo
	v_cmpx_gt_u32_e64 s4, v12
	s_cbranch_execnz .LBB388_141
.LBB388_122:
	s_or_b32 exec_lo, exec_lo, s5
	s_mov_b32 s5, exec_lo
	v_cmpx_gt_u32_e64 s4, v13
	s_cbranch_execnz .LBB388_142
.LBB388_123:
	s_or_b32 exec_lo, exec_lo, s5
	s_mov_b32 s5, exec_lo
	v_cmpx_gt_u32_e64 s4, v14
	s_cbranch_execz .LBB388_125
.LBB388_124:
	v_add_co_u32 v0, vcc_lo, 0x3800, v22
	v_add_co_ci_u32_e64 v1, null, 0, v23, vcc_lo
	v_add_co_u32 v2, vcc_lo, 0x3800, v20
	v_add_co_ci_u32_e64 v3, null, 0, v21, vcc_lo
	s_waitcnt lgkmcnt(1)
	global_store_dword v[0:1], v18, off
	global_store_dword v[2:3], v19, off
.LBB388_125:
	s_or_b32 exec_lo, exec_lo, s5
	v_cmp_gt_u32_e64 s21, s4, v15
.LBB388_126:
	s_and_saveexec_b32 s4, s21
	s_cbranch_execnz .LBB388_128
; %bb.127:
	s_endpgm
.LBB388_128:
	v_add_co_u32 v0, s0, s0, v50
	v_add_co_ci_u32_e64 v1, null, s1, 0, s0
	v_add_co_u32 v2, s0, s2, v50
	v_add_co_ci_u32_e64 v3, null, s3, 0, s0
	v_add_co_u32 v0, vcc_lo, 0x3800, v0
	v_add_co_ci_u32_e64 v1, null, 0, v1, vcc_lo
	v_add_co_u32 v2, vcc_lo, 0x3800, v2
	v_add_co_ci_u32_e64 v3, null, 0, v3, vcc_lo
	s_waitcnt lgkmcnt(0)
	global_store_dword v[0:1], v16, off offset:1024
	global_store_dword v[2:3], v17, off offset:1024
	s_endpgm
.LBB388_129:
	v_lshrrev_b32_e32 v51, 2, v0
	v_and_b32_e32 v51, 56, v51
	v_lshl_add_u32 v0, v0, 3, v51
	ds_read_b64 v[51:52], v0
	s_waitcnt lgkmcnt(0)
	global_store_dword v[22:23], v51, off
	global_store_dword v[20:21], v52, off
	s_or_b32 exec_lo, exec_lo, s5
	s_mov_b32 s5, exec_lo
	v_cmpx_gt_u32_e64 s4, v1
	s_cbranch_execz .LBB388_111
.LBB388_130:
	s_waitcnt lgkmcnt(14)
	global_store_dword v[22:23], v48, off offset:1024
	global_store_dword v[20:21], v49, off offset:1024
	s_or_b32 exec_lo, exec_lo, s5
	s_mov_b32 s5, exec_lo
	v_cmpx_gt_u32_e64 s4, v2
	s_cbranch_execz .LBB388_112
.LBB388_131:
	v_add_co_u32 v0, vcc_lo, 0x800, v22
	v_add_co_ci_u32_e64 v1, null, 0, v23, vcc_lo
	s_waitcnt lgkmcnt(14)
	v_add_co_u32 v48, vcc_lo, 0x800, v20
	v_add_co_ci_u32_e64 v49, null, 0, v21, vcc_lo
	s_waitcnt lgkmcnt(13)
	global_store_dword v[0:1], v46, off
	global_store_dword v[48:49], v47, off
	s_or_b32 exec_lo, exec_lo, s5
	s_mov_b32 s5, exec_lo
	v_cmpx_gt_u32_e64 s4, v3
	s_cbranch_execz .LBB388_113
.LBB388_132:
	v_add_co_u32 v0, vcc_lo, 0x800, v22
	v_add_co_ci_u32_e64 v1, null, 0, v23, vcc_lo
	v_add_co_u32 v2, vcc_lo, 0x800, v20
	v_add_co_ci_u32_e64 v3, null, 0, v21, vcc_lo
	s_waitcnt lgkmcnt(12)
	global_store_dword v[0:1], v44, off offset:1024
	global_store_dword v[2:3], v45, off offset:1024
	s_or_b32 exec_lo, exec_lo, s5
	s_mov_b32 s5, exec_lo
	v_cmpx_gt_u32_e64 s4, v4
	s_cbranch_execz .LBB388_114
.LBB388_133:
	v_add_co_u32 v0, vcc_lo, 0x1000, v22
	v_add_co_ci_u32_e64 v1, null, 0, v23, vcc_lo
	v_add_co_u32 v2, vcc_lo, 0x1000, v20
	v_add_co_ci_u32_e64 v3, null, 0, v21, vcc_lo
	s_waitcnt lgkmcnt(11)
	global_store_dword v[0:1], v42, off
	global_store_dword v[2:3], v43, off
	s_or_b32 exec_lo, exec_lo, s5
	s_mov_b32 s5, exec_lo
	v_cmpx_gt_u32_e64 s4, v5
	s_cbranch_execz .LBB388_115
.LBB388_134:
	v_add_co_u32 v0, vcc_lo, 0x1000, v22
	v_add_co_ci_u32_e64 v1, null, 0, v23, vcc_lo
	v_add_co_u32 v2, vcc_lo, 0x1000, v20
	v_add_co_ci_u32_e64 v3, null, 0, v21, vcc_lo
	s_waitcnt lgkmcnt(10)
	global_store_dword v[0:1], v40, off offset:1024
	global_store_dword v[2:3], v41, off offset:1024
	s_or_b32 exec_lo, exec_lo, s5
	s_mov_b32 s5, exec_lo
	v_cmpx_gt_u32_e64 s4, v6
	s_cbranch_execz .LBB388_116
.LBB388_135:
	v_add_co_u32 v0, vcc_lo, 0x1800, v22
	v_add_co_ci_u32_e64 v1, null, 0, v23, vcc_lo
	v_add_co_u32 v2, vcc_lo, 0x1800, v20
	v_add_co_ci_u32_e64 v3, null, 0, v21, vcc_lo
	s_waitcnt lgkmcnt(9)
	global_store_dword v[0:1], v38, off
	global_store_dword v[2:3], v39, off
	s_or_b32 exec_lo, exec_lo, s5
	s_mov_b32 s5, exec_lo
	v_cmpx_gt_u32_e64 s4, v7
	s_cbranch_execz .LBB388_117
.LBB388_136:
	v_add_co_u32 v0, vcc_lo, 0x1800, v22
	v_add_co_ci_u32_e64 v1, null, 0, v23, vcc_lo
	v_add_co_u32 v2, vcc_lo, 0x1800, v20
	v_add_co_ci_u32_e64 v3, null, 0, v21, vcc_lo
	s_waitcnt lgkmcnt(8)
	global_store_dword v[0:1], v36, off offset:1024
	global_store_dword v[2:3], v37, off offset:1024
	s_or_b32 exec_lo, exec_lo, s5
	s_mov_b32 s5, exec_lo
	v_cmpx_gt_u32_e64 s4, v8
	s_cbranch_execz .LBB388_118
.LBB388_137:
	v_add_co_u32 v0, vcc_lo, 0x2000, v22
	v_add_co_ci_u32_e64 v1, null, 0, v23, vcc_lo
	v_add_co_u32 v2, vcc_lo, 0x2000, v20
	v_add_co_ci_u32_e64 v3, null, 0, v21, vcc_lo
	s_waitcnt lgkmcnt(7)
	global_store_dword v[0:1], v32, off
	global_store_dword v[2:3], v33, off
	s_or_b32 exec_lo, exec_lo, s5
	s_mov_b32 s5, exec_lo
	v_cmpx_gt_u32_e64 s4, v9
	s_cbranch_execz .LBB388_119
.LBB388_138:
	v_add_co_u32 v0, vcc_lo, 0x2000, v22
	v_add_co_ci_u32_e64 v1, null, 0, v23, vcc_lo
	v_add_co_u32 v2, vcc_lo, 0x2000, v20
	v_add_co_ci_u32_e64 v3, null, 0, v21, vcc_lo
	s_waitcnt lgkmcnt(6)
	global_store_dword v[0:1], v34, off offset:1024
	global_store_dword v[2:3], v35, off offset:1024
	s_or_b32 exec_lo, exec_lo, s5
	s_mov_b32 s5, exec_lo
	v_cmpx_gt_u32_e64 s4, v10
	s_cbranch_execz .LBB388_120
.LBB388_139:
	v_add_co_u32 v0, vcc_lo, 0x2800, v22
	v_add_co_ci_u32_e64 v1, null, 0, v23, vcc_lo
	v_add_co_u32 v2, vcc_lo, 0x2800, v20
	v_add_co_ci_u32_e64 v3, null, 0, v21, vcc_lo
	s_waitcnt lgkmcnt(5)
	global_store_dword v[0:1], v30, off
	global_store_dword v[2:3], v31, off
	s_or_b32 exec_lo, exec_lo, s5
	s_mov_b32 s5, exec_lo
	v_cmpx_gt_u32_e64 s4, v11
	s_cbranch_execz .LBB388_121
.LBB388_140:
	v_add_co_u32 v0, vcc_lo, 0x2800, v22
	v_add_co_ci_u32_e64 v1, null, 0, v23, vcc_lo
	v_add_co_u32 v2, vcc_lo, 0x2800, v20
	v_add_co_ci_u32_e64 v3, null, 0, v21, vcc_lo
	s_waitcnt lgkmcnt(4)
	global_store_dword v[0:1], v28, off offset:1024
	global_store_dword v[2:3], v29, off offset:1024
	s_or_b32 exec_lo, exec_lo, s5
	s_mov_b32 s5, exec_lo
	v_cmpx_gt_u32_e64 s4, v12
	s_cbranch_execz .LBB388_122
.LBB388_141:
	v_add_co_u32 v0, vcc_lo, 0x3000, v22
	v_add_co_ci_u32_e64 v1, null, 0, v23, vcc_lo
	v_add_co_u32 v2, vcc_lo, 0x3000, v20
	v_add_co_ci_u32_e64 v3, null, 0, v21, vcc_lo
	s_waitcnt lgkmcnt(3)
	global_store_dword v[0:1], v26, off
	global_store_dword v[2:3], v27, off
	s_or_b32 exec_lo, exec_lo, s5
	s_mov_b32 s5, exec_lo
	v_cmpx_gt_u32_e64 s4, v13
	s_cbranch_execz .LBB388_123
.LBB388_142:
	v_add_co_u32 v0, vcc_lo, 0x3000, v22
	v_add_co_ci_u32_e64 v1, null, 0, v23, vcc_lo
	v_add_co_u32 v2, vcc_lo, 0x3000, v20
	v_add_co_ci_u32_e64 v3, null, 0, v21, vcc_lo
	s_waitcnt lgkmcnt(2)
	global_store_dword v[0:1], v24, off offset:1024
	global_store_dword v[2:3], v25, off offset:1024
	s_or_b32 exec_lo, exec_lo, s5
	s_mov_b32 s5, exec_lo
	v_cmpx_gt_u32_e64 s4, v14
	s_cbranch_execnz .LBB388_124
	s_branch .LBB388_125
	.section	.rodata,"a",@progbits
	.p2align	6, 0x0
	.amdhsa_kernel _ZN7rocprim17ROCPRIM_400000_NS6detail17trampoline_kernelINS0_14default_configENS1_21merge_config_selectorINS0_5tupleIJjjEEENS0_10empty_typeEEEZNS1_10merge_implIS3_NS0_12zip_iteratorINS5_IJN6thrust23THRUST_200600_302600_NS6detail15normal_iteratorINSC_10device_ptrIKjEEEESI_EEEEESK_NSA_INS5_IJNSE_INSF_IjEEEESM_EEEEEPS7_SP_SP_NSC_11hip_rocprim7__merge17predicate_wrapperIjjNSC_7greaterIjEEEEEE10hipError_tPvRmT0_T1_T2_T3_T4_T5_mmT6_P12ihipStream_tbEUlT_E0_NS1_11comp_targetILNS1_3genE8ELNS1_11target_archE1030ELNS1_3gpuE2ELNS1_3repE0EEENS1_30default_config_static_selectorELNS0_4arch9wavefront6targetE0EEEvS10_
		.amdhsa_group_segment_fixed_size 33792
		.amdhsa_private_segment_fixed_size 0
		.amdhsa_kernarg_size 112
		.amdhsa_user_sgpr_count 6
		.amdhsa_user_sgpr_private_segment_buffer 1
		.amdhsa_user_sgpr_dispatch_ptr 0
		.amdhsa_user_sgpr_queue_ptr 0
		.amdhsa_user_sgpr_kernarg_segment_ptr 1
		.amdhsa_user_sgpr_dispatch_id 0
		.amdhsa_user_sgpr_flat_scratch_init 0
		.amdhsa_user_sgpr_private_segment_size 0
		.amdhsa_wavefront_size32 1
		.amdhsa_uses_dynamic_stack 0
		.amdhsa_system_sgpr_private_segment_wavefront_offset 0
		.amdhsa_system_sgpr_workgroup_id_x 1
		.amdhsa_system_sgpr_workgroup_id_y 0
		.amdhsa_system_sgpr_workgroup_id_z 0
		.amdhsa_system_sgpr_workgroup_info 0
		.amdhsa_system_vgpr_workitem_id 0
		.amdhsa_next_free_vgpr 145
		.amdhsa_next_free_sgpr 28
		.amdhsa_reserve_vcc 1
		.amdhsa_reserve_flat_scratch 0
		.amdhsa_float_round_mode_32 0
		.amdhsa_float_round_mode_16_64 0
		.amdhsa_float_denorm_mode_32 3
		.amdhsa_float_denorm_mode_16_64 3
		.amdhsa_dx10_clamp 1
		.amdhsa_ieee_mode 1
		.amdhsa_fp16_overflow 0
		.amdhsa_workgroup_processor_mode 1
		.amdhsa_memory_ordered 1
		.amdhsa_forward_progress 1
		.amdhsa_shared_vgpr_count 0
		.amdhsa_exception_fp_ieee_invalid_op 0
		.amdhsa_exception_fp_denorm_src 0
		.amdhsa_exception_fp_ieee_div_zero 0
		.amdhsa_exception_fp_ieee_overflow 0
		.amdhsa_exception_fp_ieee_underflow 0
		.amdhsa_exception_fp_ieee_inexact 0
		.amdhsa_exception_int_div_zero 0
	.end_amdhsa_kernel
	.section	.text._ZN7rocprim17ROCPRIM_400000_NS6detail17trampoline_kernelINS0_14default_configENS1_21merge_config_selectorINS0_5tupleIJjjEEENS0_10empty_typeEEEZNS1_10merge_implIS3_NS0_12zip_iteratorINS5_IJN6thrust23THRUST_200600_302600_NS6detail15normal_iteratorINSC_10device_ptrIKjEEEESI_EEEEESK_NSA_INS5_IJNSE_INSF_IjEEEESM_EEEEEPS7_SP_SP_NSC_11hip_rocprim7__merge17predicate_wrapperIjjNSC_7greaterIjEEEEEE10hipError_tPvRmT0_T1_T2_T3_T4_T5_mmT6_P12ihipStream_tbEUlT_E0_NS1_11comp_targetILNS1_3genE8ELNS1_11target_archE1030ELNS1_3gpuE2ELNS1_3repE0EEENS1_30default_config_static_selectorELNS0_4arch9wavefront6targetE0EEEvS10_,"axG",@progbits,_ZN7rocprim17ROCPRIM_400000_NS6detail17trampoline_kernelINS0_14default_configENS1_21merge_config_selectorINS0_5tupleIJjjEEENS0_10empty_typeEEEZNS1_10merge_implIS3_NS0_12zip_iteratorINS5_IJN6thrust23THRUST_200600_302600_NS6detail15normal_iteratorINSC_10device_ptrIKjEEEESI_EEEEESK_NSA_INS5_IJNSE_INSF_IjEEEESM_EEEEEPS7_SP_SP_NSC_11hip_rocprim7__merge17predicate_wrapperIjjNSC_7greaterIjEEEEEE10hipError_tPvRmT0_T1_T2_T3_T4_T5_mmT6_P12ihipStream_tbEUlT_E0_NS1_11comp_targetILNS1_3genE8ELNS1_11target_archE1030ELNS1_3gpuE2ELNS1_3repE0EEENS1_30default_config_static_selectorELNS0_4arch9wavefront6targetE0EEEvS10_,comdat
.Lfunc_end388:
	.size	_ZN7rocprim17ROCPRIM_400000_NS6detail17trampoline_kernelINS0_14default_configENS1_21merge_config_selectorINS0_5tupleIJjjEEENS0_10empty_typeEEEZNS1_10merge_implIS3_NS0_12zip_iteratorINS5_IJN6thrust23THRUST_200600_302600_NS6detail15normal_iteratorINSC_10device_ptrIKjEEEESI_EEEEESK_NSA_INS5_IJNSE_INSF_IjEEEESM_EEEEEPS7_SP_SP_NSC_11hip_rocprim7__merge17predicate_wrapperIjjNSC_7greaterIjEEEEEE10hipError_tPvRmT0_T1_T2_T3_T4_T5_mmT6_P12ihipStream_tbEUlT_E0_NS1_11comp_targetILNS1_3genE8ELNS1_11target_archE1030ELNS1_3gpuE2ELNS1_3repE0EEENS1_30default_config_static_selectorELNS0_4arch9wavefront6targetE0EEEvS10_, .Lfunc_end388-_ZN7rocprim17ROCPRIM_400000_NS6detail17trampoline_kernelINS0_14default_configENS1_21merge_config_selectorINS0_5tupleIJjjEEENS0_10empty_typeEEEZNS1_10merge_implIS3_NS0_12zip_iteratorINS5_IJN6thrust23THRUST_200600_302600_NS6detail15normal_iteratorINSC_10device_ptrIKjEEEESI_EEEEESK_NSA_INS5_IJNSE_INSF_IjEEEESM_EEEEEPS7_SP_SP_NSC_11hip_rocprim7__merge17predicate_wrapperIjjNSC_7greaterIjEEEEEE10hipError_tPvRmT0_T1_T2_T3_T4_T5_mmT6_P12ihipStream_tbEUlT_E0_NS1_11comp_targetILNS1_3genE8ELNS1_11target_archE1030ELNS1_3gpuE2ELNS1_3repE0EEENS1_30default_config_static_selectorELNS0_4arch9wavefront6targetE0EEEvS10_
                                        ; -- End function
	.set _ZN7rocprim17ROCPRIM_400000_NS6detail17trampoline_kernelINS0_14default_configENS1_21merge_config_selectorINS0_5tupleIJjjEEENS0_10empty_typeEEEZNS1_10merge_implIS3_NS0_12zip_iteratorINS5_IJN6thrust23THRUST_200600_302600_NS6detail15normal_iteratorINSC_10device_ptrIKjEEEESI_EEEEESK_NSA_INS5_IJNSE_INSF_IjEEEESM_EEEEEPS7_SP_SP_NSC_11hip_rocprim7__merge17predicate_wrapperIjjNSC_7greaterIjEEEEEE10hipError_tPvRmT0_T1_T2_T3_T4_T5_mmT6_P12ihipStream_tbEUlT_E0_NS1_11comp_targetILNS1_3genE8ELNS1_11target_archE1030ELNS1_3gpuE2ELNS1_3repE0EEENS1_30default_config_static_selectorELNS0_4arch9wavefront6targetE0EEEvS10_.num_vgpr, 73
	.set _ZN7rocprim17ROCPRIM_400000_NS6detail17trampoline_kernelINS0_14default_configENS1_21merge_config_selectorINS0_5tupleIJjjEEENS0_10empty_typeEEEZNS1_10merge_implIS3_NS0_12zip_iteratorINS5_IJN6thrust23THRUST_200600_302600_NS6detail15normal_iteratorINSC_10device_ptrIKjEEEESI_EEEEESK_NSA_INS5_IJNSE_INSF_IjEEEESM_EEEEEPS7_SP_SP_NSC_11hip_rocprim7__merge17predicate_wrapperIjjNSC_7greaterIjEEEEEE10hipError_tPvRmT0_T1_T2_T3_T4_T5_mmT6_P12ihipStream_tbEUlT_E0_NS1_11comp_targetILNS1_3genE8ELNS1_11target_archE1030ELNS1_3gpuE2ELNS1_3repE0EEENS1_30default_config_static_selectorELNS0_4arch9wavefront6targetE0EEEvS10_.num_agpr, 0
	.set _ZN7rocprim17ROCPRIM_400000_NS6detail17trampoline_kernelINS0_14default_configENS1_21merge_config_selectorINS0_5tupleIJjjEEENS0_10empty_typeEEEZNS1_10merge_implIS3_NS0_12zip_iteratorINS5_IJN6thrust23THRUST_200600_302600_NS6detail15normal_iteratorINSC_10device_ptrIKjEEEESI_EEEEESK_NSA_INS5_IJNSE_INSF_IjEEEESM_EEEEEPS7_SP_SP_NSC_11hip_rocprim7__merge17predicate_wrapperIjjNSC_7greaterIjEEEEEE10hipError_tPvRmT0_T1_T2_T3_T4_T5_mmT6_P12ihipStream_tbEUlT_E0_NS1_11comp_targetILNS1_3genE8ELNS1_11target_archE1030ELNS1_3gpuE2ELNS1_3repE0EEENS1_30default_config_static_selectorELNS0_4arch9wavefront6targetE0EEEvS10_.numbered_sgpr, 28
	.set _ZN7rocprim17ROCPRIM_400000_NS6detail17trampoline_kernelINS0_14default_configENS1_21merge_config_selectorINS0_5tupleIJjjEEENS0_10empty_typeEEEZNS1_10merge_implIS3_NS0_12zip_iteratorINS5_IJN6thrust23THRUST_200600_302600_NS6detail15normal_iteratorINSC_10device_ptrIKjEEEESI_EEEEESK_NSA_INS5_IJNSE_INSF_IjEEEESM_EEEEEPS7_SP_SP_NSC_11hip_rocprim7__merge17predicate_wrapperIjjNSC_7greaterIjEEEEEE10hipError_tPvRmT0_T1_T2_T3_T4_T5_mmT6_P12ihipStream_tbEUlT_E0_NS1_11comp_targetILNS1_3genE8ELNS1_11target_archE1030ELNS1_3gpuE2ELNS1_3repE0EEENS1_30default_config_static_selectorELNS0_4arch9wavefront6targetE0EEEvS10_.num_named_barrier, 0
	.set _ZN7rocprim17ROCPRIM_400000_NS6detail17trampoline_kernelINS0_14default_configENS1_21merge_config_selectorINS0_5tupleIJjjEEENS0_10empty_typeEEEZNS1_10merge_implIS3_NS0_12zip_iteratorINS5_IJN6thrust23THRUST_200600_302600_NS6detail15normal_iteratorINSC_10device_ptrIKjEEEESI_EEEEESK_NSA_INS5_IJNSE_INSF_IjEEEESM_EEEEEPS7_SP_SP_NSC_11hip_rocprim7__merge17predicate_wrapperIjjNSC_7greaterIjEEEEEE10hipError_tPvRmT0_T1_T2_T3_T4_T5_mmT6_P12ihipStream_tbEUlT_E0_NS1_11comp_targetILNS1_3genE8ELNS1_11target_archE1030ELNS1_3gpuE2ELNS1_3repE0EEENS1_30default_config_static_selectorELNS0_4arch9wavefront6targetE0EEEvS10_.private_seg_size, 0
	.set _ZN7rocprim17ROCPRIM_400000_NS6detail17trampoline_kernelINS0_14default_configENS1_21merge_config_selectorINS0_5tupleIJjjEEENS0_10empty_typeEEEZNS1_10merge_implIS3_NS0_12zip_iteratorINS5_IJN6thrust23THRUST_200600_302600_NS6detail15normal_iteratorINSC_10device_ptrIKjEEEESI_EEEEESK_NSA_INS5_IJNSE_INSF_IjEEEESM_EEEEEPS7_SP_SP_NSC_11hip_rocprim7__merge17predicate_wrapperIjjNSC_7greaterIjEEEEEE10hipError_tPvRmT0_T1_T2_T3_T4_T5_mmT6_P12ihipStream_tbEUlT_E0_NS1_11comp_targetILNS1_3genE8ELNS1_11target_archE1030ELNS1_3gpuE2ELNS1_3repE0EEENS1_30default_config_static_selectorELNS0_4arch9wavefront6targetE0EEEvS10_.uses_vcc, 1
	.set _ZN7rocprim17ROCPRIM_400000_NS6detail17trampoline_kernelINS0_14default_configENS1_21merge_config_selectorINS0_5tupleIJjjEEENS0_10empty_typeEEEZNS1_10merge_implIS3_NS0_12zip_iteratorINS5_IJN6thrust23THRUST_200600_302600_NS6detail15normal_iteratorINSC_10device_ptrIKjEEEESI_EEEEESK_NSA_INS5_IJNSE_INSF_IjEEEESM_EEEEEPS7_SP_SP_NSC_11hip_rocprim7__merge17predicate_wrapperIjjNSC_7greaterIjEEEEEE10hipError_tPvRmT0_T1_T2_T3_T4_T5_mmT6_P12ihipStream_tbEUlT_E0_NS1_11comp_targetILNS1_3genE8ELNS1_11target_archE1030ELNS1_3gpuE2ELNS1_3repE0EEENS1_30default_config_static_selectorELNS0_4arch9wavefront6targetE0EEEvS10_.uses_flat_scratch, 0
	.set _ZN7rocprim17ROCPRIM_400000_NS6detail17trampoline_kernelINS0_14default_configENS1_21merge_config_selectorINS0_5tupleIJjjEEENS0_10empty_typeEEEZNS1_10merge_implIS3_NS0_12zip_iteratorINS5_IJN6thrust23THRUST_200600_302600_NS6detail15normal_iteratorINSC_10device_ptrIKjEEEESI_EEEEESK_NSA_INS5_IJNSE_INSF_IjEEEESM_EEEEEPS7_SP_SP_NSC_11hip_rocprim7__merge17predicate_wrapperIjjNSC_7greaterIjEEEEEE10hipError_tPvRmT0_T1_T2_T3_T4_T5_mmT6_P12ihipStream_tbEUlT_E0_NS1_11comp_targetILNS1_3genE8ELNS1_11target_archE1030ELNS1_3gpuE2ELNS1_3repE0EEENS1_30default_config_static_selectorELNS0_4arch9wavefront6targetE0EEEvS10_.has_dyn_sized_stack, 0
	.set _ZN7rocprim17ROCPRIM_400000_NS6detail17trampoline_kernelINS0_14default_configENS1_21merge_config_selectorINS0_5tupleIJjjEEENS0_10empty_typeEEEZNS1_10merge_implIS3_NS0_12zip_iteratorINS5_IJN6thrust23THRUST_200600_302600_NS6detail15normal_iteratorINSC_10device_ptrIKjEEEESI_EEEEESK_NSA_INS5_IJNSE_INSF_IjEEEESM_EEEEEPS7_SP_SP_NSC_11hip_rocprim7__merge17predicate_wrapperIjjNSC_7greaterIjEEEEEE10hipError_tPvRmT0_T1_T2_T3_T4_T5_mmT6_P12ihipStream_tbEUlT_E0_NS1_11comp_targetILNS1_3genE8ELNS1_11target_archE1030ELNS1_3gpuE2ELNS1_3repE0EEENS1_30default_config_static_selectorELNS0_4arch9wavefront6targetE0EEEvS10_.has_recursion, 0
	.set _ZN7rocprim17ROCPRIM_400000_NS6detail17trampoline_kernelINS0_14default_configENS1_21merge_config_selectorINS0_5tupleIJjjEEENS0_10empty_typeEEEZNS1_10merge_implIS3_NS0_12zip_iteratorINS5_IJN6thrust23THRUST_200600_302600_NS6detail15normal_iteratorINSC_10device_ptrIKjEEEESI_EEEEESK_NSA_INS5_IJNSE_INSF_IjEEEESM_EEEEEPS7_SP_SP_NSC_11hip_rocprim7__merge17predicate_wrapperIjjNSC_7greaterIjEEEEEE10hipError_tPvRmT0_T1_T2_T3_T4_T5_mmT6_P12ihipStream_tbEUlT_E0_NS1_11comp_targetILNS1_3genE8ELNS1_11target_archE1030ELNS1_3gpuE2ELNS1_3repE0EEENS1_30default_config_static_selectorELNS0_4arch9wavefront6targetE0EEEvS10_.has_indirect_call, 0
	.section	.AMDGPU.csdata,"",@progbits
; Kernel info:
; codeLenInByte = 8104
; TotalNumSgprs: 30
; NumVgprs: 73
; ScratchSize: 0
; MemoryBound: 0
; FloatMode: 240
; IeeeMode: 1
; LDSByteSize: 33792 bytes/workgroup (compile time only)
; SGPRBlocks: 0
; VGPRBlocks: 18
; NumSGPRsForWavesPerEU: 30
; NumVGPRsForWavesPerEU: 145
; Occupancy: 6
; WaveLimiterHint : 1
; COMPUTE_PGM_RSRC2:SCRATCH_EN: 0
; COMPUTE_PGM_RSRC2:USER_SGPR: 6
; COMPUTE_PGM_RSRC2:TRAP_HANDLER: 0
; COMPUTE_PGM_RSRC2:TGID_X_EN: 1
; COMPUTE_PGM_RSRC2:TGID_Y_EN: 0
; COMPUTE_PGM_RSRC2:TGID_Z_EN: 0
; COMPUTE_PGM_RSRC2:TIDIG_COMP_CNT: 0
	.section	.text._ZN7rocprim17ROCPRIM_400000_NS6detail17trampoline_kernelINS0_14default_configENS1_21merge_config_selectorINS0_5tupleIJttEEENS0_10empty_typeEEEZNS1_10merge_implIS3_NS0_12zip_iteratorINS5_IJN6thrust23THRUST_200600_302600_NS6detail15normal_iteratorINSC_10device_ptrIKtEEEESI_EEEEESK_NSA_INS5_IJNSE_INSF_ItEEEESM_EEEEEPS7_SP_SP_NSC_11hip_rocprim7__merge17predicate_wrapperIttNSC_7greaterItEEEEEE10hipError_tPvRmT0_T1_T2_T3_T4_T5_mmT6_P12ihipStream_tbEUlT_E_NS1_11comp_targetILNS1_3genE0ELNS1_11target_archE4294967295ELNS1_3gpuE0ELNS1_3repE0EEENS1_30default_config_static_selectorELNS0_4arch9wavefront6targetE0EEEvS10_,"axG",@progbits,_ZN7rocprim17ROCPRIM_400000_NS6detail17trampoline_kernelINS0_14default_configENS1_21merge_config_selectorINS0_5tupleIJttEEENS0_10empty_typeEEEZNS1_10merge_implIS3_NS0_12zip_iteratorINS5_IJN6thrust23THRUST_200600_302600_NS6detail15normal_iteratorINSC_10device_ptrIKtEEEESI_EEEEESK_NSA_INS5_IJNSE_INSF_ItEEEESM_EEEEEPS7_SP_SP_NSC_11hip_rocprim7__merge17predicate_wrapperIttNSC_7greaterItEEEEEE10hipError_tPvRmT0_T1_T2_T3_T4_T5_mmT6_P12ihipStream_tbEUlT_E_NS1_11comp_targetILNS1_3genE0ELNS1_11target_archE4294967295ELNS1_3gpuE0ELNS1_3repE0EEENS1_30default_config_static_selectorELNS0_4arch9wavefront6targetE0EEEvS10_,comdat
	.protected	_ZN7rocprim17ROCPRIM_400000_NS6detail17trampoline_kernelINS0_14default_configENS1_21merge_config_selectorINS0_5tupleIJttEEENS0_10empty_typeEEEZNS1_10merge_implIS3_NS0_12zip_iteratorINS5_IJN6thrust23THRUST_200600_302600_NS6detail15normal_iteratorINSC_10device_ptrIKtEEEESI_EEEEESK_NSA_INS5_IJNSE_INSF_ItEEEESM_EEEEEPS7_SP_SP_NSC_11hip_rocprim7__merge17predicate_wrapperIttNSC_7greaterItEEEEEE10hipError_tPvRmT0_T1_T2_T3_T4_T5_mmT6_P12ihipStream_tbEUlT_E_NS1_11comp_targetILNS1_3genE0ELNS1_11target_archE4294967295ELNS1_3gpuE0ELNS1_3repE0EEENS1_30default_config_static_selectorELNS0_4arch9wavefront6targetE0EEEvS10_ ; -- Begin function _ZN7rocprim17ROCPRIM_400000_NS6detail17trampoline_kernelINS0_14default_configENS1_21merge_config_selectorINS0_5tupleIJttEEENS0_10empty_typeEEEZNS1_10merge_implIS3_NS0_12zip_iteratorINS5_IJN6thrust23THRUST_200600_302600_NS6detail15normal_iteratorINSC_10device_ptrIKtEEEESI_EEEEESK_NSA_INS5_IJNSE_INSF_ItEEEESM_EEEEEPS7_SP_SP_NSC_11hip_rocprim7__merge17predicate_wrapperIttNSC_7greaterItEEEEEE10hipError_tPvRmT0_T1_T2_T3_T4_T5_mmT6_P12ihipStream_tbEUlT_E_NS1_11comp_targetILNS1_3genE0ELNS1_11target_archE4294967295ELNS1_3gpuE0ELNS1_3repE0EEENS1_30default_config_static_selectorELNS0_4arch9wavefront6targetE0EEEvS10_
	.globl	_ZN7rocprim17ROCPRIM_400000_NS6detail17trampoline_kernelINS0_14default_configENS1_21merge_config_selectorINS0_5tupleIJttEEENS0_10empty_typeEEEZNS1_10merge_implIS3_NS0_12zip_iteratorINS5_IJN6thrust23THRUST_200600_302600_NS6detail15normal_iteratorINSC_10device_ptrIKtEEEESI_EEEEESK_NSA_INS5_IJNSE_INSF_ItEEEESM_EEEEEPS7_SP_SP_NSC_11hip_rocprim7__merge17predicate_wrapperIttNSC_7greaterItEEEEEE10hipError_tPvRmT0_T1_T2_T3_T4_T5_mmT6_P12ihipStream_tbEUlT_E_NS1_11comp_targetILNS1_3genE0ELNS1_11target_archE4294967295ELNS1_3gpuE0ELNS1_3repE0EEENS1_30default_config_static_selectorELNS0_4arch9wavefront6targetE0EEEvS10_
	.p2align	8
	.type	_ZN7rocprim17ROCPRIM_400000_NS6detail17trampoline_kernelINS0_14default_configENS1_21merge_config_selectorINS0_5tupleIJttEEENS0_10empty_typeEEEZNS1_10merge_implIS3_NS0_12zip_iteratorINS5_IJN6thrust23THRUST_200600_302600_NS6detail15normal_iteratorINSC_10device_ptrIKtEEEESI_EEEEESK_NSA_INS5_IJNSE_INSF_ItEEEESM_EEEEEPS7_SP_SP_NSC_11hip_rocprim7__merge17predicate_wrapperIttNSC_7greaterItEEEEEE10hipError_tPvRmT0_T1_T2_T3_T4_T5_mmT6_P12ihipStream_tbEUlT_E_NS1_11comp_targetILNS1_3genE0ELNS1_11target_archE4294967295ELNS1_3gpuE0ELNS1_3repE0EEENS1_30default_config_static_selectorELNS0_4arch9wavefront6targetE0EEEvS10_,@function
_ZN7rocprim17ROCPRIM_400000_NS6detail17trampoline_kernelINS0_14default_configENS1_21merge_config_selectorINS0_5tupleIJttEEENS0_10empty_typeEEEZNS1_10merge_implIS3_NS0_12zip_iteratorINS5_IJN6thrust23THRUST_200600_302600_NS6detail15normal_iteratorINSC_10device_ptrIKtEEEESI_EEEEESK_NSA_INS5_IJNSE_INSF_ItEEEESM_EEEEEPS7_SP_SP_NSC_11hip_rocprim7__merge17predicate_wrapperIttNSC_7greaterItEEEEEE10hipError_tPvRmT0_T1_T2_T3_T4_T5_mmT6_P12ihipStream_tbEUlT_E_NS1_11comp_targetILNS1_3genE0ELNS1_11target_archE4294967295ELNS1_3gpuE0ELNS1_3repE0EEENS1_30default_config_static_selectorELNS0_4arch9wavefront6targetE0EEEvS10_: ; @_ZN7rocprim17ROCPRIM_400000_NS6detail17trampoline_kernelINS0_14default_configENS1_21merge_config_selectorINS0_5tupleIJttEEENS0_10empty_typeEEEZNS1_10merge_implIS3_NS0_12zip_iteratorINS5_IJN6thrust23THRUST_200600_302600_NS6detail15normal_iteratorINSC_10device_ptrIKtEEEESI_EEEEESK_NSA_INS5_IJNSE_INSF_ItEEEESM_EEEEEPS7_SP_SP_NSC_11hip_rocprim7__merge17predicate_wrapperIttNSC_7greaterItEEEEEE10hipError_tPvRmT0_T1_T2_T3_T4_T5_mmT6_P12ihipStream_tbEUlT_E_NS1_11comp_targetILNS1_3genE0ELNS1_11target_archE4294967295ELNS1_3gpuE0ELNS1_3repE0EEENS1_30default_config_static_selectorELNS0_4arch9wavefront6targetE0EEEvS10_
; %bb.0:
	.section	.rodata,"a",@progbits
	.p2align	6, 0x0
	.amdhsa_kernel _ZN7rocprim17ROCPRIM_400000_NS6detail17trampoline_kernelINS0_14default_configENS1_21merge_config_selectorINS0_5tupleIJttEEENS0_10empty_typeEEEZNS1_10merge_implIS3_NS0_12zip_iteratorINS5_IJN6thrust23THRUST_200600_302600_NS6detail15normal_iteratorINSC_10device_ptrIKtEEEESI_EEEEESK_NSA_INS5_IJNSE_INSF_ItEEEESM_EEEEEPS7_SP_SP_NSC_11hip_rocprim7__merge17predicate_wrapperIttNSC_7greaterItEEEEEE10hipError_tPvRmT0_T1_T2_T3_T4_T5_mmT6_P12ihipStream_tbEUlT_E_NS1_11comp_targetILNS1_3genE0ELNS1_11target_archE4294967295ELNS1_3gpuE0ELNS1_3repE0EEENS1_30default_config_static_selectorELNS0_4arch9wavefront6targetE0EEEvS10_
		.amdhsa_group_segment_fixed_size 0
		.amdhsa_private_segment_fixed_size 0
		.amdhsa_kernarg_size 64
		.amdhsa_user_sgpr_count 6
		.amdhsa_user_sgpr_private_segment_buffer 1
		.amdhsa_user_sgpr_dispatch_ptr 0
		.amdhsa_user_sgpr_queue_ptr 0
		.amdhsa_user_sgpr_kernarg_segment_ptr 1
		.amdhsa_user_sgpr_dispatch_id 0
		.amdhsa_user_sgpr_flat_scratch_init 0
		.amdhsa_user_sgpr_private_segment_size 0
		.amdhsa_wavefront_size32 1
		.amdhsa_uses_dynamic_stack 0
		.amdhsa_system_sgpr_private_segment_wavefront_offset 0
		.amdhsa_system_sgpr_workgroup_id_x 1
		.amdhsa_system_sgpr_workgroup_id_y 0
		.amdhsa_system_sgpr_workgroup_id_z 0
		.amdhsa_system_sgpr_workgroup_info 0
		.amdhsa_system_vgpr_workitem_id 0
		.amdhsa_next_free_vgpr 1
		.amdhsa_next_free_sgpr 1
		.amdhsa_reserve_vcc 0
		.amdhsa_reserve_flat_scratch 0
		.amdhsa_float_round_mode_32 0
		.amdhsa_float_round_mode_16_64 0
		.amdhsa_float_denorm_mode_32 3
		.amdhsa_float_denorm_mode_16_64 3
		.amdhsa_dx10_clamp 1
		.amdhsa_ieee_mode 1
		.amdhsa_fp16_overflow 0
		.amdhsa_workgroup_processor_mode 1
		.amdhsa_memory_ordered 1
		.amdhsa_forward_progress 1
		.amdhsa_shared_vgpr_count 0
		.amdhsa_exception_fp_ieee_invalid_op 0
		.amdhsa_exception_fp_denorm_src 0
		.amdhsa_exception_fp_ieee_div_zero 0
		.amdhsa_exception_fp_ieee_overflow 0
		.amdhsa_exception_fp_ieee_underflow 0
		.amdhsa_exception_fp_ieee_inexact 0
		.amdhsa_exception_int_div_zero 0
	.end_amdhsa_kernel
	.section	.text._ZN7rocprim17ROCPRIM_400000_NS6detail17trampoline_kernelINS0_14default_configENS1_21merge_config_selectorINS0_5tupleIJttEEENS0_10empty_typeEEEZNS1_10merge_implIS3_NS0_12zip_iteratorINS5_IJN6thrust23THRUST_200600_302600_NS6detail15normal_iteratorINSC_10device_ptrIKtEEEESI_EEEEESK_NSA_INS5_IJNSE_INSF_ItEEEESM_EEEEEPS7_SP_SP_NSC_11hip_rocprim7__merge17predicate_wrapperIttNSC_7greaterItEEEEEE10hipError_tPvRmT0_T1_T2_T3_T4_T5_mmT6_P12ihipStream_tbEUlT_E_NS1_11comp_targetILNS1_3genE0ELNS1_11target_archE4294967295ELNS1_3gpuE0ELNS1_3repE0EEENS1_30default_config_static_selectorELNS0_4arch9wavefront6targetE0EEEvS10_,"axG",@progbits,_ZN7rocprim17ROCPRIM_400000_NS6detail17trampoline_kernelINS0_14default_configENS1_21merge_config_selectorINS0_5tupleIJttEEENS0_10empty_typeEEEZNS1_10merge_implIS3_NS0_12zip_iteratorINS5_IJN6thrust23THRUST_200600_302600_NS6detail15normal_iteratorINSC_10device_ptrIKtEEEESI_EEEEESK_NSA_INS5_IJNSE_INSF_ItEEEESM_EEEEEPS7_SP_SP_NSC_11hip_rocprim7__merge17predicate_wrapperIttNSC_7greaterItEEEEEE10hipError_tPvRmT0_T1_T2_T3_T4_T5_mmT6_P12ihipStream_tbEUlT_E_NS1_11comp_targetILNS1_3genE0ELNS1_11target_archE4294967295ELNS1_3gpuE0ELNS1_3repE0EEENS1_30default_config_static_selectorELNS0_4arch9wavefront6targetE0EEEvS10_,comdat
.Lfunc_end389:
	.size	_ZN7rocprim17ROCPRIM_400000_NS6detail17trampoline_kernelINS0_14default_configENS1_21merge_config_selectorINS0_5tupleIJttEEENS0_10empty_typeEEEZNS1_10merge_implIS3_NS0_12zip_iteratorINS5_IJN6thrust23THRUST_200600_302600_NS6detail15normal_iteratorINSC_10device_ptrIKtEEEESI_EEEEESK_NSA_INS5_IJNSE_INSF_ItEEEESM_EEEEEPS7_SP_SP_NSC_11hip_rocprim7__merge17predicate_wrapperIttNSC_7greaterItEEEEEE10hipError_tPvRmT0_T1_T2_T3_T4_T5_mmT6_P12ihipStream_tbEUlT_E_NS1_11comp_targetILNS1_3genE0ELNS1_11target_archE4294967295ELNS1_3gpuE0ELNS1_3repE0EEENS1_30default_config_static_selectorELNS0_4arch9wavefront6targetE0EEEvS10_, .Lfunc_end389-_ZN7rocprim17ROCPRIM_400000_NS6detail17trampoline_kernelINS0_14default_configENS1_21merge_config_selectorINS0_5tupleIJttEEENS0_10empty_typeEEEZNS1_10merge_implIS3_NS0_12zip_iteratorINS5_IJN6thrust23THRUST_200600_302600_NS6detail15normal_iteratorINSC_10device_ptrIKtEEEESI_EEEEESK_NSA_INS5_IJNSE_INSF_ItEEEESM_EEEEEPS7_SP_SP_NSC_11hip_rocprim7__merge17predicate_wrapperIttNSC_7greaterItEEEEEE10hipError_tPvRmT0_T1_T2_T3_T4_T5_mmT6_P12ihipStream_tbEUlT_E_NS1_11comp_targetILNS1_3genE0ELNS1_11target_archE4294967295ELNS1_3gpuE0ELNS1_3repE0EEENS1_30default_config_static_selectorELNS0_4arch9wavefront6targetE0EEEvS10_
                                        ; -- End function
	.set _ZN7rocprim17ROCPRIM_400000_NS6detail17trampoline_kernelINS0_14default_configENS1_21merge_config_selectorINS0_5tupleIJttEEENS0_10empty_typeEEEZNS1_10merge_implIS3_NS0_12zip_iteratorINS5_IJN6thrust23THRUST_200600_302600_NS6detail15normal_iteratorINSC_10device_ptrIKtEEEESI_EEEEESK_NSA_INS5_IJNSE_INSF_ItEEEESM_EEEEEPS7_SP_SP_NSC_11hip_rocprim7__merge17predicate_wrapperIttNSC_7greaterItEEEEEE10hipError_tPvRmT0_T1_T2_T3_T4_T5_mmT6_P12ihipStream_tbEUlT_E_NS1_11comp_targetILNS1_3genE0ELNS1_11target_archE4294967295ELNS1_3gpuE0ELNS1_3repE0EEENS1_30default_config_static_selectorELNS0_4arch9wavefront6targetE0EEEvS10_.num_vgpr, 0
	.set _ZN7rocprim17ROCPRIM_400000_NS6detail17trampoline_kernelINS0_14default_configENS1_21merge_config_selectorINS0_5tupleIJttEEENS0_10empty_typeEEEZNS1_10merge_implIS3_NS0_12zip_iteratorINS5_IJN6thrust23THRUST_200600_302600_NS6detail15normal_iteratorINSC_10device_ptrIKtEEEESI_EEEEESK_NSA_INS5_IJNSE_INSF_ItEEEESM_EEEEEPS7_SP_SP_NSC_11hip_rocprim7__merge17predicate_wrapperIttNSC_7greaterItEEEEEE10hipError_tPvRmT0_T1_T2_T3_T4_T5_mmT6_P12ihipStream_tbEUlT_E_NS1_11comp_targetILNS1_3genE0ELNS1_11target_archE4294967295ELNS1_3gpuE0ELNS1_3repE0EEENS1_30default_config_static_selectorELNS0_4arch9wavefront6targetE0EEEvS10_.num_agpr, 0
	.set _ZN7rocprim17ROCPRIM_400000_NS6detail17trampoline_kernelINS0_14default_configENS1_21merge_config_selectorINS0_5tupleIJttEEENS0_10empty_typeEEEZNS1_10merge_implIS3_NS0_12zip_iteratorINS5_IJN6thrust23THRUST_200600_302600_NS6detail15normal_iteratorINSC_10device_ptrIKtEEEESI_EEEEESK_NSA_INS5_IJNSE_INSF_ItEEEESM_EEEEEPS7_SP_SP_NSC_11hip_rocprim7__merge17predicate_wrapperIttNSC_7greaterItEEEEEE10hipError_tPvRmT0_T1_T2_T3_T4_T5_mmT6_P12ihipStream_tbEUlT_E_NS1_11comp_targetILNS1_3genE0ELNS1_11target_archE4294967295ELNS1_3gpuE0ELNS1_3repE0EEENS1_30default_config_static_selectorELNS0_4arch9wavefront6targetE0EEEvS10_.numbered_sgpr, 0
	.set _ZN7rocprim17ROCPRIM_400000_NS6detail17trampoline_kernelINS0_14default_configENS1_21merge_config_selectorINS0_5tupleIJttEEENS0_10empty_typeEEEZNS1_10merge_implIS3_NS0_12zip_iteratorINS5_IJN6thrust23THRUST_200600_302600_NS6detail15normal_iteratorINSC_10device_ptrIKtEEEESI_EEEEESK_NSA_INS5_IJNSE_INSF_ItEEEESM_EEEEEPS7_SP_SP_NSC_11hip_rocprim7__merge17predicate_wrapperIttNSC_7greaterItEEEEEE10hipError_tPvRmT0_T1_T2_T3_T4_T5_mmT6_P12ihipStream_tbEUlT_E_NS1_11comp_targetILNS1_3genE0ELNS1_11target_archE4294967295ELNS1_3gpuE0ELNS1_3repE0EEENS1_30default_config_static_selectorELNS0_4arch9wavefront6targetE0EEEvS10_.num_named_barrier, 0
	.set _ZN7rocprim17ROCPRIM_400000_NS6detail17trampoline_kernelINS0_14default_configENS1_21merge_config_selectorINS0_5tupleIJttEEENS0_10empty_typeEEEZNS1_10merge_implIS3_NS0_12zip_iteratorINS5_IJN6thrust23THRUST_200600_302600_NS6detail15normal_iteratorINSC_10device_ptrIKtEEEESI_EEEEESK_NSA_INS5_IJNSE_INSF_ItEEEESM_EEEEEPS7_SP_SP_NSC_11hip_rocprim7__merge17predicate_wrapperIttNSC_7greaterItEEEEEE10hipError_tPvRmT0_T1_T2_T3_T4_T5_mmT6_P12ihipStream_tbEUlT_E_NS1_11comp_targetILNS1_3genE0ELNS1_11target_archE4294967295ELNS1_3gpuE0ELNS1_3repE0EEENS1_30default_config_static_selectorELNS0_4arch9wavefront6targetE0EEEvS10_.private_seg_size, 0
	.set _ZN7rocprim17ROCPRIM_400000_NS6detail17trampoline_kernelINS0_14default_configENS1_21merge_config_selectorINS0_5tupleIJttEEENS0_10empty_typeEEEZNS1_10merge_implIS3_NS0_12zip_iteratorINS5_IJN6thrust23THRUST_200600_302600_NS6detail15normal_iteratorINSC_10device_ptrIKtEEEESI_EEEEESK_NSA_INS5_IJNSE_INSF_ItEEEESM_EEEEEPS7_SP_SP_NSC_11hip_rocprim7__merge17predicate_wrapperIttNSC_7greaterItEEEEEE10hipError_tPvRmT0_T1_T2_T3_T4_T5_mmT6_P12ihipStream_tbEUlT_E_NS1_11comp_targetILNS1_3genE0ELNS1_11target_archE4294967295ELNS1_3gpuE0ELNS1_3repE0EEENS1_30default_config_static_selectorELNS0_4arch9wavefront6targetE0EEEvS10_.uses_vcc, 0
	.set _ZN7rocprim17ROCPRIM_400000_NS6detail17trampoline_kernelINS0_14default_configENS1_21merge_config_selectorINS0_5tupleIJttEEENS0_10empty_typeEEEZNS1_10merge_implIS3_NS0_12zip_iteratorINS5_IJN6thrust23THRUST_200600_302600_NS6detail15normal_iteratorINSC_10device_ptrIKtEEEESI_EEEEESK_NSA_INS5_IJNSE_INSF_ItEEEESM_EEEEEPS7_SP_SP_NSC_11hip_rocprim7__merge17predicate_wrapperIttNSC_7greaterItEEEEEE10hipError_tPvRmT0_T1_T2_T3_T4_T5_mmT6_P12ihipStream_tbEUlT_E_NS1_11comp_targetILNS1_3genE0ELNS1_11target_archE4294967295ELNS1_3gpuE0ELNS1_3repE0EEENS1_30default_config_static_selectorELNS0_4arch9wavefront6targetE0EEEvS10_.uses_flat_scratch, 0
	.set _ZN7rocprim17ROCPRIM_400000_NS6detail17trampoline_kernelINS0_14default_configENS1_21merge_config_selectorINS0_5tupleIJttEEENS0_10empty_typeEEEZNS1_10merge_implIS3_NS0_12zip_iteratorINS5_IJN6thrust23THRUST_200600_302600_NS6detail15normal_iteratorINSC_10device_ptrIKtEEEESI_EEEEESK_NSA_INS5_IJNSE_INSF_ItEEEESM_EEEEEPS7_SP_SP_NSC_11hip_rocprim7__merge17predicate_wrapperIttNSC_7greaterItEEEEEE10hipError_tPvRmT0_T1_T2_T3_T4_T5_mmT6_P12ihipStream_tbEUlT_E_NS1_11comp_targetILNS1_3genE0ELNS1_11target_archE4294967295ELNS1_3gpuE0ELNS1_3repE0EEENS1_30default_config_static_selectorELNS0_4arch9wavefront6targetE0EEEvS10_.has_dyn_sized_stack, 0
	.set _ZN7rocprim17ROCPRIM_400000_NS6detail17trampoline_kernelINS0_14default_configENS1_21merge_config_selectorINS0_5tupleIJttEEENS0_10empty_typeEEEZNS1_10merge_implIS3_NS0_12zip_iteratorINS5_IJN6thrust23THRUST_200600_302600_NS6detail15normal_iteratorINSC_10device_ptrIKtEEEESI_EEEEESK_NSA_INS5_IJNSE_INSF_ItEEEESM_EEEEEPS7_SP_SP_NSC_11hip_rocprim7__merge17predicate_wrapperIttNSC_7greaterItEEEEEE10hipError_tPvRmT0_T1_T2_T3_T4_T5_mmT6_P12ihipStream_tbEUlT_E_NS1_11comp_targetILNS1_3genE0ELNS1_11target_archE4294967295ELNS1_3gpuE0ELNS1_3repE0EEENS1_30default_config_static_selectorELNS0_4arch9wavefront6targetE0EEEvS10_.has_recursion, 0
	.set _ZN7rocprim17ROCPRIM_400000_NS6detail17trampoline_kernelINS0_14default_configENS1_21merge_config_selectorINS0_5tupleIJttEEENS0_10empty_typeEEEZNS1_10merge_implIS3_NS0_12zip_iteratorINS5_IJN6thrust23THRUST_200600_302600_NS6detail15normal_iteratorINSC_10device_ptrIKtEEEESI_EEEEESK_NSA_INS5_IJNSE_INSF_ItEEEESM_EEEEEPS7_SP_SP_NSC_11hip_rocprim7__merge17predicate_wrapperIttNSC_7greaterItEEEEEE10hipError_tPvRmT0_T1_T2_T3_T4_T5_mmT6_P12ihipStream_tbEUlT_E_NS1_11comp_targetILNS1_3genE0ELNS1_11target_archE4294967295ELNS1_3gpuE0ELNS1_3repE0EEENS1_30default_config_static_selectorELNS0_4arch9wavefront6targetE0EEEvS10_.has_indirect_call, 0
	.section	.AMDGPU.csdata,"",@progbits
; Kernel info:
; codeLenInByte = 0
; TotalNumSgprs: 0
; NumVgprs: 0
; ScratchSize: 0
; MemoryBound: 0
; FloatMode: 240
; IeeeMode: 1
; LDSByteSize: 0 bytes/workgroup (compile time only)
; SGPRBlocks: 0
; VGPRBlocks: 0
; NumSGPRsForWavesPerEU: 1
; NumVGPRsForWavesPerEU: 1
; Occupancy: 16
; WaveLimiterHint : 0
; COMPUTE_PGM_RSRC2:SCRATCH_EN: 0
; COMPUTE_PGM_RSRC2:USER_SGPR: 6
; COMPUTE_PGM_RSRC2:TRAP_HANDLER: 0
; COMPUTE_PGM_RSRC2:TGID_X_EN: 1
; COMPUTE_PGM_RSRC2:TGID_Y_EN: 0
; COMPUTE_PGM_RSRC2:TGID_Z_EN: 0
; COMPUTE_PGM_RSRC2:TIDIG_COMP_CNT: 0
	.section	.text._ZN7rocprim17ROCPRIM_400000_NS6detail17trampoline_kernelINS0_14default_configENS1_21merge_config_selectorINS0_5tupleIJttEEENS0_10empty_typeEEEZNS1_10merge_implIS3_NS0_12zip_iteratorINS5_IJN6thrust23THRUST_200600_302600_NS6detail15normal_iteratorINSC_10device_ptrIKtEEEESI_EEEEESK_NSA_INS5_IJNSE_INSF_ItEEEESM_EEEEEPS7_SP_SP_NSC_11hip_rocprim7__merge17predicate_wrapperIttNSC_7greaterItEEEEEE10hipError_tPvRmT0_T1_T2_T3_T4_T5_mmT6_P12ihipStream_tbEUlT_E_NS1_11comp_targetILNS1_3genE5ELNS1_11target_archE942ELNS1_3gpuE9ELNS1_3repE0EEENS1_30default_config_static_selectorELNS0_4arch9wavefront6targetE0EEEvS10_,"axG",@progbits,_ZN7rocprim17ROCPRIM_400000_NS6detail17trampoline_kernelINS0_14default_configENS1_21merge_config_selectorINS0_5tupleIJttEEENS0_10empty_typeEEEZNS1_10merge_implIS3_NS0_12zip_iteratorINS5_IJN6thrust23THRUST_200600_302600_NS6detail15normal_iteratorINSC_10device_ptrIKtEEEESI_EEEEESK_NSA_INS5_IJNSE_INSF_ItEEEESM_EEEEEPS7_SP_SP_NSC_11hip_rocprim7__merge17predicate_wrapperIttNSC_7greaterItEEEEEE10hipError_tPvRmT0_T1_T2_T3_T4_T5_mmT6_P12ihipStream_tbEUlT_E_NS1_11comp_targetILNS1_3genE5ELNS1_11target_archE942ELNS1_3gpuE9ELNS1_3repE0EEENS1_30default_config_static_selectorELNS0_4arch9wavefront6targetE0EEEvS10_,comdat
	.protected	_ZN7rocprim17ROCPRIM_400000_NS6detail17trampoline_kernelINS0_14default_configENS1_21merge_config_selectorINS0_5tupleIJttEEENS0_10empty_typeEEEZNS1_10merge_implIS3_NS0_12zip_iteratorINS5_IJN6thrust23THRUST_200600_302600_NS6detail15normal_iteratorINSC_10device_ptrIKtEEEESI_EEEEESK_NSA_INS5_IJNSE_INSF_ItEEEESM_EEEEEPS7_SP_SP_NSC_11hip_rocprim7__merge17predicate_wrapperIttNSC_7greaterItEEEEEE10hipError_tPvRmT0_T1_T2_T3_T4_T5_mmT6_P12ihipStream_tbEUlT_E_NS1_11comp_targetILNS1_3genE5ELNS1_11target_archE942ELNS1_3gpuE9ELNS1_3repE0EEENS1_30default_config_static_selectorELNS0_4arch9wavefront6targetE0EEEvS10_ ; -- Begin function _ZN7rocprim17ROCPRIM_400000_NS6detail17trampoline_kernelINS0_14default_configENS1_21merge_config_selectorINS0_5tupleIJttEEENS0_10empty_typeEEEZNS1_10merge_implIS3_NS0_12zip_iteratorINS5_IJN6thrust23THRUST_200600_302600_NS6detail15normal_iteratorINSC_10device_ptrIKtEEEESI_EEEEESK_NSA_INS5_IJNSE_INSF_ItEEEESM_EEEEEPS7_SP_SP_NSC_11hip_rocprim7__merge17predicate_wrapperIttNSC_7greaterItEEEEEE10hipError_tPvRmT0_T1_T2_T3_T4_T5_mmT6_P12ihipStream_tbEUlT_E_NS1_11comp_targetILNS1_3genE5ELNS1_11target_archE942ELNS1_3gpuE9ELNS1_3repE0EEENS1_30default_config_static_selectorELNS0_4arch9wavefront6targetE0EEEvS10_
	.globl	_ZN7rocprim17ROCPRIM_400000_NS6detail17trampoline_kernelINS0_14default_configENS1_21merge_config_selectorINS0_5tupleIJttEEENS0_10empty_typeEEEZNS1_10merge_implIS3_NS0_12zip_iteratorINS5_IJN6thrust23THRUST_200600_302600_NS6detail15normal_iteratorINSC_10device_ptrIKtEEEESI_EEEEESK_NSA_INS5_IJNSE_INSF_ItEEEESM_EEEEEPS7_SP_SP_NSC_11hip_rocprim7__merge17predicate_wrapperIttNSC_7greaterItEEEEEE10hipError_tPvRmT0_T1_T2_T3_T4_T5_mmT6_P12ihipStream_tbEUlT_E_NS1_11comp_targetILNS1_3genE5ELNS1_11target_archE942ELNS1_3gpuE9ELNS1_3repE0EEENS1_30default_config_static_selectorELNS0_4arch9wavefront6targetE0EEEvS10_
	.p2align	8
	.type	_ZN7rocprim17ROCPRIM_400000_NS6detail17trampoline_kernelINS0_14default_configENS1_21merge_config_selectorINS0_5tupleIJttEEENS0_10empty_typeEEEZNS1_10merge_implIS3_NS0_12zip_iteratorINS5_IJN6thrust23THRUST_200600_302600_NS6detail15normal_iteratorINSC_10device_ptrIKtEEEESI_EEEEESK_NSA_INS5_IJNSE_INSF_ItEEEESM_EEEEEPS7_SP_SP_NSC_11hip_rocprim7__merge17predicate_wrapperIttNSC_7greaterItEEEEEE10hipError_tPvRmT0_T1_T2_T3_T4_T5_mmT6_P12ihipStream_tbEUlT_E_NS1_11comp_targetILNS1_3genE5ELNS1_11target_archE942ELNS1_3gpuE9ELNS1_3repE0EEENS1_30default_config_static_selectorELNS0_4arch9wavefront6targetE0EEEvS10_,@function
_ZN7rocprim17ROCPRIM_400000_NS6detail17trampoline_kernelINS0_14default_configENS1_21merge_config_selectorINS0_5tupleIJttEEENS0_10empty_typeEEEZNS1_10merge_implIS3_NS0_12zip_iteratorINS5_IJN6thrust23THRUST_200600_302600_NS6detail15normal_iteratorINSC_10device_ptrIKtEEEESI_EEEEESK_NSA_INS5_IJNSE_INSF_ItEEEESM_EEEEEPS7_SP_SP_NSC_11hip_rocprim7__merge17predicate_wrapperIttNSC_7greaterItEEEEEE10hipError_tPvRmT0_T1_T2_T3_T4_T5_mmT6_P12ihipStream_tbEUlT_E_NS1_11comp_targetILNS1_3genE5ELNS1_11target_archE942ELNS1_3gpuE9ELNS1_3repE0EEENS1_30default_config_static_selectorELNS0_4arch9wavefront6targetE0EEEvS10_: ; @_ZN7rocprim17ROCPRIM_400000_NS6detail17trampoline_kernelINS0_14default_configENS1_21merge_config_selectorINS0_5tupleIJttEEENS0_10empty_typeEEEZNS1_10merge_implIS3_NS0_12zip_iteratorINS5_IJN6thrust23THRUST_200600_302600_NS6detail15normal_iteratorINSC_10device_ptrIKtEEEESI_EEEEESK_NSA_INS5_IJNSE_INSF_ItEEEESM_EEEEEPS7_SP_SP_NSC_11hip_rocprim7__merge17predicate_wrapperIttNSC_7greaterItEEEEEE10hipError_tPvRmT0_T1_T2_T3_T4_T5_mmT6_P12ihipStream_tbEUlT_E_NS1_11comp_targetILNS1_3genE5ELNS1_11target_archE942ELNS1_3gpuE9ELNS1_3repE0EEENS1_30default_config_static_selectorELNS0_4arch9wavefront6targetE0EEEvS10_
; %bb.0:
	.section	.rodata,"a",@progbits
	.p2align	6, 0x0
	.amdhsa_kernel _ZN7rocprim17ROCPRIM_400000_NS6detail17trampoline_kernelINS0_14default_configENS1_21merge_config_selectorINS0_5tupleIJttEEENS0_10empty_typeEEEZNS1_10merge_implIS3_NS0_12zip_iteratorINS5_IJN6thrust23THRUST_200600_302600_NS6detail15normal_iteratorINSC_10device_ptrIKtEEEESI_EEEEESK_NSA_INS5_IJNSE_INSF_ItEEEESM_EEEEEPS7_SP_SP_NSC_11hip_rocprim7__merge17predicate_wrapperIttNSC_7greaterItEEEEEE10hipError_tPvRmT0_T1_T2_T3_T4_T5_mmT6_P12ihipStream_tbEUlT_E_NS1_11comp_targetILNS1_3genE5ELNS1_11target_archE942ELNS1_3gpuE9ELNS1_3repE0EEENS1_30default_config_static_selectorELNS0_4arch9wavefront6targetE0EEEvS10_
		.amdhsa_group_segment_fixed_size 0
		.amdhsa_private_segment_fixed_size 0
		.amdhsa_kernarg_size 64
		.amdhsa_user_sgpr_count 6
		.amdhsa_user_sgpr_private_segment_buffer 1
		.amdhsa_user_sgpr_dispatch_ptr 0
		.amdhsa_user_sgpr_queue_ptr 0
		.amdhsa_user_sgpr_kernarg_segment_ptr 1
		.amdhsa_user_sgpr_dispatch_id 0
		.amdhsa_user_sgpr_flat_scratch_init 0
		.amdhsa_user_sgpr_private_segment_size 0
		.amdhsa_wavefront_size32 1
		.amdhsa_uses_dynamic_stack 0
		.amdhsa_system_sgpr_private_segment_wavefront_offset 0
		.amdhsa_system_sgpr_workgroup_id_x 1
		.amdhsa_system_sgpr_workgroup_id_y 0
		.amdhsa_system_sgpr_workgroup_id_z 0
		.amdhsa_system_sgpr_workgroup_info 0
		.amdhsa_system_vgpr_workitem_id 0
		.amdhsa_next_free_vgpr 1
		.amdhsa_next_free_sgpr 1
		.amdhsa_reserve_vcc 0
		.amdhsa_reserve_flat_scratch 0
		.amdhsa_float_round_mode_32 0
		.amdhsa_float_round_mode_16_64 0
		.amdhsa_float_denorm_mode_32 3
		.amdhsa_float_denorm_mode_16_64 3
		.amdhsa_dx10_clamp 1
		.amdhsa_ieee_mode 1
		.amdhsa_fp16_overflow 0
		.amdhsa_workgroup_processor_mode 1
		.amdhsa_memory_ordered 1
		.amdhsa_forward_progress 1
		.amdhsa_shared_vgpr_count 0
		.amdhsa_exception_fp_ieee_invalid_op 0
		.amdhsa_exception_fp_denorm_src 0
		.amdhsa_exception_fp_ieee_div_zero 0
		.amdhsa_exception_fp_ieee_overflow 0
		.amdhsa_exception_fp_ieee_underflow 0
		.amdhsa_exception_fp_ieee_inexact 0
		.amdhsa_exception_int_div_zero 0
	.end_amdhsa_kernel
	.section	.text._ZN7rocprim17ROCPRIM_400000_NS6detail17trampoline_kernelINS0_14default_configENS1_21merge_config_selectorINS0_5tupleIJttEEENS0_10empty_typeEEEZNS1_10merge_implIS3_NS0_12zip_iteratorINS5_IJN6thrust23THRUST_200600_302600_NS6detail15normal_iteratorINSC_10device_ptrIKtEEEESI_EEEEESK_NSA_INS5_IJNSE_INSF_ItEEEESM_EEEEEPS7_SP_SP_NSC_11hip_rocprim7__merge17predicate_wrapperIttNSC_7greaterItEEEEEE10hipError_tPvRmT0_T1_T2_T3_T4_T5_mmT6_P12ihipStream_tbEUlT_E_NS1_11comp_targetILNS1_3genE5ELNS1_11target_archE942ELNS1_3gpuE9ELNS1_3repE0EEENS1_30default_config_static_selectorELNS0_4arch9wavefront6targetE0EEEvS10_,"axG",@progbits,_ZN7rocprim17ROCPRIM_400000_NS6detail17trampoline_kernelINS0_14default_configENS1_21merge_config_selectorINS0_5tupleIJttEEENS0_10empty_typeEEEZNS1_10merge_implIS3_NS0_12zip_iteratorINS5_IJN6thrust23THRUST_200600_302600_NS6detail15normal_iteratorINSC_10device_ptrIKtEEEESI_EEEEESK_NSA_INS5_IJNSE_INSF_ItEEEESM_EEEEEPS7_SP_SP_NSC_11hip_rocprim7__merge17predicate_wrapperIttNSC_7greaterItEEEEEE10hipError_tPvRmT0_T1_T2_T3_T4_T5_mmT6_P12ihipStream_tbEUlT_E_NS1_11comp_targetILNS1_3genE5ELNS1_11target_archE942ELNS1_3gpuE9ELNS1_3repE0EEENS1_30default_config_static_selectorELNS0_4arch9wavefront6targetE0EEEvS10_,comdat
.Lfunc_end390:
	.size	_ZN7rocprim17ROCPRIM_400000_NS6detail17trampoline_kernelINS0_14default_configENS1_21merge_config_selectorINS0_5tupleIJttEEENS0_10empty_typeEEEZNS1_10merge_implIS3_NS0_12zip_iteratorINS5_IJN6thrust23THRUST_200600_302600_NS6detail15normal_iteratorINSC_10device_ptrIKtEEEESI_EEEEESK_NSA_INS5_IJNSE_INSF_ItEEEESM_EEEEEPS7_SP_SP_NSC_11hip_rocprim7__merge17predicate_wrapperIttNSC_7greaterItEEEEEE10hipError_tPvRmT0_T1_T2_T3_T4_T5_mmT6_P12ihipStream_tbEUlT_E_NS1_11comp_targetILNS1_3genE5ELNS1_11target_archE942ELNS1_3gpuE9ELNS1_3repE0EEENS1_30default_config_static_selectorELNS0_4arch9wavefront6targetE0EEEvS10_, .Lfunc_end390-_ZN7rocprim17ROCPRIM_400000_NS6detail17trampoline_kernelINS0_14default_configENS1_21merge_config_selectorINS0_5tupleIJttEEENS0_10empty_typeEEEZNS1_10merge_implIS3_NS0_12zip_iteratorINS5_IJN6thrust23THRUST_200600_302600_NS6detail15normal_iteratorINSC_10device_ptrIKtEEEESI_EEEEESK_NSA_INS5_IJNSE_INSF_ItEEEESM_EEEEEPS7_SP_SP_NSC_11hip_rocprim7__merge17predicate_wrapperIttNSC_7greaterItEEEEEE10hipError_tPvRmT0_T1_T2_T3_T4_T5_mmT6_P12ihipStream_tbEUlT_E_NS1_11comp_targetILNS1_3genE5ELNS1_11target_archE942ELNS1_3gpuE9ELNS1_3repE0EEENS1_30default_config_static_selectorELNS0_4arch9wavefront6targetE0EEEvS10_
                                        ; -- End function
	.set _ZN7rocprim17ROCPRIM_400000_NS6detail17trampoline_kernelINS0_14default_configENS1_21merge_config_selectorINS0_5tupleIJttEEENS0_10empty_typeEEEZNS1_10merge_implIS3_NS0_12zip_iteratorINS5_IJN6thrust23THRUST_200600_302600_NS6detail15normal_iteratorINSC_10device_ptrIKtEEEESI_EEEEESK_NSA_INS5_IJNSE_INSF_ItEEEESM_EEEEEPS7_SP_SP_NSC_11hip_rocprim7__merge17predicate_wrapperIttNSC_7greaterItEEEEEE10hipError_tPvRmT0_T1_T2_T3_T4_T5_mmT6_P12ihipStream_tbEUlT_E_NS1_11comp_targetILNS1_3genE5ELNS1_11target_archE942ELNS1_3gpuE9ELNS1_3repE0EEENS1_30default_config_static_selectorELNS0_4arch9wavefront6targetE0EEEvS10_.num_vgpr, 0
	.set _ZN7rocprim17ROCPRIM_400000_NS6detail17trampoline_kernelINS0_14default_configENS1_21merge_config_selectorINS0_5tupleIJttEEENS0_10empty_typeEEEZNS1_10merge_implIS3_NS0_12zip_iteratorINS5_IJN6thrust23THRUST_200600_302600_NS6detail15normal_iteratorINSC_10device_ptrIKtEEEESI_EEEEESK_NSA_INS5_IJNSE_INSF_ItEEEESM_EEEEEPS7_SP_SP_NSC_11hip_rocprim7__merge17predicate_wrapperIttNSC_7greaterItEEEEEE10hipError_tPvRmT0_T1_T2_T3_T4_T5_mmT6_P12ihipStream_tbEUlT_E_NS1_11comp_targetILNS1_3genE5ELNS1_11target_archE942ELNS1_3gpuE9ELNS1_3repE0EEENS1_30default_config_static_selectorELNS0_4arch9wavefront6targetE0EEEvS10_.num_agpr, 0
	.set _ZN7rocprim17ROCPRIM_400000_NS6detail17trampoline_kernelINS0_14default_configENS1_21merge_config_selectorINS0_5tupleIJttEEENS0_10empty_typeEEEZNS1_10merge_implIS3_NS0_12zip_iteratorINS5_IJN6thrust23THRUST_200600_302600_NS6detail15normal_iteratorINSC_10device_ptrIKtEEEESI_EEEEESK_NSA_INS5_IJNSE_INSF_ItEEEESM_EEEEEPS7_SP_SP_NSC_11hip_rocprim7__merge17predicate_wrapperIttNSC_7greaterItEEEEEE10hipError_tPvRmT0_T1_T2_T3_T4_T5_mmT6_P12ihipStream_tbEUlT_E_NS1_11comp_targetILNS1_3genE5ELNS1_11target_archE942ELNS1_3gpuE9ELNS1_3repE0EEENS1_30default_config_static_selectorELNS0_4arch9wavefront6targetE0EEEvS10_.numbered_sgpr, 0
	.set _ZN7rocprim17ROCPRIM_400000_NS6detail17trampoline_kernelINS0_14default_configENS1_21merge_config_selectorINS0_5tupleIJttEEENS0_10empty_typeEEEZNS1_10merge_implIS3_NS0_12zip_iteratorINS5_IJN6thrust23THRUST_200600_302600_NS6detail15normal_iteratorINSC_10device_ptrIKtEEEESI_EEEEESK_NSA_INS5_IJNSE_INSF_ItEEEESM_EEEEEPS7_SP_SP_NSC_11hip_rocprim7__merge17predicate_wrapperIttNSC_7greaterItEEEEEE10hipError_tPvRmT0_T1_T2_T3_T4_T5_mmT6_P12ihipStream_tbEUlT_E_NS1_11comp_targetILNS1_3genE5ELNS1_11target_archE942ELNS1_3gpuE9ELNS1_3repE0EEENS1_30default_config_static_selectorELNS0_4arch9wavefront6targetE0EEEvS10_.num_named_barrier, 0
	.set _ZN7rocprim17ROCPRIM_400000_NS6detail17trampoline_kernelINS0_14default_configENS1_21merge_config_selectorINS0_5tupleIJttEEENS0_10empty_typeEEEZNS1_10merge_implIS3_NS0_12zip_iteratorINS5_IJN6thrust23THRUST_200600_302600_NS6detail15normal_iteratorINSC_10device_ptrIKtEEEESI_EEEEESK_NSA_INS5_IJNSE_INSF_ItEEEESM_EEEEEPS7_SP_SP_NSC_11hip_rocprim7__merge17predicate_wrapperIttNSC_7greaterItEEEEEE10hipError_tPvRmT0_T1_T2_T3_T4_T5_mmT6_P12ihipStream_tbEUlT_E_NS1_11comp_targetILNS1_3genE5ELNS1_11target_archE942ELNS1_3gpuE9ELNS1_3repE0EEENS1_30default_config_static_selectorELNS0_4arch9wavefront6targetE0EEEvS10_.private_seg_size, 0
	.set _ZN7rocprim17ROCPRIM_400000_NS6detail17trampoline_kernelINS0_14default_configENS1_21merge_config_selectorINS0_5tupleIJttEEENS0_10empty_typeEEEZNS1_10merge_implIS3_NS0_12zip_iteratorINS5_IJN6thrust23THRUST_200600_302600_NS6detail15normal_iteratorINSC_10device_ptrIKtEEEESI_EEEEESK_NSA_INS5_IJNSE_INSF_ItEEEESM_EEEEEPS7_SP_SP_NSC_11hip_rocprim7__merge17predicate_wrapperIttNSC_7greaterItEEEEEE10hipError_tPvRmT0_T1_T2_T3_T4_T5_mmT6_P12ihipStream_tbEUlT_E_NS1_11comp_targetILNS1_3genE5ELNS1_11target_archE942ELNS1_3gpuE9ELNS1_3repE0EEENS1_30default_config_static_selectorELNS0_4arch9wavefront6targetE0EEEvS10_.uses_vcc, 0
	.set _ZN7rocprim17ROCPRIM_400000_NS6detail17trampoline_kernelINS0_14default_configENS1_21merge_config_selectorINS0_5tupleIJttEEENS0_10empty_typeEEEZNS1_10merge_implIS3_NS0_12zip_iteratorINS5_IJN6thrust23THRUST_200600_302600_NS6detail15normal_iteratorINSC_10device_ptrIKtEEEESI_EEEEESK_NSA_INS5_IJNSE_INSF_ItEEEESM_EEEEEPS7_SP_SP_NSC_11hip_rocprim7__merge17predicate_wrapperIttNSC_7greaterItEEEEEE10hipError_tPvRmT0_T1_T2_T3_T4_T5_mmT6_P12ihipStream_tbEUlT_E_NS1_11comp_targetILNS1_3genE5ELNS1_11target_archE942ELNS1_3gpuE9ELNS1_3repE0EEENS1_30default_config_static_selectorELNS0_4arch9wavefront6targetE0EEEvS10_.uses_flat_scratch, 0
	.set _ZN7rocprim17ROCPRIM_400000_NS6detail17trampoline_kernelINS0_14default_configENS1_21merge_config_selectorINS0_5tupleIJttEEENS0_10empty_typeEEEZNS1_10merge_implIS3_NS0_12zip_iteratorINS5_IJN6thrust23THRUST_200600_302600_NS6detail15normal_iteratorINSC_10device_ptrIKtEEEESI_EEEEESK_NSA_INS5_IJNSE_INSF_ItEEEESM_EEEEEPS7_SP_SP_NSC_11hip_rocprim7__merge17predicate_wrapperIttNSC_7greaterItEEEEEE10hipError_tPvRmT0_T1_T2_T3_T4_T5_mmT6_P12ihipStream_tbEUlT_E_NS1_11comp_targetILNS1_3genE5ELNS1_11target_archE942ELNS1_3gpuE9ELNS1_3repE0EEENS1_30default_config_static_selectorELNS0_4arch9wavefront6targetE0EEEvS10_.has_dyn_sized_stack, 0
	.set _ZN7rocprim17ROCPRIM_400000_NS6detail17trampoline_kernelINS0_14default_configENS1_21merge_config_selectorINS0_5tupleIJttEEENS0_10empty_typeEEEZNS1_10merge_implIS3_NS0_12zip_iteratorINS5_IJN6thrust23THRUST_200600_302600_NS6detail15normal_iteratorINSC_10device_ptrIKtEEEESI_EEEEESK_NSA_INS5_IJNSE_INSF_ItEEEESM_EEEEEPS7_SP_SP_NSC_11hip_rocprim7__merge17predicate_wrapperIttNSC_7greaterItEEEEEE10hipError_tPvRmT0_T1_T2_T3_T4_T5_mmT6_P12ihipStream_tbEUlT_E_NS1_11comp_targetILNS1_3genE5ELNS1_11target_archE942ELNS1_3gpuE9ELNS1_3repE0EEENS1_30default_config_static_selectorELNS0_4arch9wavefront6targetE0EEEvS10_.has_recursion, 0
	.set _ZN7rocprim17ROCPRIM_400000_NS6detail17trampoline_kernelINS0_14default_configENS1_21merge_config_selectorINS0_5tupleIJttEEENS0_10empty_typeEEEZNS1_10merge_implIS3_NS0_12zip_iteratorINS5_IJN6thrust23THRUST_200600_302600_NS6detail15normal_iteratorINSC_10device_ptrIKtEEEESI_EEEEESK_NSA_INS5_IJNSE_INSF_ItEEEESM_EEEEEPS7_SP_SP_NSC_11hip_rocprim7__merge17predicate_wrapperIttNSC_7greaterItEEEEEE10hipError_tPvRmT0_T1_T2_T3_T4_T5_mmT6_P12ihipStream_tbEUlT_E_NS1_11comp_targetILNS1_3genE5ELNS1_11target_archE942ELNS1_3gpuE9ELNS1_3repE0EEENS1_30default_config_static_selectorELNS0_4arch9wavefront6targetE0EEEvS10_.has_indirect_call, 0
	.section	.AMDGPU.csdata,"",@progbits
; Kernel info:
; codeLenInByte = 0
; TotalNumSgprs: 0
; NumVgprs: 0
; ScratchSize: 0
; MemoryBound: 0
; FloatMode: 240
; IeeeMode: 1
; LDSByteSize: 0 bytes/workgroup (compile time only)
; SGPRBlocks: 0
; VGPRBlocks: 0
; NumSGPRsForWavesPerEU: 1
; NumVGPRsForWavesPerEU: 1
; Occupancy: 16
; WaveLimiterHint : 0
; COMPUTE_PGM_RSRC2:SCRATCH_EN: 0
; COMPUTE_PGM_RSRC2:USER_SGPR: 6
; COMPUTE_PGM_RSRC2:TRAP_HANDLER: 0
; COMPUTE_PGM_RSRC2:TGID_X_EN: 1
; COMPUTE_PGM_RSRC2:TGID_Y_EN: 0
; COMPUTE_PGM_RSRC2:TGID_Z_EN: 0
; COMPUTE_PGM_RSRC2:TIDIG_COMP_CNT: 0
	.section	.text._ZN7rocprim17ROCPRIM_400000_NS6detail17trampoline_kernelINS0_14default_configENS1_21merge_config_selectorINS0_5tupleIJttEEENS0_10empty_typeEEEZNS1_10merge_implIS3_NS0_12zip_iteratorINS5_IJN6thrust23THRUST_200600_302600_NS6detail15normal_iteratorINSC_10device_ptrIKtEEEESI_EEEEESK_NSA_INS5_IJNSE_INSF_ItEEEESM_EEEEEPS7_SP_SP_NSC_11hip_rocprim7__merge17predicate_wrapperIttNSC_7greaterItEEEEEE10hipError_tPvRmT0_T1_T2_T3_T4_T5_mmT6_P12ihipStream_tbEUlT_E_NS1_11comp_targetILNS1_3genE4ELNS1_11target_archE910ELNS1_3gpuE8ELNS1_3repE0EEENS1_30default_config_static_selectorELNS0_4arch9wavefront6targetE0EEEvS10_,"axG",@progbits,_ZN7rocprim17ROCPRIM_400000_NS6detail17trampoline_kernelINS0_14default_configENS1_21merge_config_selectorINS0_5tupleIJttEEENS0_10empty_typeEEEZNS1_10merge_implIS3_NS0_12zip_iteratorINS5_IJN6thrust23THRUST_200600_302600_NS6detail15normal_iteratorINSC_10device_ptrIKtEEEESI_EEEEESK_NSA_INS5_IJNSE_INSF_ItEEEESM_EEEEEPS7_SP_SP_NSC_11hip_rocprim7__merge17predicate_wrapperIttNSC_7greaterItEEEEEE10hipError_tPvRmT0_T1_T2_T3_T4_T5_mmT6_P12ihipStream_tbEUlT_E_NS1_11comp_targetILNS1_3genE4ELNS1_11target_archE910ELNS1_3gpuE8ELNS1_3repE0EEENS1_30default_config_static_selectorELNS0_4arch9wavefront6targetE0EEEvS10_,comdat
	.protected	_ZN7rocprim17ROCPRIM_400000_NS6detail17trampoline_kernelINS0_14default_configENS1_21merge_config_selectorINS0_5tupleIJttEEENS0_10empty_typeEEEZNS1_10merge_implIS3_NS0_12zip_iteratorINS5_IJN6thrust23THRUST_200600_302600_NS6detail15normal_iteratorINSC_10device_ptrIKtEEEESI_EEEEESK_NSA_INS5_IJNSE_INSF_ItEEEESM_EEEEEPS7_SP_SP_NSC_11hip_rocprim7__merge17predicate_wrapperIttNSC_7greaterItEEEEEE10hipError_tPvRmT0_T1_T2_T3_T4_T5_mmT6_P12ihipStream_tbEUlT_E_NS1_11comp_targetILNS1_3genE4ELNS1_11target_archE910ELNS1_3gpuE8ELNS1_3repE0EEENS1_30default_config_static_selectorELNS0_4arch9wavefront6targetE0EEEvS10_ ; -- Begin function _ZN7rocprim17ROCPRIM_400000_NS6detail17trampoline_kernelINS0_14default_configENS1_21merge_config_selectorINS0_5tupleIJttEEENS0_10empty_typeEEEZNS1_10merge_implIS3_NS0_12zip_iteratorINS5_IJN6thrust23THRUST_200600_302600_NS6detail15normal_iteratorINSC_10device_ptrIKtEEEESI_EEEEESK_NSA_INS5_IJNSE_INSF_ItEEEESM_EEEEEPS7_SP_SP_NSC_11hip_rocprim7__merge17predicate_wrapperIttNSC_7greaterItEEEEEE10hipError_tPvRmT0_T1_T2_T3_T4_T5_mmT6_P12ihipStream_tbEUlT_E_NS1_11comp_targetILNS1_3genE4ELNS1_11target_archE910ELNS1_3gpuE8ELNS1_3repE0EEENS1_30default_config_static_selectorELNS0_4arch9wavefront6targetE0EEEvS10_
	.globl	_ZN7rocprim17ROCPRIM_400000_NS6detail17trampoline_kernelINS0_14default_configENS1_21merge_config_selectorINS0_5tupleIJttEEENS0_10empty_typeEEEZNS1_10merge_implIS3_NS0_12zip_iteratorINS5_IJN6thrust23THRUST_200600_302600_NS6detail15normal_iteratorINSC_10device_ptrIKtEEEESI_EEEEESK_NSA_INS5_IJNSE_INSF_ItEEEESM_EEEEEPS7_SP_SP_NSC_11hip_rocprim7__merge17predicate_wrapperIttNSC_7greaterItEEEEEE10hipError_tPvRmT0_T1_T2_T3_T4_T5_mmT6_P12ihipStream_tbEUlT_E_NS1_11comp_targetILNS1_3genE4ELNS1_11target_archE910ELNS1_3gpuE8ELNS1_3repE0EEENS1_30default_config_static_selectorELNS0_4arch9wavefront6targetE0EEEvS10_
	.p2align	8
	.type	_ZN7rocprim17ROCPRIM_400000_NS6detail17trampoline_kernelINS0_14default_configENS1_21merge_config_selectorINS0_5tupleIJttEEENS0_10empty_typeEEEZNS1_10merge_implIS3_NS0_12zip_iteratorINS5_IJN6thrust23THRUST_200600_302600_NS6detail15normal_iteratorINSC_10device_ptrIKtEEEESI_EEEEESK_NSA_INS5_IJNSE_INSF_ItEEEESM_EEEEEPS7_SP_SP_NSC_11hip_rocprim7__merge17predicate_wrapperIttNSC_7greaterItEEEEEE10hipError_tPvRmT0_T1_T2_T3_T4_T5_mmT6_P12ihipStream_tbEUlT_E_NS1_11comp_targetILNS1_3genE4ELNS1_11target_archE910ELNS1_3gpuE8ELNS1_3repE0EEENS1_30default_config_static_selectorELNS0_4arch9wavefront6targetE0EEEvS10_,@function
_ZN7rocprim17ROCPRIM_400000_NS6detail17trampoline_kernelINS0_14default_configENS1_21merge_config_selectorINS0_5tupleIJttEEENS0_10empty_typeEEEZNS1_10merge_implIS3_NS0_12zip_iteratorINS5_IJN6thrust23THRUST_200600_302600_NS6detail15normal_iteratorINSC_10device_ptrIKtEEEESI_EEEEESK_NSA_INS5_IJNSE_INSF_ItEEEESM_EEEEEPS7_SP_SP_NSC_11hip_rocprim7__merge17predicate_wrapperIttNSC_7greaterItEEEEEE10hipError_tPvRmT0_T1_T2_T3_T4_T5_mmT6_P12ihipStream_tbEUlT_E_NS1_11comp_targetILNS1_3genE4ELNS1_11target_archE910ELNS1_3gpuE8ELNS1_3repE0EEENS1_30default_config_static_selectorELNS0_4arch9wavefront6targetE0EEEvS10_: ; @_ZN7rocprim17ROCPRIM_400000_NS6detail17trampoline_kernelINS0_14default_configENS1_21merge_config_selectorINS0_5tupleIJttEEENS0_10empty_typeEEEZNS1_10merge_implIS3_NS0_12zip_iteratorINS5_IJN6thrust23THRUST_200600_302600_NS6detail15normal_iteratorINSC_10device_ptrIKtEEEESI_EEEEESK_NSA_INS5_IJNSE_INSF_ItEEEESM_EEEEEPS7_SP_SP_NSC_11hip_rocprim7__merge17predicate_wrapperIttNSC_7greaterItEEEEEE10hipError_tPvRmT0_T1_T2_T3_T4_T5_mmT6_P12ihipStream_tbEUlT_E_NS1_11comp_targetILNS1_3genE4ELNS1_11target_archE910ELNS1_3gpuE8ELNS1_3repE0EEENS1_30default_config_static_selectorELNS0_4arch9wavefront6targetE0EEEvS10_
; %bb.0:
	.section	.rodata,"a",@progbits
	.p2align	6, 0x0
	.amdhsa_kernel _ZN7rocprim17ROCPRIM_400000_NS6detail17trampoline_kernelINS0_14default_configENS1_21merge_config_selectorINS0_5tupleIJttEEENS0_10empty_typeEEEZNS1_10merge_implIS3_NS0_12zip_iteratorINS5_IJN6thrust23THRUST_200600_302600_NS6detail15normal_iteratorINSC_10device_ptrIKtEEEESI_EEEEESK_NSA_INS5_IJNSE_INSF_ItEEEESM_EEEEEPS7_SP_SP_NSC_11hip_rocprim7__merge17predicate_wrapperIttNSC_7greaterItEEEEEE10hipError_tPvRmT0_T1_T2_T3_T4_T5_mmT6_P12ihipStream_tbEUlT_E_NS1_11comp_targetILNS1_3genE4ELNS1_11target_archE910ELNS1_3gpuE8ELNS1_3repE0EEENS1_30default_config_static_selectorELNS0_4arch9wavefront6targetE0EEEvS10_
		.amdhsa_group_segment_fixed_size 0
		.amdhsa_private_segment_fixed_size 0
		.amdhsa_kernarg_size 64
		.amdhsa_user_sgpr_count 6
		.amdhsa_user_sgpr_private_segment_buffer 1
		.amdhsa_user_sgpr_dispatch_ptr 0
		.amdhsa_user_sgpr_queue_ptr 0
		.amdhsa_user_sgpr_kernarg_segment_ptr 1
		.amdhsa_user_sgpr_dispatch_id 0
		.amdhsa_user_sgpr_flat_scratch_init 0
		.amdhsa_user_sgpr_private_segment_size 0
		.amdhsa_wavefront_size32 1
		.amdhsa_uses_dynamic_stack 0
		.amdhsa_system_sgpr_private_segment_wavefront_offset 0
		.amdhsa_system_sgpr_workgroup_id_x 1
		.amdhsa_system_sgpr_workgroup_id_y 0
		.amdhsa_system_sgpr_workgroup_id_z 0
		.amdhsa_system_sgpr_workgroup_info 0
		.amdhsa_system_vgpr_workitem_id 0
		.amdhsa_next_free_vgpr 1
		.amdhsa_next_free_sgpr 1
		.amdhsa_reserve_vcc 0
		.amdhsa_reserve_flat_scratch 0
		.amdhsa_float_round_mode_32 0
		.amdhsa_float_round_mode_16_64 0
		.amdhsa_float_denorm_mode_32 3
		.amdhsa_float_denorm_mode_16_64 3
		.amdhsa_dx10_clamp 1
		.amdhsa_ieee_mode 1
		.amdhsa_fp16_overflow 0
		.amdhsa_workgroup_processor_mode 1
		.amdhsa_memory_ordered 1
		.amdhsa_forward_progress 1
		.amdhsa_shared_vgpr_count 0
		.amdhsa_exception_fp_ieee_invalid_op 0
		.amdhsa_exception_fp_denorm_src 0
		.amdhsa_exception_fp_ieee_div_zero 0
		.amdhsa_exception_fp_ieee_overflow 0
		.amdhsa_exception_fp_ieee_underflow 0
		.amdhsa_exception_fp_ieee_inexact 0
		.amdhsa_exception_int_div_zero 0
	.end_amdhsa_kernel
	.section	.text._ZN7rocprim17ROCPRIM_400000_NS6detail17trampoline_kernelINS0_14default_configENS1_21merge_config_selectorINS0_5tupleIJttEEENS0_10empty_typeEEEZNS1_10merge_implIS3_NS0_12zip_iteratorINS5_IJN6thrust23THRUST_200600_302600_NS6detail15normal_iteratorINSC_10device_ptrIKtEEEESI_EEEEESK_NSA_INS5_IJNSE_INSF_ItEEEESM_EEEEEPS7_SP_SP_NSC_11hip_rocprim7__merge17predicate_wrapperIttNSC_7greaterItEEEEEE10hipError_tPvRmT0_T1_T2_T3_T4_T5_mmT6_P12ihipStream_tbEUlT_E_NS1_11comp_targetILNS1_3genE4ELNS1_11target_archE910ELNS1_3gpuE8ELNS1_3repE0EEENS1_30default_config_static_selectorELNS0_4arch9wavefront6targetE0EEEvS10_,"axG",@progbits,_ZN7rocprim17ROCPRIM_400000_NS6detail17trampoline_kernelINS0_14default_configENS1_21merge_config_selectorINS0_5tupleIJttEEENS0_10empty_typeEEEZNS1_10merge_implIS3_NS0_12zip_iteratorINS5_IJN6thrust23THRUST_200600_302600_NS6detail15normal_iteratorINSC_10device_ptrIKtEEEESI_EEEEESK_NSA_INS5_IJNSE_INSF_ItEEEESM_EEEEEPS7_SP_SP_NSC_11hip_rocprim7__merge17predicate_wrapperIttNSC_7greaterItEEEEEE10hipError_tPvRmT0_T1_T2_T3_T4_T5_mmT6_P12ihipStream_tbEUlT_E_NS1_11comp_targetILNS1_3genE4ELNS1_11target_archE910ELNS1_3gpuE8ELNS1_3repE0EEENS1_30default_config_static_selectorELNS0_4arch9wavefront6targetE0EEEvS10_,comdat
.Lfunc_end391:
	.size	_ZN7rocprim17ROCPRIM_400000_NS6detail17trampoline_kernelINS0_14default_configENS1_21merge_config_selectorINS0_5tupleIJttEEENS0_10empty_typeEEEZNS1_10merge_implIS3_NS0_12zip_iteratorINS5_IJN6thrust23THRUST_200600_302600_NS6detail15normal_iteratorINSC_10device_ptrIKtEEEESI_EEEEESK_NSA_INS5_IJNSE_INSF_ItEEEESM_EEEEEPS7_SP_SP_NSC_11hip_rocprim7__merge17predicate_wrapperIttNSC_7greaterItEEEEEE10hipError_tPvRmT0_T1_T2_T3_T4_T5_mmT6_P12ihipStream_tbEUlT_E_NS1_11comp_targetILNS1_3genE4ELNS1_11target_archE910ELNS1_3gpuE8ELNS1_3repE0EEENS1_30default_config_static_selectorELNS0_4arch9wavefront6targetE0EEEvS10_, .Lfunc_end391-_ZN7rocprim17ROCPRIM_400000_NS6detail17trampoline_kernelINS0_14default_configENS1_21merge_config_selectorINS0_5tupleIJttEEENS0_10empty_typeEEEZNS1_10merge_implIS3_NS0_12zip_iteratorINS5_IJN6thrust23THRUST_200600_302600_NS6detail15normal_iteratorINSC_10device_ptrIKtEEEESI_EEEEESK_NSA_INS5_IJNSE_INSF_ItEEEESM_EEEEEPS7_SP_SP_NSC_11hip_rocprim7__merge17predicate_wrapperIttNSC_7greaterItEEEEEE10hipError_tPvRmT0_T1_T2_T3_T4_T5_mmT6_P12ihipStream_tbEUlT_E_NS1_11comp_targetILNS1_3genE4ELNS1_11target_archE910ELNS1_3gpuE8ELNS1_3repE0EEENS1_30default_config_static_selectorELNS0_4arch9wavefront6targetE0EEEvS10_
                                        ; -- End function
	.set _ZN7rocprim17ROCPRIM_400000_NS6detail17trampoline_kernelINS0_14default_configENS1_21merge_config_selectorINS0_5tupleIJttEEENS0_10empty_typeEEEZNS1_10merge_implIS3_NS0_12zip_iteratorINS5_IJN6thrust23THRUST_200600_302600_NS6detail15normal_iteratorINSC_10device_ptrIKtEEEESI_EEEEESK_NSA_INS5_IJNSE_INSF_ItEEEESM_EEEEEPS7_SP_SP_NSC_11hip_rocprim7__merge17predicate_wrapperIttNSC_7greaterItEEEEEE10hipError_tPvRmT0_T1_T2_T3_T4_T5_mmT6_P12ihipStream_tbEUlT_E_NS1_11comp_targetILNS1_3genE4ELNS1_11target_archE910ELNS1_3gpuE8ELNS1_3repE0EEENS1_30default_config_static_selectorELNS0_4arch9wavefront6targetE0EEEvS10_.num_vgpr, 0
	.set _ZN7rocprim17ROCPRIM_400000_NS6detail17trampoline_kernelINS0_14default_configENS1_21merge_config_selectorINS0_5tupleIJttEEENS0_10empty_typeEEEZNS1_10merge_implIS3_NS0_12zip_iteratorINS5_IJN6thrust23THRUST_200600_302600_NS6detail15normal_iteratorINSC_10device_ptrIKtEEEESI_EEEEESK_NSA_INS5_IJNSE_INSF_ItEEEESM_EEEEEPS7_SP_SP_NSC_11hip_rocprim7__merge17predicate_wrapperIttNSC_7greaterItEEEEEE10hipError_tPvRmT0_T1_T2_T3_T4_T5_mmT6_P12ihipStream_tbEUlT_E_NS1_11comp_targetILNS1_3genE4ELNS1_11target_archE910ELNS1_3gpuE8ELNS1_3repE0EEENS1_30default_config_static_selectorELNS0_4arch9wavefront6targetE0EEEvS10_.num_agpr, 0
	.set _ZN7rocprim17ROCPRIM_400000_NS6detail17trampoline_kernelINS0_14default_configENS1_21merge_config_selectorINS0_5tupleIJttEEENS0_10empty_typeEEEZNS1_10merge_implIS3_NS0_12zip_iteratorINS5_IJN6thrust23THRUST_200600_302600_NS6detail15normal_iteratorINSC_10device_ptrIKtEEEESI_EEEEESK_NSA_INS5_IJNSE_INSF_ItEEEESM_EEEEEPS7_SP_SP_NSC_11hip_rocprim7__merge17predicate_wrapperIttNSC_7greaterItEEEEEE10hipError_tPvRmT0_T1_T2_T3_T4_T5_mmT6_P12ihipStream_tbEUlT_E_NS1_11comp_targetILNS1_3genE4ELNS1_11target_archE910ELNS1_3gpuE8ELNS1_3repE0EEENS1_30default_config_static_selectorELNS0_4arch9wavefront6targetE0EEEvS10_.numbered_sgpr, 0
	.set _ZN7rocprim17ROCPRIM_400000_NS6detail17trampoline_kernelINS0_14default_configENS1_21merge_config_selectorINS0_5tupleIJttEEENS0_10empty_typeEEEZNS1_10merge_implIS3_NS0_12zip_iteratorINS5_IJN6thrust23THRUST_200600_302600_NS6detail15normal_iteratorINSC_10device_ptrIKtEEEESI_EEEEESK_NSA_INS5_IJNSE_INSF_ItEEEESM_EEEEEPS7_SP_SP_NSC_11hip_rocprim7__merge17predicate_wrapperIttNSC_7greaterItEEEEEE10hipError_tPvRmT0_T1_T2_T3_T4_T5_mmT6_P12ihipStream_tbEUlT_E_NS1_11comp_targetILNS1_3genE4ELNS1_11target_archE910ELNS1_3gpuE8ELNS1_3repE0EEENS1_30default_config_static_selectorELNS0_4arch9wavefront6targetE0EEEvS10_.num_named_barrier, 0
	.set _ZN7rocprim17ROCPRIM_400000_NS6detail17trampoline_kernelINS0_14default_configENS1_21merge_config_selectorINS0_5tupleIJttEEENS0_10empty_typeEEEZNS1_10merge_implIS3_NS0_12zip_iteratorINS5_IJN6thrust23THRUST_200600_302600_NS6detail15normal_iteratorINSC_10device_ptrIKtEEEESI_EEEEESK_NSA_INS5_IJNSE_INSF_ItEEEESM_EEEEEPS7_SP_SP_NSC_11hip_rocprim7__merge17predicate_wrapperIttNSC_7greaterItEEEEEE10hipError_tPvRmT0_T1_T2_T3_T4_T5_mmT6_P12ihipStream_tbEUlT_E_NS1_11comp_targetILNS1_3genE4ELNS1_11target_archE910ELNS1_3gpuE8ELNS1_3repE0EEENS1_30default_config_static_selectorELNS0_4arch9wavefront6targetE0EEEvS10_.private_seg_size, 0
	.set _ZN7rocprim17ROCPRIM_400000_NS6detail17trampoline_kernelINS0_14default_configENS1_21merge_config_selectorINS0_5tupleIJttEEENS0_10empty_typeEEEZNS1_10merge_implIS3_NS0_12zip_iteratorINS5_IJN6thrust23THRUST_200600_302600_NS6detail15normal_iteratorINSC_10device_ptrIKtEEEESI_EEEEESK_NSA_INS5_IJNSE_INSF_ItEEEESM_EEEEEPS7_SP_SP_NSC_11hip_rocprim7__merge17predicate_wrapperIttNSC_7greaterItEEEEEE10hipError_tPvRmT0_T1_T2_T3_T4_T5_mmT6_P12ihipStream_tbEUlT_E_NS1_11comp_targetILNS1_3genE4ELNS1_11target_archE910ELNS1_3gpuE8ELNS1_3repE0EEENS1_30default_config_static_selectorELNS0_4arch9wavefront6targetE0EEEvS10_.uses_vcc, 0
	.set _ZN7rocprim17ROCPRIM_400000_NS6detail17trampoline_kernelINS0_14default_configENS1_21merge_config_selectorINS0_5tupleIJttEEENS0_10empty_typeEEEZNS1_10merge_implIS3_NS0_12zip_iteratorINS5_IJN6thrust23THRUST_200600_302600_NS6detail15normal_iteratorINSC_10device_ptrIKtEEEESI_EEEEESK_NSA_INS5_IJNSE_INSF_ItEEEESM_EEEEEPS7_SP_SP_NSC_11hip_rocprim7__merge17predicate_wrapperIttNSC_7greaterItEEEEEE10hipError_tPvRmT0_T1_T2_T3_T4_T5_mmT6_P12ihipStream_tbEUlT_E_NS1_11comp_targetILNS1_3genE4ELNS1_11target_archE910ELNS1_3gpuE8ELNS1_3repE0EEENS1_30default_config_static_selectorELNS0_4arch9wavefront6targetE0EEEvS10_.uses_flat_scratch, 0
	.set _ZN7rocprim17ROCPRIM_400000_NS6detail17trampoline_kernelINS0_14default_configENS1_21merge_config_selectorINS0_5tupleIJttEEENS0_10empty_typeEEEZNS1_10merge_implIS3_NS0_12zip_iteratorINS5_IJN6thrust23THRUST_200600_302600_NS6detail15normal_iteratorINSC_10device_ptrIKtEEEESI_EEEEESK_NSA_INS5_IJNSE_INSF_ItEEEESM_EEEEEPS7_SP_SP_NSC_11hip_rocprim7__merge17predicate_wrapperIttNSC_7greaterItEEEEEE10hipError_tPvRmT0_T1_T2_T3_T4_T5_mmT6_P12ihipStream_tbEUlT_E_NS1_11comp_targetILNS1_3genE4ELNS1_11target_archE910ELNS1_3gpuE8ELNS1_3repE0EEENS1_30default_config_static_selectorELNS0_4arch9wavefront6targetE0EEEvS10_.has_dyn_sized_stack, 0
	.set _ZN7rocprim17ROCPRIM_400000_NS6detail17trampoline_kernelINS0_14default_configENS1_21merge_config_selectorINS0_5tupleIJttEEENS0_10empty_typeEEEZNS1_10merge_implIS3_NS0_12zip_iteratorINS5_IJN6thrust23THRUST_200600_302600_NS6detail15normal_iteratorINSC_10device_ptrIKtEEEESI_EEEEESK_NSA_INS5_IJNSE_INSF_ItEEEESM_EEEEEPS7_SP_SP_NSC_11hip_rocprim7__merge17predicate_wrapperIttNSC_7greaterItEEEEEE10hipError_tPvRmT0_T1_T2_T3_T4_T5_mmT6_P12ihipStream_tbEUlT_E_NS1_11comp_targetILNS1_3genE4ELNS1_11target_archE910ELNS1_3gpuE8ELNS1_3repE0EEENS1_30default_config_static_selectorELNS0_4arch9wavefront6targetE0EEEvS10_.has_recursion, 0
	.set _ZN7rocprim17ROCPRIM_400000_NS6detail17trampoline_kernelINS0_14default_configENS1_21merge_config_selectorINS0_5tupleIJttEEENS0_10empty_typeEEEZNS1_10merge_implIS3_NS0_12zip_iteratorINS5_IJN6thrust23THRUST_200600_302600_NS6detail15normal_iteratorINSC_10device_ptrIKtEEEESI_EEEEESK_NSA_INS5_IJNSE_INSF_ItEEEESM_EEEEEPS7_SP_SP_NSC_11hip_rocprim7__merge17predicate_wrapperIttNSC_7greaterItEEEEEE10hipError_tPvRmT0_T1_T2_T3_T4_T5_mmT6_P12ihipStream_tbEUlT_E_NS1_11comp_targetILNS1_3genE4ELNS1_11target_archE910ELNS1_3gpuE8ELNS1_3repE0EEENS1_30default_config_static_selectorELNS0_4arch9wavefront6targetE0EEEvS10_.has_indirect_call, 0
	.section	.AMDGPU.csdata,"",@progbits
; Kernel info:
; codeLenInByte = 0
; TotalNumSgprs: 0
; NumVgprs: 0
; ScratchSize: 0
; MemoryBound: 0
; FloatMode: 240
; IeeeMode: 1
; LDSByteSize: 0 bytes/workgroup (compile time only)
; SGPRBlocks: 0
; VGPRBlocks: 0
; NumSGPRsForWavesPerEU: 1
; NumVGPRsForWavesPerEU: 1
; Occupancy: 16
; WaveLimiterHint : 0
; COMPUTE_PGM_RSRC2:SCRATCH_EN: 0
; COMPUTE_PGM_RSRC2:USER_SGPR: 6
; COMPUTE_PGM_RSRC2:TRAP_HANDLER: 0
; COMPUTE_PGM_RSRC2:TGID_X_EN: 1
; COMPUTE_PGM_RSRC2:TGID_Y_EN: 0
; COMPUTE_PGM_RSRC2:TGID_Z_EN: 0
; COMPUTE_PGM_RSRC2:TIDIG_COMP_CNT: 0
	.section	.text._ZN7rocprim17ROCPRIM_400000_NS6detail17trampoline_kernelINS0_14default_configENS1_21merge_config_selectorINS0_5tupleIJttEEENS0_10empty_typeEEEZNS1_10merge_implIS3_NS0_12zip_iteratorINS5_IJN6thrust23THRUST_200600_302600_NS6detail15normal_iteratorINSC_10device_ptrIKtEEEESI_EEEEESK_NSA_INS5_IJNSE_INSF_ItEEEESM_EEEEEPS7_SP_SP_NSC_11hip_rocprim7__merge17predicate_wrapperIttNSC_7greaterItEEEEEE10hipError_tPvRmT0_T1_T2_T3_T4_T5_mmT6_P12ihipStream_tbEUlT_E_NS1_11comp_targetILNS1_3genE3ELNS1_11target_archE908ELNS1_3gpuE7ELNS1_3repE0EEENS1_30default_config_static_selectorELNS0_4arch9wavefront6targetE0EEEvS10_,"axG",@progbits,_ZN7rocprim17ROCPRIM_400000_NS6detail17trampoline_kernelINS0_14default_configENS1_21merge_config_selectorINS0_5tupleIJttEEENS0_10empty_typeEEEZNS1_10merge_implIS3_NS0_12zip_iteratorINS5_IJN6thrust23THRUST_200600_302600_NS6detail15normal_iteratorINSC_10device_ptrIKtEEEESI_EEEEESK_NSA_INS5_IJNSE_INSF_ItEEEESM_EEEEEPS7_SP_SP_NSC_11hip_rocprim7__merge17predicate_wrapperIttNSC_7greaterItEEEEEE10hipError_tPvRmT0_T1_T2_T3_T4_T5_mmT6_P12ihipStream_tbEUlT_E_NS1_11comp_targetILNS1_3genE3ELNS1_11target_archE908ELNS1_3gpuE7ELNS1_3repE0EEENS1_30default_config_static_selectorELNS0_4arch9wavefront6targetE0EEEvS10_,comdat
	.protected	_ZN7rocprim17ROCPRIM_400000_NS6detail17trampoline_kernelINS0_14default_configENS1_21merge_config_selectorINS0_5tupleIJttEEENS0_10empty_typeEEEZNS1_10merge_implIS3_NS0_12zip_iteratorINS5_IJN6thrust23THRUST_200600_302600_NS6detail15normal_iteratorINSC_10device_ptrIKtEEEESI_EEEEESK_NSA_INS5_IJNSE_INSF_ItEEEESM_EEEEEPS7_SP_SP_NSC_11hip_rocprim7__merge17predicate_wrapperIttNSC_7greaterItEEEEEE10hipError_tPvRmT0_T1_T2_T3_T4_T5_mmT6_P12ihipStream_tbEUlT_E_NS1_11comp_targetILNS1_3genE3ELNS1_11target_archE908ELNS1_3gpuE7ELNS1_3repE0EEENS1_30default_config_static_selectorELNS0_4arch9wavefront6targetE0EEEvS10_ ; -- Begin function _ZN7rocprim17ROCPRIM_400000_NS6detail17trampoline_kernelINS0_14default_configENS1_21merge_config_selectorINS0_5tupleIJttEEENS0_10empty_typeEEEZNS1_10merge_implIS3_NS0_12zip_iteratorINS5_IJN6thrust23THRUST_200600_302600_NS6detail15normal_iteratorINSC_10device_ptrIKtEEEESI_EEEEESK_NSA_INS5_IJNSE_INSF_ItEEEESM_EEEEEPS7_SP_SP_NSC_11hip_rocprim7__merge17predicate_wrapperIttNSC_7greaterItEEEEEE10hipError_tPvRmT0_T1_T2_T3_T4_T5_mmT6_P12ihipStream_tbEUlT_E_NS1_11comp_targetILNS1_3genE3ELNS1_11target_archE908ELNS1_3gpuE7ELNS1_3repE0EEENS1_30default_config_static_selectorELNS0_4arch9wavefront6targetE0EEEvS10_
	.globl	_ZN7rocprim17ROCPRIM_400000_NS6detail17trampoline_kernelINS0_14default_configENS1_21merge_config_selectorINS0_5tupleIJttEEENS0_10empty_typeEEEZNS1_10merge_implIS3_NS0_12zip_iteratorINS5_IJN6thrust23THRUST_200600_302600_NS6detail15normal_iteratorINSC_10device_ptrIKtEEEESI_EEEEESK_NSA_INS5_IJNSE_INSF_ItEEEESM_EEEEEPS7_SP_SP_NSC_11hip_rocprim7__merge17predicate_wrapperIttNSC_7greaterItEEEEEE10hipError_tPvRmT0_T1_T2_T3_T4_T5_mmT6_P12ihipStream_tbEUlT_E_NS1_11comp_targetILNS1_3genE3ELNS1_11target_archE908ELNS1_3gpuE7ELNS1_3repE0EEENS1_30default_config_static_selectorELNS0_4arch9wavefront6targetE0EEEvS10_
	.p2align	8
	.type	_ZN7rocprim17ROCPRIM_400000_NS6detail17trampoline_kernelINS0_14default_configENS1_21merge_config_selectorINS0_5tupleIJttEEENS0_10empty_typeEEEZNS1_10merge_implIS3_NS0_12zip_iteratorINS5_IJN6thrust23THRUST_200600_302600_NS6detail15normal_iteratorINSC_10device_ptrIKtEEEESI_EEEEESK_NSA_INS5_IJNSE_INSF_ItEEEESM_EEEEEPS7_SP_SP_NSC_11hip_rocprim7__merge17predicate_wrapperIttNSC_7greaterItEEEEEE10hipError_tPvRmT0_T1_T2_T3_T4_T5_mmT6_P12ihipStream_tbEUlT_E_NS1_11comp_targetILNS1_3genE3ELNS1_11target_archE908ELNS1_3gpuE7ELNS1_3repE0EEENS1_30default_config_static_selectorELNS0_4arch9wavefront6targetE0EEEvS10_,@function
_ZN7rocprim17ROCPRIM_400000_NS6detail17trampoline_kernelINS0_14default_configENS1_21merge_config_selectorINS0_5tupleIJttEEENS0_10empty_typeEEEZNS1_10merge_implIS3_NS0_12zip_iteratorINS5_IJN6thrust23THRUST_200600_302600_NS6detail15normal_iteratorINSC_10device_ptrIKtEEEESI_EEEEESK_NSA_INS5_IJNSE_INSF_ItEEEESM_EEEEEPS7_SP_SP_NSC_11hip_rocprim7__merge17predicate_wrapperIttNSC_7greaterItEEEEEE10hipError_tPvRmT0_T1_T2_T3_T4_T5_mmT6_P12ihipStream_tbEUlT_E_NS1_11comp_targetILNS1_3genE3ELNS1_11target_archE908ELNS1_3gpuE7ELNS1_3repE0EEENS1_30default_config_static_selectorELNS0_4arch9wavefront6targetE0EEEvS10_: ; @_ZN7rocprim17ROCPRIM_400000_NS6detail17trampoline_kernelINS0_14default_configENS1_21merge_config_selectorINS0_5tupleIJttEEENS0_10empty_typeEEEZNS1_10merge_implIS3_NS0_12zip_iteratorINS5_IJN6thrust23THRUST_200600_302600_NS6detail15normal_iteratorINSC_10device_ptrIKtEEEESI_EEEEESK_NSA_INS5_IJNSE_INSF_ItEEEESM_EEEEEPS7_SP_SP_NSC_11hip_rocprim7__merge17predicate_wrapperIttNSC_7greaterItEEEEEE10hipError_tPvRmT0_T1_T2_T3_T4_T5_mmT6_P12ihipStream_tbEUlT_E_NS1_11comp_targetILNS1_3genE3ELNS1_11target_archE908ELNS1_3gpuE7ELNS1_3repE0EEENS1_30default_config_static_selectorELNS0_4arch9wavefront6targetE0EEEvS10_
; %bb.0:
	.section	.rodata,"a",@progbits
	.p2align	6, 0x0
	.amdhsa_kernel _ZN7rocprim17ROCPRIM_400000_NS6detail17trampoline_kernelINS0_14default_configENS1_21merge_config_selectorINS0_5tupleIJttEEENS0_10empty_typeEEEZNS1_10merge_implIS3_NS0_12zip_iteratorINS5_IJN6thrust23THRUST_200600_302600_NS6detail15normal_iteratorINSC_10device_ptrIKtEEEESI_EEEEESK_NSA_INS5_IJNSE_INSF_ItEEEESM_EEEEEPS7_SP_SP_NSC_11hip_rocprim7__merge17predicate_wrapperIttNSC_7greaterItEEEEEE10hipError_tPvRmT0_T1_T2_T3_T4_T5_mmT6_P12ihipStream_tbEUlT_E_NS1_11comp_targetILNS1_3genE3ELNS1_11target_archE908ELNS1_3gpuE7ELNS1_3repE0EEENS1_30default_config_static_selectorELNS0_4arch9wavefront6targetE0EEEvS10_
		.amdhsa_group_segment_fixed_size 0
		.amdhsa_private_segment_fixed_size 0
		.amdhsa_kernarg_size 64
		.amdhsa_user_sgpr_count 6
		.amdhsa_user_sgpr_private_segment_buffer 1
		.amdhsa_user_sgpr_dispatch_ptr 0
		.amdhsa_user_sgpr_queue_ptr 0
		.amdhsa_user_sgpr_kernarg_segment_ptr 1
		.amdhsa_user_sgpr_dispatch_id 0
		.amdhsa_user_sgpr_flat_scratch_init 0
		.amdhsa_user_sgpr_private_segment_size 0
		.amdhsa_wavefront_size32 1
		.amdhsa_uses_dynamic_stack 0
		.amdhsa_system_sgpr_private_segment_wavefront_offset 0
		.amdhsa_system_sgpr_workgroup_id_x 1
		.amdhsa_system_sgpr_workgroup_id_y 0
		.amdhsa_system_sgpr_workgroup_id_z 0
		.amdhsa_system_sgpr_workgroup_info 0
		.amdhsa_system_vgpr_workitem_id 0
		.amdhsa_next_free_vgpr 1
		.amdhsa_next_free_sgpr 1
		.amdhsa_reserve_vcc 0
		.amdhsa_reserve_flat_scratch 0
		.amdhsa_float_round_mode_32 0
		.amdhsa_float_round_mode_16_64 0
		.amdhsa_float_denorm_mode_32 3
		.amdhsa_float_denorm_mode_16_64 3
		.amdhsa_dx10_clamp 1
		.amdhsa_ieee_mode 1
		.amdhsa_fp16_overflow 0
		.amdhsa_workgroup_processor_mode 1
		.amdhsa_memory_ordered 1
		.amdhsa_forward_progress 1
		.amdhsa_shared_vgpr_count 0
		.amdhsa_exception_fp_ieee_invalid_op 0
		.amdhsa_exception_fp_denorm_src 0
		.amdhsa_exception_fp_ieee_div_zero 0
		.amdhsa_exception_fp_ieee_overflow 0
		.amdhsa_exception_fp_ieee_underflow 0
		.amdhsa_exception_fp_ieee_inexact 0
		.amdhsa_exception_int_div_zero 0
	.end_amdhsa_kernel
	.section	.text._ZN7rocprim17ROCPRIM_400000_NS6detail17trampoline_kernelINS0_14default_configENS1_21merge_config_selectorINS0_5tupleIJttEEENS0_10empty_typeEEEZNS1_10merge_implIS3_NS0_12zip_iteratorINS5_IJN6thrust23THRUST_200600_302600_NS6detail15normal_iteratorINSC_10device_ptrIKtEEEESI_EEEEESK_NSA_INS5_IJNSE_INSF_ItEEEESM_EEEEEPS7_SP_SP_NSC_11hip_rocprim7__merge17predicate_wrapperIttNSC_7greaterItEEEEEE10hipError_tPvRmT0_T1_T2_T3_T4_T5_mmT6_P12ihipStream_tbEUlT_E_NS1_11comp_targetILNS1_3genE3ELNS1_11target_archE908ELNS1_3gpuE7ELNS1_3repE0EEENS1_30default_config_static_selectorELNS0_4arch9wavefront6targetE0EEEvS10_,"axG",@progbits,_ZN7rocprim17ROCPRIM_400000_NS6detail17trampoline_kernelINS0_14default_configENS1_21merge_config_selectorINS0_5tupleIJttEEENS0_10empty_typeEEEZNS1_10merge_implIS3_NS0_12zip_iteratorINS5_IJN6thrust23THRUST_200600_302600_NS6detail15normal_iteratorINSC_10device_ptrIKtEEEESI_EEEEESK_NSA_INS5_IJNSE_INSF_ItEEEESM_EEEEEPS7_SP_SP_NSC_11hip_rocprim7__merge17predicate_wrapperIttNSC_7greaterItEEEEEE10hipError_tPvRmT0_T1_T2_T3_T4_T5_mmT6_P12ihipStream_tbEUlT_E_NS1_11comp_targetILNS1_3genE3ELNS1_11target_archE908ELNS1_3gpuE7ELNS1_3repE0EEENS1_30default_config_static_selectorELNS0_4arch9wavefront6targetE0EEEvS10_,comdat
.Lfunc_end392:
	.size	_ZN7rocprim17ROCPRIM_400000_NS6detail17trampoline_kernelINS0_14default_configENS1_21merge_config_selectorINS0_5tupleIJttEEENS0_10empty_typeEEEZNS1_10merge_implIS3_NS0_12zip_iteratorINS5_IJN6thrust23THRUST_200600_302600_NS6detail15normal_iteratorINSC_10device_ptrIKtEEEESI_EEEEESK_NSA_INS5_IJNSE_INSF_ItEEEESM_EEEEEPS7_SP_SP_NSC_11hip_rocprim7__merge17predicate_wrapperIttNSC_7greaterItEEEEEE10hipError_tPvRmT0_T1_T2_T3_T4_T5_mmT6_P12ihipStream_tbEUlT_E_NS1_11comp_targetILNS1_3genE3ELNS1_11target_archE908ELNS1_3gpuE7ELNS1_3repE0EEENS1_30default_config_static_selectorELNS0_4arch9wavefront6targetE0EEEvS10_, .Lfunc_end392-_ZN7rocprim17ROCPRIM_400000_NS6detail17trampoline_kernelINS0_14default_configENS1_21merge_config_selectorINS0_5tupleIJttEEENS0_10empty_typeEEEZNS1_10merge_implIS3_NS0_12zip_iteratorINS5_IJN6thrust23THRUST_200600_302600_NS6detail15normal_iteratorINSC_10device_ptrIKtEEEESI_EEEEESK_NSA_INS5_IJNSE_INSF_ItEEEESM_EEEEEPS7_SP_SP_NSC_11hip_rocprim7__merge17predicate_wrapperIttNSC_7greaterItEEEEEE10hipError_tPvRmT0_T1_T2_T3_T4_T5_mmT6_P12ihipStream_tbEUlT_E_NS1_11comp_targetILNS1_3genE3ELNS1_11target_archE908ELNS1_3gpuE7ELNS1_3repE0EEENS1_30default_config_static_selectorELNS0_4arch9wavefront6targetE0EEEvS10_
                                        ; -- End function
	.set _ZN7rocprim17ROCPRIM_400000_NS6detail17trampoline_kernelINS0_14default_configENS1_21merge_config_selectorINS0_5tupleIJttEEENS0_10empty_typeEEEZNS1_10merge_implIS3_NS0_12zip_iteratorINS5_IJN6thrust23THRUST_200600_302600_NS6detail15normal_iteratorINSC_10device_ptrIKtEEEESI_EEEEESK_NSA_INS5_IJNSE_INSF_ItEEEESM_EEEEEPS7_SP_SP_NSC_11hip_rocprim7__merge17predicate_wrapperIttNSC_7greaterItEEEEEE10hipError_tPvRmT0_T1_T2_T3_T4_T5_mmT6_P12ihipStream_tbEUlT_E_NS1_11comp_targetILNS1_3genE3ELNS1_11target_archE908ELNS1_3gpuE7ELNS1_3repE0EEENS1_30default_config_static_selectorELNS0_4arch9wavefront6targetE0EEEvS10_.num_vgpr, 0
	.set _ZN7rocprim17ROCPRIM_400000_NS6detail17trampoline_kernelINS0_14default_configENS1_21merge_config_selectorINS0_5tupleIJttEEENS0_10empty_typeEEEZNS1_10merge_implIS3_NS0_12zip_iteratorINS5_IJN6thrust23THRUST_200600_302600_NS6detail15normal_iteratorINSC_10device_ptrIKtEEEESI_EEEEESK_NSA_INS5_IJNSE_INSF_ItEEEESM_EEEEEPS7_SP_SP_NSC_11hip_rocprim7__merge17predicate_wrapperIttNSC_7greaterItEEEEEE10hipError_tPvRmT0_T1_T2_T3_T4_T5_mmT6_P12ihipStream_tbEUlT_E_NS1_11comp_targetILNS1_3genE3ELNS1_11target_archE908ELNS1_3gpuE7ELNS1_3repE0EEENS1_30default_config_static_selectorELNS0_4arch9wavefront6targetE0EEEvS10_.num_agpr, 0
	.set _ZN7rocprim17ROCPRIM_400000_NS6detail17trampoline_kernelINS0_14default_configENS1_21merge_config_selectorINS0_5tupleIJttEEENS0_10empty_typeEEEZNS1_10merge_implIS3_NS0_12zip_iteratorINS5_IJN6thrust23THRUST_200600_302600_NS6detail15normal_iteratorINSC_10device_ptrIKtEEEESI_EEEEESK_NSA_INS5_IJNSE_INSF_ItEEEESM_EEEEEPS7_SP_SP_NSC_11hip_rocprim7__merge17predicate_wrapperIttNSC_7greaterItEEEEEE10hipError_tPvRmT0_T1_T2_T3_T4_T5_mmT6_P12ihipStream_tbEUlT_E_NS1_11comp_targetILNS1_3genE3ELNS1_11target_archE908ELNS1_3gpuE7ELNS1_3repE0EEENS1_30default_config_static_selectorELNS0_4arch9wavefront6targetE0EEEvS10_.numbered_sgpr, 0
	.set _ZN7rocprim17ROCPRIM_400000_NS6detail17trampoline_kernelINS0_14default_configENS1_21merge_config_selectorINS0_5tupleIJttEEENS0_10empty_typeEEEZNS1_10merge_implIS3_NS0_12zip_iteratorINS5_IJN6thrust23THRUST_200600_302600_NS6detail15normal_iteratorINSC_10device_ptrIKtEEEESI_EEEEESK_NSA_INS5_IJNSE_INSF_ItEEEESM_EEEEEPS7_SP_SP_NSC_11hip_rocprim7__merge17predicate_wrapperIttNSC_7greaterItEEEEEE10hipError_tPvRmT0_T1_T2_T3_T4_T5_mmT6_P12ihipStream_tbEUlT_E_NS1_11comp_targetILNS1_3genE3ELNS1_11target_archE908ELNS1_3gpuE7ELNS1_3repE0EEENS1_30default_config_static_selectorELNS0_4arch9wavefront6targetE0EEEvS10_.num_named_barrier, 0
	.set _ZN7rocprim17ROCPRIM_400000_NS6detail17trampoline_kernelINS0_14default_configENS1_21merge_config_selectorINS0_5tupleIJttEEENS0_10empty_typeEEEZNS1_10merge_implIS3_NS0_12zip_iteratorINS5_IJN6thrust23THRUST_200600_302600_NS6detail15normal_iteratorINSC_10device_ptrIKtEEEESI_EEEEESK_NSA_INS5_IJNSE_INSF_ItEEEESM_EEEEEPS7_SP_SP_NSC_11hip_rocprim7__merge17predicate_wrapperIttNSC_7greaterItEEEEEE10hipError_tPvRmT0_T1_T2_T3_T4_T5_mmT6_P12ihipStream_tbEUlT_E_NS1_11comp_targetILNS1_3genE3ELNS1_11target_archE908ELNS1_3gpuE7ELNS1_3repE0EEENS1_30default_config_static_selectorELNS0_4arch9wavefront6targetE0EEEvS10_.private_seg_size, 0
	.set _ZN7rocprim17ROCPRIM_400000_NS6detail17trampoline_kernelINS0_14default_configENS1_21merge_config_selectorINS0_5tupleIJttEEENS0_10empty_typeEEEZNS1_10merge_implIS3_NS0_12zip_iteratorINS5_IJN6thrust23THRUST_200600_302600_NS6detail15normal_iteratorINSC_10device_ptrIKtEEEESI_EEEEESK_NSA_INS5_IJNSE_INSF_ItEEEESM_EEEEEPS7_SP_SP_NSC_11hip_rocprim7__merge17predicate_wrapperIttNSC_7greaterItEEEEEE10hipError_tPvRmT0_T1_T2_T3_T4_T5_mmT6_P12ihipStream_tbEUlT_E_NS1_11comp_targetILNS1_3genE3ELNS1_11target_archE908ELNS1_3gpuE7ELNS1_3repE0EEENS1_30default_config_static_selectorELNS0_4arch9wavefront6targetE0EEEvS10_.uses_vcc, 0
	.set _ZN7rocprim17ROCPRIM_400000_NS6detail17trampoline_kernelINS0_14default_configENS1_21merge_config_selectorINS0_5tupleIJttEEENS0_10empty_typeEEEZNS1_10merge_implIS3_NS0_12zip_iteratorINS5_IJN6thrust23THRUST_200600_302600_NS6detail15normal_iteratorINSC_10device_ptrIKtEEEESI_EEEEESK_NSA_INS5_IJNSE_INSF_ItEEEESM_EEEEEPS7_SP_SP_NSC_11hip_rocprim7__merge17predicate_wrapperIttNSC_7greaterItEEEEEE10hipError_tPvRmT0_T1_T2_T3_T4_T5_mmT6_P12ihipStream_tbEUlT_E_NS1_11comp_targetILNS1_3genE3ELNS1_11target_archE908ELNS1_3gpuE7ELNS1_3repE0EEENS1_30default_config_static_selectorELNS0_4arch9wavefront6targetE0EEEvS10_.uses_flat_scratch, 0
	.set _ZN7rocprim17ROCPRIM_400000_NS6detail17trampoline_kernelINS0_14default_configENS1_21merge_config_selectorINS0_5tupleIJttEEENS0_10empty_typeEEEZNS1_10merge_implIS3_NS0_12zip_iteratorINS5_IJN6thrust23THRUST_200600_302600_NS6detail15normal_iteratorINSC_10device_ptrIKtEEEESI_EEEEESK_NSA_INS5_IJNSE_INSF_ItEEEESM_EEEEEPS7_SP_SP_NSC_11hip_rocprim7__merge17predicate_wrapperIttNSC_7greaterItEEEEEE10hipError_tPvRmT0_T1_T2_T3_T4_T5_mmT6_P12ihipStream_tbEUlT_E_NS1_11comp_targetILNS1_3genE3ELNS1_11target_archE908ELNS1_3gpuE7ELNS1_3repE0EEENS1_30default_config_static_selectorELNS0_4arch9wavefront6targetE0EEEvS10_.has_dyn_sized_stack, 0
	.set _ZN7rocprim17ROCPRIM_400000_NS6detail17trampoline_kernelINS0_14default_configENS1_21merge_config_selectorINS0_5tupleIJttEEENS0_10empty_typeEEEZNS1_10merge_implIS3_NS0_12zip_iteratorINS5_IJN6thrust23THRUST_200600_302600_NS6detail15normal_iteratorINSC_10device_ptrIKtEEEESI_EEEEESK_NSA_INS5_IJNSE_INSF_ItEEEESM_EEEEEPS7_SP_SP_NSC_11hip_rocprim7__merge17predicate_wrapperIttNSC_7greaterItEEEEEE10hipError_tPvRmT0_T1_T2_T3_T4_T5_mmT6_P12ihipStream_tbEUlT_E_NS1_11comp_targetILNS1_3genE3ELNS1_11target_archE908ELNS1_3gpuE7ELNS1_3repE0EEENS1_30default_config_static_selectorELNS0_4arch9wavefront6targetE0EEEvS10_.has_recursion, 0
	.set _ZN7rocprim17ROCPRIM_400000_NS6detail17trampoline_kernelINS0_14default_configENS1_21merge_config_selectorINS0_5tupleIJttEEENS0_10empty_typeEEEZNS1_10merge_implIS3_NS0_12zip_iteratorINS5_IJN6thrust23THRUST_200600_302600_NS6detail15normal_iteratorINSC_10device_ptrIKtEEEESI_EEEEESK_NSA_INS5_IJNSE_INSF_ItEEEESM_EEEEEPS7_SP_SP_NSC_11hip_rocprim7__merge17predicate_wrapperIttNSC_7greaterItEEEEEE10hipError_tPvRmT0_T1_T2_T3_T4_T5_mmT6_P12ihipStream_tbEUlT_E_NS1_11comp_targetILNS1_3genE3ELNS1_11target_archE908ELNS1_3gpuE7ELNS1_3repE0EEENS1_30default_config_static_selectorELNS0_4arch9wavefront6targetE0EEEvS10_.has_indirect_call, 0
	.section	.AMDGPU.csdata,"",@progbits
; Kernel info:
; codeLenInByte = 0
; TotalNumSgprs: 0
; NumVgprs: 0
; ScratchSize: 0
; MemoryBound: 0
; FloatMode: 240
; IeeeMode: 1
; LDSByteSize: 0 bytes/workgroup (compile time only)
; SGPRBlocks: 0
; VGPRBlocks: 0
; NumSGPRsForWavesPerEU: 1
; NumVGPRsForWavesPerEU: 1
; Occupancy: 16
; WaveLimiterHint : 0
; COMPUTE_PGM_RSRC2:SCRATCH_EN: 0
; COMPUTE_PGM_RSRC2:USER_SGPR: 6
; COMPUTE_PGM_RSRC2:TRAP_HANDLER: 0
; COMPUTE_PGM_RSRC2:TGID_X_EN: 1
; COMPUTE_PGM_RSRC2:TGID_Y_EN: 0
; COMPUTE_PGM_RSRC2:TGID_Z_EN: 0
; COMPUTE_PGM_RSRC2:TIDIG_COMP_CNT: 0
	.section	.text._ZN7rocprim17ROCPRIM_400000_NS6detail17trampoline_kernelINS0_14default_configENS1_21merge_config_selectorINS0_5tupleIJttEEENS0_10empty_typeEEEZNS1_10merge_implIS3_NS0_12zip_iteratorINS5_IJN6thrust23THRUST_200600_302600_NS6detail15normal_iteratorINSC_10device_ptrIKtEEEESI_EEEEESK_NSA_INS5_IJNSE_INSF_ItEEEESM_EEEEEPS7_SP_SP_NSC_11hip_rocprim7__merge17predicate_wrapperIttNSC_7greaterItEEEEEE10hipError_tPvRmT0_T1_T2_T3_T4_T5_mmT6_P12ihipStream_tbEUlT_E_NS1_11comp_targetILNS1_3genE2ELNS1_11target_archE906ELNS1_3gpuE6ELNS1_3repE0EEENS1_30default_config_static_selectorELNS0_4arch9wavefront6targetE0EEEvS10_,"axG",@progbits,_ZN7rocprim17ROCPRIM_400000_NS6detail17trampoline_kernelINS0_14default_configENS1_21merge_config_selectorINS0_5tupleIJttEEENS0_10empty_typeEEEZNS1_10merge_implIS3_NS0_12zip_iteratorINS5_IJN6thrust23THRUST_200600_302600_NS6detail15normal_iteratorINSC_10device_ptrIKtEEEESI_EEEEESK_NSA_INS5_IJNSE_INSF_ItEEEESM_EEEEEPS7_SP_SP_NSC_11hip_rocprim7__merge17predicate_wrapperIttNSC_7greaterItEEEEEE10hipError_tPvRmT0_T1_T2_T3_T4_T5_mmT6_P12ihipStream_tbEUlT_E_NS1_11comp_targetILNS1_3genE2ELNS1_11target_archE906ELNS1_3gpuE6ELNS1_3repE0EEENS1_30default_config_static_selectorELNS0_4arch9wavefront6targetE0EEEvS10_,comdat
	.protected	_ZN7rocprim17ROCPRIM_400000_NS6detail17trampoline_kernelINS0_14default_configENS1_21merge_config_selectorINS0_5tupleIJttEEENS0_10empty_typeEEEZNS1_10merge_implIS3_NS0_12zip_iteratorINS5_IJN6thrust23THRUST_200600_302600_NS6detail15normal_iteratorINSC_10device_ptrIKtEEEESI_EEEEESK_NSA_INS5_IJNSE_INSF_ItEEEESM_EEEEEPS7_SP_SP_NSC_11hip_rocprim7__merge17predicate_wrapperIttNSC_7greaterItEEEEEE10hipError_tPvRmT0_T1_T2_T3_T4_T5_mmT6_P12ihipStream_tbEUlT_E_NS1_11comp_targetILNS1_3genE2ELNS1_11target_archE906ELNS1_3gpuE6ELNS1_3repE0EEENS1_30default_config_static_selectorELNS0_4arch9wavefront6targetE0EEEvS10_ ; -- Begin function _ZN7rocprim17ROCPRIM_400000_NS6detail17trampoline_kernelINS0_14default_configENS1_21merge_config_selectorINS0_5tupleIJttEEENS0_10empty_typeEEEZNS1_10merge_implIS3_NS0_12zip_iteratorINS5_IJN6thrust23THRUST_200600_302600_NS6detail15normal_iteratorINSC_10device_ptrIKtEEEESI_EEEEESK_NSA_INS5_IJNSE_INSF_ItEEEESM_EEEEEPS7_SP_SP_NSC_11hip_rocprim7__merge17predicate_wrapperIttNSC_7greaterItEEEEEE10hipError_tPvRmT0_T1_T2_T3_T4_T5_mmT6_P12ihipStream_tbEUlT_E_NS1_11comp_targetILNS1_3genE2ELNS1_11target_archE906ELNS1_3gpuE6ELNS1_3repE0EEENS1_30default_config_static_selectorELNS0_4arch9wavefront6targetE0EEEvS10_
	.globl	_ZN7rocprim17ROCPRIM_400000_NS6detail17trampoline_kernelINS0_14default_configENS1_21merge_config_selectorINS0_5tupleIJttEEENS0_10empty_typeEEEZNS1_10merge_implIS3_NS0_12zip_iteratorINS5_IJN6thrust23THRUST_200600_302600_NS6detail15normal_iteratorINSC_10device_ptrIKtEEEESI_EEEEESK_NSA_INS5_IJNSE_INSF_ItEEEESM_EEEEEPS7_SP_SP_NSC_11hip_rocprim7__merge17predicate_wrapperIttNSC_7greaterItEEEEEE10hipError_tPvRmT0_T1_T2_T3_T4_T5_mmT6_P12ihipStream_tbEUlT_E_NS1_11comp_targetILNS1_3genE2ELNS1_11target_archE906ELNS1_3gpuE6ELNS1_3repE0EEENS1_30default_config_static_selectorELNS0_4arch9wavefront6targetE0EEEvS10_
	.p2align	8
	.type	_ZN7rocprim17ROCPRIM_400000_NS6detail17trampoline_kernelINS0_14default_configENS1_21merge_config_selectorINS0_5tupleIJttEEENS0_10empty_typeEEEZNS1_10merge_implIS3_NS0_12zip_iteratorINS5_IJN6thrust23THRUST_200600_302600_NS6detail15normal_iteratorINSC_10device_ptrIKtEEEESI_EEEEESK_NSA_INS5_IJNSE_INSF_ItEEEESM_EEEEEPS7_SP_SP_NSC_11hip_rocprim7__merge17predicate_wrapperIttNSC_7greaterItEEEEEE10hipError_tPvRmT0_T1_T2_T3_T4_T5_mmT6_P12ihipStream_tbEUlT_E_NS1_11comp_targetILNS1_3genE2ELNS1_11target_archE906ELNS1_3gpuE6ELNS1_3repE0EEENS1_30default_config_static_selectorELNS0_4arch9wavefront6targetE0EEEvS10_,@function
_ZN7rocprim17ROCPRIM_400000_NS6detail17trampoline_kernelINS0_14default_configENS1_21merge_config_selectorINS0_5tupleIJttEEENS0_10empty_typeEEEZNS1_10merge_implIS3_NS0_12zip_iteratorINS5_IJN6thrust23THRUST_200600_302600_NS6detail15normal_iteratorINSC_10device_ptrIKtEEEESI_EEEEESK_NSA_INS5_IJNSE_INSF_ItEEEESM_EEEEEPS7_SP_SP_NSC_11hip_rocprim7__merge17predicate_wrapperIttNSC_7greaterItEEEEEE10hipError_tPvRmT0_T1_T2_T3_T4_T5_mmT6_P12ihipStream_tbEUlT_E_NS1_11comp_targetILNS1_3genE2ELNS1_11target_archE906ELNS1_3gpuE6ELNS1_3repE0EEENS1_30default_config_static_selectorELNS0_4arch9wavefront6targetE0EEEvS10_: ; @_ZN7rocprim17ROCPRIM_400000_NS6detail17trampoline_kernelINS0_14default_configENS1_21merge_config_selectorINS0_5tupleIJttEEENS0_10empty_typeEEEZNS1_10merge_implIS3_NS0_12zip_iteratorINS5_IJN6thrust23THRUST_200600_302600_NS6detail15normal_iteratorINSC_10device_ptrIKtEEEESI_EEEEESK_NSA_INS5_IJNSE_INSF_ItEEEESM_EEEEEPS7_SP_SP_NSC_11hip_rocprim7__merge17predicate_wrapperIttNSC_7greaterItEEEEEE10hipError_tPvRmT0_T1_T2_T3_T4_T5_mmT6_P12ihipStream_tbEUlT_E_NS1_11comp_targetILNS1_3genE2ELNS1_11target_archE906ELNS1_3gpuE6ELNS1_3repE0EEENS1_30default_config_static_selectorELNS0_4arch9wavefront6targetE0EEEvS10_
; %bb.0:
	.section	.rodata,"a",@progbits
	.p2align	6, 0x0
	.amdhsa_kernel _ZN7rocprim17ROCPRIM_400000_NS6detail17trampoline_kernelINS0_14default_configENS1_21merge_config_selectorINS0_5tupleIJttEEENS0_10empty_typeEEEZNS1_10merge_implIS3_NS0_12zip_iteratorINS5_IJN6thrust23THRUST_200600_302600_NS6detail15normal_iteratorINSC_10device_ptrIKtEEEESI_EEEEESK_NSA_INS5_IJNSE_INSF_ItEEEESM_EEEEEPS7_SP_SP_NSC_11hip_rocprim7__merge17predicate_wrapperIttNSC_7greaterItEEEEEE10hipError_tPvRmT0_T1_T2_T3_T4_T5_mmT6_P12ihipStream_tbEUlT_E_NS1_11comp_targetILNS1_3genE2ELNS1_11target_archE906ELNS1_3gpuE6ELNS1_3repE0EEENS1_30default_config_static_selectorELNS0_4arch9wavefront6targetE0EEEvS10_
		.amdhsa_group_segment_fixed_size 0
		.amdhsa_private_segment_fixed_size 0
		.amdhsa_kernarg_size 64
		.amdhsa_user_sgpr_count 6
		.amdhsa_user_sgpr_private_segment_buffer 1
		.amdhsa_user_sgpr_dispatch_ptr 0
		.amdhsa_user_sgpr_queue_ptr 0
		.amdhsa_user_sgpr_kernarg_segment_ptr 1
		.amdhsa_user_sgpr_dispatch_id 0
		.amdhsa_user_sgpr_flat_scratch_init 0
		.amdhsa_user_sgpr_private_segment_size 0
		.amdhsa_wavefront_size32 1
		.amdhsa_uses_dynamic_stack 0
		.amdhsa_system_sgpr_private_segment_wavefront_offset 0
		.amdhsa_system_sgpr_workgroup_id_x 1
		.amdhsa_system_sgpr_workgroup_id_y 0
		.amdhsa_system_sgpr_workgroup_id_z 0
		.amdhsa_system_sgpr_workgroup_info 0
		.amdhsa_system_vgpr_workitem_id 0
		.amdhsa_next_free_vgpr 1
		.amdhsa_next_free_sgpr 1
		.amdhsa_reserve_vcc 0
		.amdhsa_reserve_flat_scratch 0
		.amdhsa_float_round_mode_32 0
		.amdhsa_float_round_mode_16_64 0
		.amdhsa_float_denorm_mode_32 3
		.amdhsa_float_denorm_mode_16_64 3
		.amdhsa_dx10_clamp 1
		.amdhsa_ieee_mode 1
		.amdhsa_fp16_overflow 0
		.amdhsa_workgroup_processor_mode 1
		.amdhsa_memory_ordered 1
		.amdhsa_forward_progress 1
		.amdhsa_shared_vgpr_count 0
		.amdhsa_exception_fp_ieee_invalid_op 0
		.amdhsa_exception_fp_denorm_src 0
		.amdhsa_exception_fp_ieee_div_zero 0
		.amdhsa_exception_fp_ieee_overflow 0
		.amdhsa_exception_fp_ieee_underflow 0
		.amdhsa_exception_fp_ieee_inexact 0
		.amdhsa_exception_int_div_zero 0
	.end_amdhsa_kernel
	.section	.text._ZN7rocprim17ROCPRIM_400000_NS6detail17trampoline_kernelINS0_14default_configENS1_21merge_config_selectorINS0_5tupleIJttEEENS0_10empty_typeEEEZNS1_10merge_implIS3_NS0_12zip_iteratorINS5_IJN6thrust23THRUST_200600_302600_NS6detail15normal_iteratorINSC_10device_ptrIKtEEEESI_EEEEESK_NSA_INS5_IJNSE_INSF_ItEEEESM_EEEEEPS7_SP_SP_NSC_11hip_rocprim7__merge17predicate_wrapperIttNSC_7greaterItEEEEEE10hipError_tPvRmT0_T1_T2_T3_T4_T5_mmT6_P12ihipStream_tbEUlT_E_NS1_11comp_targetILNS1_3genE2ELNS1_11target_archE906ELNS1_3gpuE6ELNS1_3repE0EEENS1_30default_config_static_selectorELNS0_4arch9wavefront6targetE0EEEvS10_,"axG",@progbits,_ZN7rocprim17ROCPRIM_400000_NS6detail17trampoline_kernelINS0_14default_configENS1_21merge_config_selectorINS0_5tupleIJttEEENS0_10empty_typeEEEZNS1_10merge_implIS3_NS0_12zip_iteratorINS5_IJN6thrust23THRUST_200600_302600_NS6detail15normal_iteratorINSC_10device_ptrIKtEEEESI_EEEEESK_NSA_INS5_IJNSE_INSF_ItEEEESM_EEEEEPS7_SP_SP_NSC_11hip_rocprim7__merge17predicate_wrapperIttNSC_7greaterItEEEEEE10hipError_tPvRmT0_T1_T2_T3_T4_T5_mmT6_P12ihipStream_tbEUlT_E_NS1_11comp_targetILNS1_3genE2ELNS1_11target_archE906ELNS1_3gpuE6ELNS1_3repE0EEENS1_30default_config_static_selectorELNS0_4arch9wavefront6targetE0EEEvS10_,comdat
.Lfunc_end393:
	.size	_ZN7rocprim17ROCPRIM_400000_NS6detail17trampoline_kernelINS0_14default_configENS1_21merge_config_selectorINS0_5tupleIJttEEENS0_10empty_typeEEEZNS1_10merge_implIS3_NS0_12zip_iteratorINS5_IJN6thrust23THRUST_200600_302600_NS6detail15normal_iteratorINSC_10device_ptrIKtEEEESI_EEEEESK_NSA_INS5_IJNSE_INSF_ItEEEESM_EEEEEPS7_SP_SP_NSC_11hip_rocprim7__merge17predicate_wrapperIttNSC_7greaterItEEEEEE10hipError_tPvRmT0_T1_T2_T3_T4_T5_mmT6_P12ihipStream_tbEUlT_E_NS1_11comp_targetILNS1_3genE2ELNS1_11target_archE906ELNS1_3gpuE6ELNS1_3repE0EEENS1_30default_config_static_selectorELNS0_4arch9wavefront6targetE0EEEvS10_, .Lfunc_end393-_ZN7rocprim17ROCPRIM_400000_NS6detail17trampoline_kernelINS0_14default_configENS1_21merge_config_selectorINS0_5tupleIJttEEENS0_10empty_typeEEEZNS1_10merge_implIS3_NS0_12zip_iteratorINS5_IJN6thrust23THRUST_200600_302600_NS6detail15normal_iteratorINSC_10device_ptrIKtEEEESI_EEEEESK_NSA_INS5_IJNSE_INSF_ItEEEESM_EEEEEPS7_SP_SP_NSC_11hip_rocprim7__merge17predicate_wrapperIttNSC_7greaterItEEEEEE10hipError_tPvRmT0_T1_T2_T3_T4_T5_mmT6_P12ihipStream_tbEUlT_E_NS1_11comp_targetILNS1_3genE2ELNS1_11target_archE906ELNS1_3gpuE6ELNS1_3repE0EEENS1_30default_config_static_selectorELNS0_4arch9wavefront6targetE0EEEvS10_
                                        ; -- End function
	.set _ZN7rocprim17ROCPRIM_400000_NS6detail17trampoline_kernelINS0_14default_configENS1_21merge_config_selectorINS0_5tupleIJttEEENS0_10empty_typeEEEZNS1_10merge_implIS3_NS0_12zip_iteratorINS5_IJN6thrust23THRUST_200600_302600_NS6detail15normal_iteratorINSC_10device_ptrIKtEEEESI_EEEEESK_NSA_INS5_IJNSE_INSF_ItEEEESM_EEEEEPS7_SP_SP_NSC_11hip_rocprim7__merge17predicate_wrapperIttNSC_7greaterItEEEEEE10hipError_tPvRmT0_T1_T2_T3_T4_T5_mmT6_P12ihipStream_tbEUlT_E_NS1_11comp_targetILNS1_3genE2ELNS1_11target_archE906ELNS1_3gpuE6ELNS1_3repE0EEENS1_30default_config_static_selectorELNS0_4arch9wavefront6targetE0EEEvS10_.num_vgpr, 0
	.set _ZN7rocprim17ROCPRIM_400000_NS6detail17trampoline_kernelINS0_14default_configENS1_21merge_config_selectorINS0_5tupleIJttEEENS0_10empty_typeEEEZNS1_10merge_implIS3_NS0_12zip_iteratorINS5_IJN6thrust23THRUST_200600_302600_NS6detail15normal_iteratorINSC_10device_ptrIKtEEEESI_EEEEESK_NSA_INS5_IJNSE_INSF_ItEEEESM_EEEEEPS7_SP_SP_NSC_11hip_rocprim7__merge17predicate_wrapperIttNSC_7greaterItEEEEEE10hipError_tPvRmT0_T1_T2_T3_T4_T5_mmT6_P12ihipStream_tbEUlT_E_NS1_11comp_targetILNS1_3genE2ELNS1_11target_archE906ELNS1_3gpuE6ELNS1_3repE0EEENS1_30default_config_static_selectorELNS0_4arch9wavefront6targetE0EEEvS10_.num_agpr, 0
	.set _ZN7rocprim17ROCPRIM_400000_NS6detail17trampoline_kernelINS0_14default_configENS1_21merge_config_selectorINS0_5tupleIJttEEENS0_10empty_typeEEEZNS1_10merge_implIS3_NS0_12zip_iteratorINS5_IJN6thrust23THRUST_200600_302600_NS6detail15normal_iteratorINSC_10device_ptrIKtEEEESI_EEEEESK_NSA_INS5_IJNSE_INSF_ItEEEESM_EEEEEPS7_SP_SP_NSC_11hip_rocprim7__merge17predicate_wrapperIttNSC_7greaterItEEEEEE10hipError_tPvRmT0_T1_T2_T3_T4_T5_mmT6_P12ihipStream_tbEUlT_E_NS1_11comp_targetILNS1_3genE2ELNS1_11target_archE906ELNS1_3gpuE6ELNS1_3repE0EEENS1_30default_config_static_selectorELNS0_4arch9wavefront6targetE0EEEvS10_.numbered_sgpr, 0
	.set _ZN7rocprim17ROCPRIM_400000_NS6detail17trampoline_kernelINS0_14default_configENS1_21merge_config_selectorINS0_5tupleIJttEEENS0_10empty_typeEEEZNS1_10merge_implIS3_NS0_12zip_iteratorINS5_IJN6thrust23THRUST_200600_302600_NS6detail15normal_iteratorINSC_10device_ptrIKtEEEESI_EEEEESK_NSA_INS5_IJNSE_INSF_ItEEEESM_EEEEEPS7_SP_SP_NSC_11hip_rocprim7__merge17predicate_wrapperIttNSC_7greaterItEEEEEE10hipError_tPvRmT0_T1_T2_T3_T4_T5_mmT6_P12ihipStream_tbEUlT_E_NS1_11comp_targetILNS1_3genE2ELNS1_11target_archE906ELNS1_3gpuE6ELNS1_3repE0EEENS1_30default_config_static_selectorELNS0_4arch9wavefront6targetE0EEEvS10_.num_named_barrier, 0
	.set _ZN7rocprim17ROCPRIM_400000_NS6detail17trampoline_kernelINS0_14default_configENS1_21merge_config_selectorINS0_5tupleIJttEEENS0_10empty_typeEEEZNS1_10merge_implIS3_NS0_12zip_iteratorINS5_IJN6thrust23THRUST_200600_302600_NS6detail15normal_iteratorINSC_10device_ptrIKtEEEESI_EEEEESK_NSA_INS5_IJNSE_INSF_ItEEEESM_EEEEEPS7_SP_SP_NSC_11hip_rocprim7__merge17predicate_wrapperIttNSC_7greaterItEEEEEE10hipError_tPvRmT0_T1_T2_T3_T4_T5_mmT6_P12ihipStream_tbEUlT_E_NS1_11comp_targetILNS1_3genE2ELNS1_11target_archE906ELNS1_3gpuE6ELNS1_3repE0EEENS1_30default_config_static_selectorELNS0_4arch9wavefront6targetE0EEEvS10_.private_seg_size, 0
	.set _ZN7rocprim17ROCPRIM_400000_NS6detail17trampoline_kernelINS0_14default_configENS1_21merge_config_selectorINS0_5tupleIJttEEENS0_10empty_typeEEEZNS1_10merge_implIS3_NS0_12zip_iteratorINS5_IJN6thrust23THRUST_200600_302600_NS6detail15normal_iteratorINSC_10device_ptrIKtEEEESI_EEEEESK_NSA_INS5_IJNSE_INSF_ItEEEESM_EEEEEPS7_SP_SP_NSC_11hip_rocprim7__merge17predicate_wrapperIttNSC_7greaterItEEEEEE10hipError_tPvRmT0_T1_T2_T3_T4_T5_mmT6_P12ihipStream_tbEUlT_E_NS1_11comp_targetILNS1_3genE2ELNS1_11target_archE906ELNS1_3gpuE6ELNS1_3repE0EEENS1_30default_config_static_selectorELNS0_4arch9wavefront6targetE0EEEvS10_.uses_vcc, 0
	.set _ZN7rocprim17ROCPRIM_400000_NS6detail17trampoline_kernelINS0_14default_configENS1_21merge_config_selectorINS0_5tupleIJttEEENS0_10empty_typeEEEZNS1_10merge_implIS3_NS0_12zip_iteratorINS5_IJN6thrust23THRUST_200600_302600_NS6detail15normal_iteratorINSC_10device_ptrIKtEEEESI_EEEEESK_NSA_INS5_IJNSE_INSF_ItEEEESM_EEEEEPS7_SP_SP_NSC_11hip_rocprim7__merge17predicate_wrapperIttNSC_7greaterItEEEEEE10hipError_tPvRmT0_T1_T2_T3_T4_T5_mmT6_P12ihipStream_tbEUlT_E_NS1_11comp_targetILNS1_3genE2ELNS1_11target_archE906ELNS1_3gpuE6ELNS1_3repE0EEENS1_30default_config_static_selectorELNS0_4arch9wavefront6targetE0EEEvS10_.uses_flat_scratch, 0
	.set _ZN7rocprim17ROCPRIM_400000_NS6detail17trampoline_kernelINS0_14default_configENS1_21merge_config_selectorINS0_5tupleIJttEEENS0_10empty_typeEEEZNS1_10merge_implIS3_NS0_12zip_iteratorINS5_IJN6thrust23THRUST_200600_302600_NS6detail15normal_iteratorINSC_10device_ptrIKtEEEESI_EEEEESK_NSA_INS5_IJNSE_INSF_ItEEEESM_EEEEEPS7_SP_SP_NSC_11hip_rocprim7__merge17predicate_wrapperIttNSC_7greaterItEEEEEE10hipError_tPvRmT0_T1_T2_T3_T4_T5_mmT6_P12ihipStream_tbEUlT_E_NS1_11comp_targetILNS1_3genE2ELNS1_11target_archE906ELNS1_3gpuE6ELNS1_3repE0EEENS1_30default_config_static_selectorELNS0_4arch9wavefront6targetE0EEEvS10_.has_dyn_sized_stack, 0
	.set _ZN7rocprim17ROCPRIM_400000_NS6detail17trampoline_kernelINS0_14default_configENS1_21merge_config_selectorINS0_5tupleIJttEEENS0_10empty_typeEEEZNS1_10merge_implIS3_NS0_12zip_iteratorINS5_IJN6thrust23THRUST_200600_302600_NS6detail15normal_iteratorINSC_10device_ptrIKtEEEESI_EEEEESK_NSA_INS5_IJNSE_INSF_ItEEEESM_EEEEEPS7_SP_SP_NSC_11hip_rocprim7__merge17predicate_wrapperIttNSC_7greaterItEEEEEE10hipError_tPvRmT0_T1_T2_T3_T4_T5_mmT6_P12ihipStream_tbEUlT_E_NS1_11comp_targetILNS1_3genE2ELNS1_11target_archE906ELNS1_3gpuE6ELNS1_3repE0EEENS1_30default_config_static_selectorELNS0_4arch9wavefront6targetE0EEEvS10_.has_recursion, 0
	.set _ZN7rocprim17ROCPRIM_400000_NS6detail17trampoline_kernelINS0_14default_configENS1_21merge_config_selectorINS0_5tupleIJttEEENS0_10empty_typeEEEZNS1_10merge_implIS3_NS0_12zip_iteratorINS5_IJN6thrust23THRUST_200600_302600_NS6detail15normal_iteratorINSC_10device_ptrIKtEEEESI_EEEEESK_NSA_INS5_IJNSE_INSF_ItEEEESM_EEEEEPS7_SP_SP_NSC_11hip_rocprim7__merge17predicate_wrapperIttNSC_7greaterItEEEEEE10hipError_tPvRmT0_T1_T2_T3_T4_T5_mmT6_P12ihipStream_tbEUlT_E_NS1_11comp_targetILNS1_3genE2ELNS1_11target_archE906ELNS1_3gpuE6ELNS1_3repE0EEENS1_30default_config_static_selectorELNS0_4arch9wavefront6targetE0EEEvS10_.has_indirect_call, 0
	.section	.AMDGPU.csdata,"",@progbits
; Kernel info:
; codeLenInByte = 0
; TotalNumSgprs: 0
; NumVgprs: 0
; ScratchSize: 0
; MemoryBound: 0
; FloatMode: 240
; IeeeMode: 1
; LDSByteSize: 0 bytes/workgroup (compile time only)
; SGPRBlocks: 0
; VGPRBlocks: 0
; NumSGPRsForWavesPerEU: 1
; NumVGPRsForWavesPerEU: 1
; Occupancy: 16
; WaveLimiterHint : 0
; COMPUTE_PGM_RSRC2:SCRATCH_EN: 0
; COMPUTE_PGM_RSRC2:USER_SGPR: 6
; COMPUTE_PGM_RSRC2:TRAP_HANDLER: 0
; COMPUTE_PGM_RSRC2:TGID_X_EN: 1
; COMPUTE_PGM_RSRC2:TGID_Y_EN: 0
; COMPUTE_PGM_RSRC2:TGID_Z_EN: 0
; COMPUTE_PGM_RSRC2:TIDIG_COMP_CNT: 0
	.section	.text._ZN7rocprim17ROCPRIM_400000_NS6detail17trampoline_kernelINS0_14default_configENS1_21merge_config_selectorINS0_5tupleIJttEEENS0_10empty_typeEEEZNS1_10merge_implIS3_NS0_12zip_iteratorINS5_IJN6thrust23THRUST_200600_302600_NS6detail15normal_iteratorINSC_10device_ptrIKtEEEESI_EEEEESK_NSA_INS5_IJNSE_INSF_ItEEEESM_EEEEEPS7_SP_SP_NSC_11hip_rocprim7__merge17predicate_wrapperIttNSC_7greaterItEEEEEE10hipError_tPvRmT0_T1_T2_T3_T4_T5_mmT6_P12ihipStream_tbEUlT_E_NS1_11comp_targetILNS1_3genE10ELNS1_11target_archE1201ELNS1_3gpuE5ELNS1_3repE0EEENS1_30default_config_static_selectorELNS0_4arch9wavefront6targetE0EEEvS10_,"axG",@progbits,_ZN7rocprim17ROCPRIM_400000_NS6detail17trampoline_kernelINS0_14default_configENS1_21merge_config_selectorINS0_5tupleIJttEEENS0_10empty_typeEEEZNS1_10merge_implIS3_NS0_12zip_iteratorINS5_IJN6thrust23THRUST_200600_302600_NS6detail15normal_iteratorINSC_10device_ptrIKtEEEESI_EEEEESK_NSA_INS5_IJNSE_INSF_ItEEEESM_EEEEEPS7_SP_SP_NSC_11hip_rocprim7__merge17predicate_wrapperIttNSC_7greaterItEEEEEE10hipError_tPvRmT0_T1_T2_T3_T4_T5_mmT6_P12ihipStream_tbEUlT_E_NS1_11comp_targetILNS1_3genE10ELNS1_11target_archE1201ELNS1_3gpuE5ELNS1_3repE0EEENS1_30default_config_static_selectorELNS0_4arch9wavefront6targetE0EEEvS10_,comdat
	.protected	_ZN7rocprim17ROCPRIM_400000_NS6detail17trampoline_kernelINS0_14default_configENS1_21merge_config_selectorINS0_5tupleIJttEEENS0_10empty_typeEEEZNS1_10merge_implIS3_NS0_12zip_iteratorINS5_IJN6thrust23THRUST_200600_302600_NS6detail15normal_iteratorINSC_10device_ptrIKtEEEESI_EEEEESK_NSA_INS5_IJNSE_INSF_ItEEEESM_EEEEEPS7_SP_SP_NSC_11hip_rocprim7__merge17predicate_wrapperIttNSC_7greaterItEEEEEE10hipError_tPvRmT0_T1_T2_T3_T4_T5_mmT6_P12ihipStream_tbEUlT_E_NS1_11comp_targetILNS1_3genE10ELNS1_11target_archE1201ELNS1_3gpuE5ELNS1_3repE0EEENS1_30default_config_static_selectorELNS0_4arch9wavefront6targetE0EEEvS10_ ; -- Begin function _ZN7rocprim17ROCPRIM_400000_NS6detail17trampoline_kernelINS0_14default_configENS1_21merge_config_selectorINS0_5tupleIJttEEENS0_10empty_typeEEEZNS1_10merge_implIS3_NS0_12zip_iteratorINS5_IJN6thrust23THRUST_200600_302600_NS6detail15normal_iteratorINSC_10device_ptrIKtEEEESI_EEEEESK_NSA_INS5_IJNSE_INSF_ItEEEESM_EEEEEPS7_SP_SP_NSC_11hip_rocprim7__merge17predicate_wrapperIttNSC_7greaterItEEEEEE10hipError_tPvRmT0_T1_T2_T3_T4_T5_mmT6_P12ihipStream_tbEUlT_E_NS1_11comp_targetILNS1_3genE10ELNS1_11target_archE1201ELNS1_3gpuE5ELNS1_3repE0EEENS1_30default_config_static_selectorELNS0_4arch9wavefront6targetE0EEEvS10_
	.globl	_ZN7rocprim17ROCPRIM_400000_NS6detail17trampoline_kernelINS0_14default_configENS1_21merge_config_selectorINS0_5tupleIJttEEENS0_10empty_typeEEEZNS1_10merge_implIS3_NS0_12zip_iteratorINS5_IJN6thrust23THRUST_200600_302600_NS6detail15normal_iteratorINSC_10device_ptrIKtEEEESI_EEEEESK_NSA_INS5_IJNSE_INSF_ItEEEESM_EEEEEPS7_SP_SP_NSC_11hip_rocprim7__merge17predicate_wrapperIttNSC_7greaterItEEEEEE10hipError_tPvRmT0_T1_T2_T3_T4_T5_mmT6_P12ihipStream_tbEUlT_E_NS1_11comp_targetILNS1_3genE10ELNS1_11target_archE1201ELNS1_3gpuE5ELNS1_3repE0EEENS1_30default_config_static_selectorELNS0_4arch9wavefront6targetE0EEEvS10_
	.p2align	8
	.type	_ZN7rocprim17ROCPRIM_400000_NS6detail17trampoline_kernelINS0_14default_configENS1_21merge_config_selectorINS0_5tupleIJttEEENS0_10empty_typeEEEZNS1_10merge_implIS3_NS0_12zip_iteratorINS5_IJN6thrust23THRUST_200600_302600_NS6detail15normal_iteratorINSC_10device_ptrIKtEEEESI_EEEEESK_NSA_INS5_IJNSE_INSF_ItEEEESM_EEEEEPS7_SP_SP_NSC_11hip_rocprim7__merge17predicate_wrapperIttNSC_7greaterItEEEEEE10hipError_tPvRmT0_T1_T2_T3_T4_T5_mmT6_P12ihipStream_tbEUlT_E_NS1_11comp_targetILNS1_3genE10ELNS1_11target_archE1201ELNS1_3gpuE5ELNS1_3repE0EEENS1_30default_config_static_selectorELNS0_4arch9wavefront6targetE0EEEvS10_,@function
_ZN7rocprim17ROCPRIM_400000_NS6detail17trampoline_kernelINS0_14default_configENS1_21merge_config_selectorINS0_5tupleIJttEEENS0_10empty_typeEEEZNS1_10merge_implIS3_NS0_12zip_iteratorINS5_IJN6thrust23THRUST_200600_302600_NS6detail15normal_iteratorINSC_10device_ptrIKtEEEESI_EEEEESK_NSA_INS5_IJNSE_INSF_ItEEEESM_EEEEEPS7_SP_SP_NSC_11hip_rocprim7__merge17predicate_wrapperIttNSC_7greaterItEEEEEE10hipError_tPvRmT0_T1_T2_T3_T4_T5_mmT6_P12ihipStream_tbEUlT_E_NS1_11comp_targetILNS1_3genE10ELNS1_11target_archE1201ELNS1_3gpuE5ELNS1_3repE0EEENS1_30default_config_static_selectorELNS0_4arch9wavefront6targetE0EEEvS10_: ; @_ZN7rocprim17ROCPRIM_400000_NS6detail17trampoline_kernelINS0_14default_configENS1_21merge_config_selectorINS0_5tupleIJttEEENS0_10empty_typeEEEZNS1_10merge_implIS3_NS0_12zip_iteratorINS5_IJN6thrust23THRUST_200600_302600_NS6detail15normal_iteratorINSC_10device_ptrIKtEEEESI_EEEEESK_NSA_INS5_IJNSE_INSF_ItEEEESM_EEEEEPS7_SP_SP_NSC_11hip_rocprim7__merge17predicate_wrapperIttNSC_7greaterItEEEEEE10hipError_tPvRmT0_T1_T2_T3_T4_T5_mmT6_P12ihipStream_tbEUlT_E_NS1_11comp_targetILNS1_3genE10ELNS1_11target_archE1201ELNS1_3gpuE5ELNS1_3repE0EEENS1_30default_config_static_selectorELNS0_4arch9wavefront6targetE0EEEvS10_
; %bb.0:
	.section	.rodata,"a",@progbits
	.p2align	6, 0x0
	.amdhsa_kernel _ZN7rocprim17ROCPRIM_400000_NS6detail17trampoline_kernelINS0_14default_configENS1_21merge_config_selectorINS0_5tupleIJttEEENS0_10empty_typeEEEZNS1_10merge_implIS3_NS0_12zip_iteratorINS5_IJN6thrust23THRUST_200600_302600_NS6detail15normal_iteratorINSC_10device_ptrIKtEEEESI_EEEEESK_NSA_INS5_IJNSE_INSF_ItEEEESM_EEEEEPS7_SP_SP_NSC_11hip_rocprim7__merge17predicate_wrapperIttNSC_7greaterItEEEEEE10hipError_tPvRmT0_T1_T2_T3_T4_T5_mmT6_P12ihipStream_tbEUlT_E_NS1_11comp_targetILNS1_3genE10ELNS1_11target_archE1201ELNS1_3gpuE5ELNS1_3repE0EEENS1_30default_config_static_selectorELNS0_4arch9wavefront6targetE0EEEvS10_
		.amdhsa_group_segment_fixed_size 0
		.amdhsa_private_segment_fixed_size 0
		.amdhsa_kernarg_size 64
		.amdhsa_user_sgpr_count 6
		.amdhsa_user_sgpr_private_segment_buffer 1
		.amdhsa_user_sgpr_dispatch_ptr 0
		.amdhsa_user_sgpr_queue_ptr 0
		.amdhsa_user_sgpr_kernarg_segment_ptr 1
		.amdhsa_user_sgpr_dispatch_id 0
		.amdhsa_user_sgpr_flat_scratch_init 0
		.amdhsa_user_sgpr_private_segment_size 0
		.amdhsa_wavefront_size32 1
		.amdhsa_uses_dynamic_stack 0
		.amdhsa_system_sgpr_private_segment_wavefront_offset 0
		.amdhsa_system_sgpr_workgroup_id_x 1
		.amdhsa_system_sgpr_workgroup_id_y 0
		.amdhsa_system_sgpr_workgroup_id_z 0
		.amdhsa_system_sgpr_workgroup_info 0
		.amdhsa_system_vgpr_workitem_id 0
		.amdhsa_next_free_vgpr 1
		.amdhsa_next_free_sgpr 1
		.amdhsa_reserve_vcc 0
		.amdhsa_reserve_flat_scratch 0
		.amdhsa_float_round_mode_32 0
		.amdhsa_float_round_mode_16_64 0
		.amdhsa_float_denorm_mode_32 3
		.amdhsa_float_denorm_mode_16_64 3
		.amdhsa_dx10_clamp 1
		.amdhsa_ieee_mode 1
		.amdhsa_fp16_overflow 0
		.amdhsa_workgroup_processor_mode 1
		.amdhsa_memory_ordered 1
		.amdhsa_forward_progress 1
		.amdhsa_shared_vgpr_count 0
		.amdhsa_exception_fp_ieee_invalid_op 0
		.amdhsa_exception_fp_denorm_src 0
		.amdhsa_exception_fp_ieee_div_zero 0
		.amdhsa_exception_fp_ieee_overflow 0
		.amdhsa_exception_fp_ieee_underflow 0
		.amdhsa_exception_fp_ieee_inexact 0
		.amdhsa_exception_int_div_zero 0
	.end_amdhsa_kernel
	.section	.text._ZN7rocprim17ROCPRIM_400000_NS6detail17trampoline_kernelINS0_14default_configENS1_21merge_config_selectorINS0_5tupleIJttEEENS0_10empty_typeEEEZNS1_10merge_implIS3_NS0_12zip_iteratorINS5_IJN6thrust23THRUST_200600_302600_NS6detail15normal_iteratorINSC_10device_ptrIKtEEEESI_EEEEESK_NSA_INS5_IJNSE_INSF_ItEEEESM_EEEEEPS7_SP_SP_NSC_11hip_rocprim7__merge17predicate_wrapperIttNSC_7greaterItEEEEEE10hipError_tPvRmT0_T1_T2_T3_T4_T5_mmT6_P12ihipStream_tbEUlT_E_NS1_11comp_targetILNS1_3genE10ELNS1_11target_archE1201ELNS1_3gpuE5ELNS1_3repE0EEENS1_30default_config_static_selectorELNS0_4arch9wavefront6targetE0EEEvS10_,"axG",@progbits,_ZN7rocprim17ROCPRIM_400000_NS6detail17trampoline_kernelINS0_14default_configENS1_21merge_config_selectorINS0_5tupleIJttEEENS0_10empty_typeEEEZNS1_10merge_implIS3_NS0_12zip_iteratorINS5_IJN6thrust23THRUST_200600_302600_NS6detail15normal_iteratorINSC_10device_ptrIKtEEEESI_EEEEESK_NSA_INS5_IJNSE_INSF_ItEEEESM_EEEEEPS7_SP_SP_NSC_11hip_rocprim7__merge17predicate_wrapperIttNSC_7greaterItEEEEEE10hipError_tPvRmT0_T1_T2_T3_T4_T5_mmT6_P12ihipStream_tbEUlT_E_NS1_11comp_targetILNS1_3genE10ELNS1_11target_archE1201ELNS1_3gpuE5ELNS1_3repE0EEENS1_30default_config_static_selectorELNS0_4arch9wavefront6targetE0EEEvS10_,comdat
.Lfunc_end394:
	.size	_ZN7rocprim17ROCPRIM_400000_NS6detail17trampoline_kernelINS0_14default_configENS1_21merge_config_selectorINS0_5tupleIJttEEENS0_10empty_typeEEEZNS1_10merge_implIS3_NS0_12zip_iteratorINS5_IJN6thrust23THRUST_200600_302600_NS6detail15normal_iteratorINSC_10device_ptrIKtEEEESI_EEEEESK_NSA_INS5_IJNSE_INSF_ItEEEESM_EEEEEPS7_SP_SP_NSC_11hip_rocprim7__merge17predicate_wrapperIttNSC_7greaterItEEEEEE10hipError_tPvRmT0_T1_T2_T3_T4_T5_mmT6_P12ihipStream_tbEUlT_E_NS1_11comp_targetILNS1_3genE10ELNS1_11target_archE1201ELNS1_3gpuE5ELNS1_3repE0EEENS1_30default_config_static_selectorELNS0_4arch9wavefront6targetE0EEEvS10_, .Lfunc_end394-_ZN7rocprim17ROCPRIM_400000_NS6detail17trampoline_kernelINS0_14default_configENS1_21merge_config_selectorINS0_5tupleIJttEEENS0_10empty_typeEEEZNS1_10merge_implIS3_NS0_12zip_iteratorINS5_IJN6thrust23THRUST_200600_302600_NS6detail15normal_iteratorINSC_10device_ptrIKtEEEESI_EEEEESK_NSA_INS5_IJNSE_INSF_ItEEEESM_EEEEEPS7_SP_SP_NSC_11hip_rocprim7__merge17predicate_wrapperIttNSC_7greaterItEEEEEE10hipError_tPvRmT0_T1_T2_T3_T4_T5_mmT6_P12ihipStream_tbEUlT_E_NS1_11comp_targetILNS1_3genE10ELNS1_11target_archE1201ELNS1_3gpuE5ELNS1_3repE0EEENS1_30default_config_static_selectorELNS0_4arch9wavefront6targetE0EEEvS10_
                                        ; -- End function
	.set _ZN7rocprim17ROCPRIM_400000_NS6detail17trampoline_kernelINS0_14default_configENS1_21merge_config_selectorINS0_5tupleIJttEEENS0_10empty_typeEEEZNS1_10merge_implIS3_NS0_12zip_iteratorINS5_IJN6thrust23THRUST_200600_302600_NS6detail15normal_iteratorINSC_10device_ptrIKtEEEESI_EEEEESK_NSA_INS5_IJNSE_INSF_ItEEEESM_EEEEEPS7_SP_SP_NSC_11hip_rocprim7__merge17predicate_wrapperIttNSC_7greaterItEEEEEE10hipError_tPvRmT0_T1_T2_T3_T4_T5_mmT6_P12ihipStream_tbEUlT_E_NS1_11comp_targetILNS1_3genE10ELNS1_11target_archE1201ELNS1_3gpuE5ELNS1_3repE0EEENS1_30default_config_static_selectorELNS0_4arch9wavefront6targetE0EEEvS10_.num_vgpr, 0
	.set _ZN7rocprim17ROCPRIM_400000_NS6detail17trampoline_kernelINS0_14default_configENS1_21merge_config_selectorINS0_5tupleIJttEEENS0_10empty_typeEEEZNS1_10merge_implIS3_NS0_12zip_iteratorINS5_IJN6thrust23THRUST_200600_302600_NS6detail15normal_iteratorINSC_10device_ptrIKtEEEESI_EEEEESK_NSA_INS5_IJNSE_INSF_ItEEEESM_EEEEEPS7_SP_SP_NSC_11hip_rocprim7__merge17predicate_wrapperIttNSC_7greaterItEEEEEE10hipError_tPvRmT0_T1_T2_T3_T4_T5_mmT6_P12ihipStream_tbEUlT_E_NS1_11comp_targetILNS1_3genE10ELNS1_11target_archE1201ELNS1_3gpuE5ELNS1_3repE0EEENS1_30default_config_static_selectorELNS0_4arch9wavefront6targetE0EEEvS10_.num_agpr, 0
	.set _ZN7rocprim17ROCPRIM_400000_NS6detail17trampoline_kernelINS0_14default_configENS1_21merge_config_selectorINS0_5tupleIJttEEENS0_10empty_typeEEEZNS1_10merge_implIS3_NS0_12zip_iteratorINS5_IJN6thrust23THRUST_200600_302600_NS6detail15normal_iteratorINSC_10device_ptrIKtEEEESI_EEEEESK_NSA_INS5_IJNSE_INSF_ItEEEESM_EEEEEPS7_SP_SP_NSC_11hip_rocprim7__merge17predicate_wrapperIttNSC_7greaterItEEEEEE10hipError_tPvRmT0_T1_T2_T3_T4_T5_mmT6_P12ihipStream_tbEUlT_E_NS1_11comp_targetILNS1_3genE10ELNS1_11target_archE1201ELNS1_3gpuE5ELNS1_3repE0EEENS1_30default_config_static_selectorELNS0_4arch9wavefront6targetE0EEEvS10_.numbered_sgpr, 0
	.set _ZN7rocprim17ROCPRIM_400000_NS6detail17trampoline_kernelINS0_14default_configENS1_21merge_config_selectorINS0_5tupleIJttEEENS0_10empty_typeEEEZNS1_10merge_implIS3_NS0_12zip_iteratorINS5_IJN6thrust23THRUST_200600_302600_NS6detail15normal_iteratorINSC_10device_ptrIKtEEEESI_EEEEESK_NSA_INS5_IJNSE_INSF_ItEEEESM_EEEEEPS7_SP_SP_NSC_11hip_rocprim7__merge17predicate_wrapperIttNSC_7greaterItEEEEEE10hipError_tPvRmT0_T1_T2_T3_T4_T5_mmT6_P12ihipStream_tbEUlT_E_NS1_11comp_targetILNS1_3genE10ELNS1_11target_archE1201ELNS1_3gpuE5ELNS1_3repE0EEENS1_30default_config_static_selectorELNS0_4arch9wavefront6targetE0EEEvS10_.num_named_barrier, 0
	.set _ZN7rocprim17ROCPRIM_400000_NS6detail17trampoline_kernelINS0_14default_configENS1_21merge_config_selectorINS0_5tupleIJttEEENS0_10empty_typeEEEZNS1_10merge_implIS3_NS0_12zip_iteratorINS5_IJN6thrust23THRUST_200600_302600_NS6detail15normal_iteratorINSC_10device_ptrIKtEEEESI_EEEEESK_NSA_INS5_IJNSE_INSF_ItEEEESM_EEEEEPS7_SP_SP_NSC_11hip_rocprim7__merge17predicate_wrapperIttNSC_7greaterItEEEEEE10hipError_tPvRmT0_T1_T2_T3_T4_T5_mmT6_P12ihipStream_tbEUlT_E_NS1_11comp_targetILNS1_3genE10ELNS1_11target_archE1201ELNS1_3gpuE5ELNS1_3repE0EEENS1_30default_config_static_selectorELNS0_4arch9wavefront6targetE0EEEvS10_.private_seg_size, 0
	.set _ZN7rocprim17ROCPRIM_400000_NS6detail17trampoline_kernelINS0_14default_configENS1_21merge_config_selectorINS0_5tupleIJttEEENS0_10empty_typeEEEZNS1_10merge_implIS3_NS0_12zip_iteratorINS5_IJN6thrust23THRUST_200600_302600_NS6detail15normal_iteratorINSC_10device_ptrIKtEEEESI_EEEEESK_NSA_INS5_IJNSE_INSF_ItEEEESM_EEEEEPS7_SP_SP_NSC_11hip_rocprim7__merge17predicate_wrapperIttNSC_7greaterItEEEEEE10hipError_tPvRmT0_T1_T2_T3_T4_T5_mmT6_P12ihipStream_tbEUlT_E_NS1_11comp_targetILNS1_3genE10ELNS1_11target_archE1201ELNS1_3gpuE5ELNS1_3repE0EEENS1_30default_config_static_selectorELNS0_4arch9wavefront6targetE0EEEvS10_.uses_vcc, 0
	.set _ZN7rocprim17ROCPRIM_400000_NS6detail17trampoline_kernelINS0_14default_configENS1_21merge_config_selectorINS0_5tupleIJttEEENS0_10empty_typeEEEZNS1_10merge_implIS3_NS0_12zip_iteratorINS5_IJN6thrust23THRUST_200600_302600_NS6detail15normal_iteratorINSC_10device_ptrIKtEEEESI_EEEEESK_NSA_INS5_IJNSE_INSF_ItEEEESM_EEEEEPS7_SP_SP_NSC_11hip_rocprim7__merge17predicate_wrapperIttNSC_7greaterItEEEEEE10hipError_tPvRmT0_T1_T2_T3_T4_T5_mmT6_P12ihipStream_tbEUlT_E_NS1_11comp_targetILNS1_3genE10ELNS1_11target_archE1201ELNS1_3gpuE5ELNS1_3repE0EEENS1_30default_config_static_selectorELNS0_4arch9wavefront6targetE0EEEvS10_.uses_flat_scratch, 0
	.set _ZN7rocprim17ROCPRIM_400000_NS6detail17trampoline_kernelINS0_14default_configENS1_21merge_config_selectorINS0_5tupleIJttEEENS0_10empty_typeEEEZNS1_10merge_implIS3_NS0_12zip_iteratorINS5_IJN6thrust23THRUST_200600_302600_NS6detail15normal_iteratorINSC_10device_ptrIKtEEEESI_EEEEESK_NSA_INS5_IJNSE_INSF_ItEEEESM_EEEEEPS7_SP_SP_NSC_11hip_rocprim7__merge17predicate_wrapperIttNSC_7greaterItEEEEEE10hipError_tPvRmT0_T1_T2_T3_T4_T5_mmT6_P12ihipStream_tbEUlT_E_NS1_11comp_targetILNS1_3genE10ELNS1_11target_archE1201ELNS1_3gpuE5ELNS1_3repE0EEENS1_30default_config_static_selectorELNS0_4arch9wavefront6targetE0EEEvS10_.has_dyn_sized_stack, 0
	.set _ZN7rocprim17ROCPRIM_400000_NS6detail17trampoline_kernelINS0_14default_configENS1_21merge_config_selectorINS0_5tupleIJttEEENS0_10empty_typeEEEZNS1_10merge_implIS3_NS0_12zip_iteratorINS5_IJN6thrust23THRUST_200600_302600_NS6detail15normal_iteratorINSC_10device_ptrIKtEEEESI_EEEEESK_NSA_INS5_IJNSE_INSF_ItEEEESM_EEEEEPS7_SP_SP_NSC_11hip_rocprim7__merge17predicate_wrapperIttNSC_7greaterItEEEEEE10hipError_tPvRmT0_T1_T2_T3_T4_T5_mmT6_P12ihipStream_tbEUlT_E_NS1_11comp_targetILNS1_3genE10ELNS1_11target_archE1201ELNS1_3gpuE5ELNS1_3repE0EEENS1_30default_config_static_selectorELNS0_4arch9wavefront6targetE0EEEvS10_.has_recursion, 0
	.set _ZN7rocprim17ROCPRIM_400000_NS6detail17trampoline_kernelINS0_14default_configENS1_21merge_config_selectorINS0_5tupleIJttEEENS0_10empty_typeEEEZNS1_10merge_implIS3_NS0_12zip_iteratorINS5_IJN6thrust23THRUST_200600_302600_NS6detail15normal_iteratorINSC_10device_ptrIKtEEEESI_EEEEESK_NSA_INS5_IJNSE_INSF_ItEEEESM_EEEEEPS7_SP_SP_NSC_11hip_rocprim7__merge17predicate_wrapperIttNSC_7greaterItEEEEEE10hipError_tPvRmT0_T1_T2_T3_T4_T5_mmT6_P12ihipStream_tbEUlT_E_NS1_11comp_targetILNS1_3genE10ELNS1_11target_archE1201ELNS1_3gpuE5ELNS1_3repE0EEENS1_30default_config_static_selectorELNS0_4arch9wavefront6targetE0EEEvS10_.has_indirect_call, 0
	.section	.AMDGPU.csdata,"",@progbits
; Kernel info:
; codeLenInByte = 0
; TotalNumSgprs: 0
; NumVgprs: 0
; ScratchSize: 0
; MemoryBound: 0
; FloatMode: 240
; IeeeMode: 1
; LDSByteSize: 0 bytes/workgroup (compile time only)
; SGPRBlocks: 0
; VGPRBlocks: 0
; NumSGPRsForWavesPerEU: 1
; NumVGPRsForWavesPerEU: 1
; Occupancy: 16
; WaveLimiterHint : 0
; COMPUTE_PGM_RSRC2:SCRATCH_EN: 0
; COMPUTE_PGM_RSRC2:USER_SGPR: 6
; COMPUTE_PGM_RSRC2:TRAP_HANDLER: 0
; COMPUTE_PGM_RSRC2:TGID_X_EN: 1
; COMPUTE_PGM_RSRC2:TGID_Y_EN: 0
; COMPUTE_PGM_RSRC2:TGID_Z_EN: 0
; COMPUTE_PGM_RSRC2:TIDIG_COMP_CNT: 0
	.section	.text._ZN7rocprim17ROCPRIM_400000_NS6detail17trampoline_kernelINS0_14default_configENS1_21merge_config_selectorINS0_5tupleIJttEEENS0_10empty_typeEEEZNS1_10merge_implIS3_NS0_12zip_iteratorINS5_IJN6thrust23THRUST_200600_302600_NS6detail15normal_iteratorINSC_10device_ptrIKtEEEESI_EEEEESK_NSA_INS5_IJNSE_INSF_ItEEEESM_EEEEEPS7_SP_SP_NSC_11hip_rocprim7__merge17predicate_wrapperIttNSC_7greaterItEEEEEE10hipError_tPvRmT0_T1_T2_T3_T4_T5_mmT6_P12ihipStream_tbEUlT_E_NS1_11comp_targetILNS1_3genE10ELNS1_11target_archE1200ELNS1_3gpuE4ELNS1_3repE0EEENS1_30default_config_static_selectorELNS0_4arch9wavefront6targetE0EEEvS10_,"axG",@progbits,_ZN7rocprim17ROCPRIM_400000_NS6detail17trampoline_kernelINS0_14default_configENS1_21merge_config_selectorINS0_5tupleIJttEEENS0_10empty_typeEEEZNS1_10merge_implIS3_NS0_12zip_iteratorINS5_IJN6thrust23THRUST_200600_302600_NS6detail15normal_iteratorINSC_10device_ptrIKtEEEESI_EEEEESK_NSA_INS5_IJNSE_INSF_ItEEEESM_EEEEEPS7_SP_SP_NSC_11hip_rocprim7__merge17predicate_wrapperIttNSC_7greaterItEEEEEE10hipError_tPvRmT0_T1_T2_T3_T4_T5_mmT6_P12ihipStream_tbEUlT_E_NS1_11comp_targetILNS1_3genE10ELNS1_11target_archE1200ELNS1_3gpuE4ELNS1_3repE0EEENS1_30default_config_static_selectorELNS0_4arch9wavefront6targetE0EEEvS10_,comdat
	.protected	_ZN7rocprim17ROCPRIM_400000_NS6detail17trampoline_kernelINS0_14default_configENS1_21merge_config_selectorINS0_5tupleIJttEEENS0_10empty_typeEEEZNS1_10merge_implIS3_NS0_12zip_iteratorINS5_IJN6thrust23THRUST_200600_302600_NS6detail15normal_iteratorINSC_10device_ptrIKtEEEESI_EEEEESK_NSA_INS5_IJNSE_INSF_ItEEEESM_EEEEEPS7_SP_SP_NSC_11hip_rocprim7__merge17predicate_wrapperIttNSC_7greaterItEEEEEE10hipError_tPvRmT0_T1_T2_T3_T4_T5_mmT6_P12ihipStream_tbEUlT_E_NS1_11comp_targetILNS1_3genE10ELNS1_11target_archE1200ELNS1_3gpuE4ELNS1_3repE0EEENS1_30default_config_static_selectorELNS0_4arch9wavefront6targetE0EEEvS10_ ; -- Begin function _ZN7rocprim17ROCPRIM_400000_NS6detail17trampoline_kernelINS0_14default_configENS1_21merge_config_selectorINS0_5tupleIJttEEENS0_10empty_typeEEEZNS1_10merge_implIS3_NS0_12zip_iteratorINS5_IJN6thrust23THRUST_200600_302600_NS6detail15normal_iteratorINSC_10device_ptrIKtEEEESI_EEEEESK_NSA_INS5_IJNSE_INSF_ItEEEESM_EEEEEPS7_SP_SP_NSC_11hip_rocprim7__merge17predicate_wrapperIttNSC_7greaterItEEEEEE10hipError_tPvRmT0_T1_T2_T3_T4_T5_mmT6_P12ihipStream_tbEUlT_E_NS1_11comp_targetILNS1_3genE10ELNS1_11target_archE1200ELNS1_3gpuE4ELNS1_3repE0EEENS1_30default_config_static_selectorELNS0_4arch9wavefront6targetE0EEEvS10_
	.globl	_ZN7rocprim17ROCPRIM_400000_NS6detail17trampoline_kernelINS0_14default_configENS1_21merge_config_selectorINS0_5tupleIJttEEENS0_10empty_typeEEEZNS1_10merge_implIS3_NS0_12zip_iteratorINS5_IJN6thrust23THRUST_200600_302600_NS6detail15normal_iteratorINSC_10device_ptrIKtEEEESI_EEEEESK_NSA_INS5_IJNSE_INSF_ItEEEESM_EEEEEPS7_SP_SP_NSC_11hip_rocprim7__merge17predicate_wrapperIttNSC_7greaterItEEEEEE10hipError_tPvRmT0_T1_T2_T3_T4_T5_mmT6_P12ihipStream_tbEUlT_E_NS1_11comp_targetILNS1_3genE10ELNS1_11target_archE1200ELNS1_3gpuE4ELNS1_3repE0EEENS1_30default_config_static_selectorELNS0_4arch9wavefront6targetE0EEEvS10_
	.p2align	8
	.type	_ZN7rocprim17ROCPRIM_400000_NS6detail17trampoline_kernelINS0_14default_configENS1_21merge_config_selectorINS0_5tupleIJttEEENS0_10empty_typeEEEZNS1_10merge_implIS3_NS0_12zip_iteratorINS5_IJN6thrust23THRUST_200600_302600_NS6detail15normal_iteratorINSC_10device_ptrIKtEEEESI_EEEEESK_NSA_INS5_IJNSE_INSF_ItEEEESM_EEEEEPS7_SP_SP_NSC_11hip_rocprim7__merge17predicate_wrapperIttNSC_7greaterItEEEEEE10hipError_tPvRmT0_T1_T2_T3_T4_T5_mmT6_P12ihipStream_tbEUlT_E_NS1_11comp_targetILNS1_3genE10ELNS1_11target_archE1200ELNS1_3gpuE4ELNS1_3repE0EEENS1_30default_config_static_selectorELNS0_4arch9wavefront6targetE0EEEvS10_,@function
_ZN7rocprim17ROCPRIM_400000_NS6detail17trampoline_kernelINS0_14default_configENS1_21merge_config_selectorINS0_5tupleIJttEEENS0_10empty_typeEEEZNS1_10merge_implIS3_NS0_12zip_iteratorINS5_IJN6thrust23THRUST_200600_302600_NS6detail15normal_iteratorINSC_10device_ptrIKtEEEESI_EEEEESK_NSA_INS5_IJNSE_INSF_ItEEEESM_EEEEEPS7_SP_SP_NSC_11hip_rocprim7__merge17predicate_wrapperIttNSC_7greaterItEEEEEE10hipError_tPvRmT0_T1_T2_T3_T4_T5_mmT6_P12ihipStream_tbEUlT_E_NS1_11comp_targetILNS1_3genE10ELNS1_11target_archE1200ELNS1_3gpuE4ELNS1_3repE0EEENS1_30default_config_static_selectorELNS0_4arch9wavefront6targetE0EEEvS10_: ; @_ZN7rocprim17ROCPRIM_400000_NS6detail17trampoline_kernelINS0_14default_configENS1_21merge_config_selectorINS0_5tupleIJttEEENS0_10empty_typeEEEZNS1_10merge_implIS3_NS0_12zip_iteratorINS5_IJN6thrust23THRUST_200600_302600_NS6detail15normal_iteratorINSC_10device_ptrIKtEEEESI_EEEEESK_NSA_INS5_IJNSE_INSF_ItEEEESM_EEEEEPS7_SP_SP_NSC_11hip_rocprim7__merge17predicate_wrapperIttNSC_7greaterItEEEEEE10hipError_tPvRmT0_T1_T2_T3_T4_T5_mmT6_P12ihipStream_tbEUlT_E_NS1_11comp_targetILNS1_3genE10ELNS1_11target_archE1200ELNS1_3gpuE4ELNS1_3repE0EEENS1_30default_config_static_selectorELNS0_4arch9wavefront6targetE0EEEvS10_
; %bb.0:
	.section	.rodata,"a",@progbits
	.p2align	6, 0x0
	.amdhsa_kernel _ZN7rocprim17ROCPRIM_400000_NS6detail17trampoline_kernelINS0_14default_configENS1_21merge_config_selectorINS0_5tupleIJttEEENS0_10empty_typeEEEZNS1_10merge_implIS3_NS0_12zip_iteratorINS5_IJN6thrust23THRUST_200600_302600_NS6detail15normal_iteratorINSC_10device_ptrIKtEEEESI_EEEEESK_NSA_INS5_IJNSE_INSF_ItEEEESM_EEEEEPS7_SP_SP_NSC_11hip_rocprim7__merge17predicate_wrapperIttNSC_7greaterItEEEEEE10hipError_tPvRmT0_T1_T2_T3_T4_T5_mmT6_P12ihipStream_tbEUlT_E_NS1_11comp_targetILNS1_3genE10ELNS1_11target_archE1200ELNS1_3gpuE4ELNS1_3repE0EEENS1_30default_config_static_selectorELNS0_4arch9wavefront6targetE0EEEvS10_
		.amdhsa_group_segment_fixed_size 0
		.amdhsa_private_segment_fixed_size 0
		.amdhsa_kernarg_size 64
		.amdhsa_user_sgpr_count 6
		.amdhsa_user_sgpr_private_segment_buffer 1
		.amdhsa_user_sgpr_dispatch_ptr 0
		.amdhsa_user_sgpr_queue_ptr 0
		.amdhsa_user_sgpr_kernarg_segment_ptr 1
		.amdhsa_user_sgpr_dispatch_id 0
		.amdhsa_user_sgpr_flat_scratch_init 0
		.amdhsa_user_sgpr_private_segment_size 0
		.amdhsa_wavefront_size32 1
		.amdhsa_uses_dynamic_stack 0
		.amdhsa_system_sgpr_private_segment_wavefront_offset 0
		.amdhsa_system_sgpr_workgroup_id_x 1
		.amdhsa_system_sgpr_workgroup_id_y 0
		.amdhsa_system_sgpr_workgroup_id_z 0
		.amdhsa_system_sgpr_workgroup_info 0
		.amdhsa_system_vgpr_workitem_id 0
		.amdhsa_next_free_vgpr 1
		.amdhsa_next_free_sgpr 1
		.amdhsa_reserve_vcc 0
		.amdhsa_reserve_flat_scratch 0
		.amdhsa_float_round_mode_32 0
		.amdhsa_float_round_mode_16_64 0
		.amdhsa_float_denorm_mode_32 3
		.amdhsa_float_denorm_mode_16_64 3
		.amdhsa_dx10_clamp 1
		.amdhsa_ieee_mode 1
		.amdhsa_fp16_overflow 0
		.amdhsa_workgroup_processor_mode 1
		.amdhsa_memory_ordered 1
		.amdhsa_forward_progress 1
		.amdhsa_shared_vgpr_count 0
		.amdhsa_exception_fp_ieee_invalid_op 0
		.amdhsa_exception_fp_denorm_src 0
		.amdhsa_exception_fp_ieee_div_zero 0
		.amdhsa_exception_fp_ieee_overflow 0
		.amdhsa_exception_fp_ieee_underflow 0
		.amdhsa_exception_fp_ieee_inexact 0
		.amdhsa_exception_int_div_zero 0
	.end_amdhsa_kernel
	.section	.text._ZN7rocprim17ROCPRIM_400000_NS6detail17trampoline_kernelINS0_14default_configENS1_21merge_config_selectorINS0_5tupleIJttEEENS0_10empty_typeEEEZNS1_10merge_implIS3_NS0_12zip_iteratorINS5_IJN6thrust23THRUST_200600_302600_NS6detail15normal_iteratorINSC_10device_ptrIKtEEEESI_EEEEESK_NSA_INS5_IJNSE_INSF_ItEEEESM_EEEEEPS7_SP_SP_NSC_11hip_rocprim7__merge17predicate_wrapperIttNSC_7greaterItEEEEEE10hipError_tPvRmT0_T1_T2_T3_T4_T5_mmT6_P12ihipStream_tbEUlT_E_NS1_11comp_targetILNS1_3genE10ELNS1_11target_archE1200ELNS1_3gpuE4ELNS1_3repE0EEENS1_30default_config_static_selectorELNS0_4arch9wavefront6targetE0EEEvS10_,"axG",@progbits,_ZN7rocprim17ROCPRIM_400000_NS6detail17trampoline_kernelINS0_14default_configENS1_21merge_config_selectorINS0_5tupleIJttEEENS0_10empty_typeEEEZNS1_10merge_implIS3_NS0_12zip_iteratorINS5_IJN6thrust23THRUST_200600_302600_NS6detail15normal_iteratorINSC_10device_ptrIKtEEEESI_EEEEESK_NSA_INS5_IJNSE_INSF_ItEEEESM_EEEEEPS7_SP_SP_NSC_11hip_rocprim7__merge17predicate_wrapperIttNSC_7greaterItEEEEEE10hipError_tPvRmT0_T1_T2_T3_T4_T5_mmT6_P12ihipStream_tbEUlT_E_NS1_11comp_targetILNS1_3genE10ELNS1_11target_archE1200ELNS1_3gpuE4ELNS1_3repE0EEENS1_30default_config_static_selectorELNS0_4arch9wavefront6targetE0EEEvS10_,comdat
.Lfunc_end395:
	.size	_ZN7rocprim17ROCPRIM_400000_NS6detail17trampoline_kernelINS0_14default_configENS1_21merge_config_selectorINS0_5tupleIJttEEENS0_10empty_typeEEEZNS1_10merge_implIS3_NS0_12zip_iteratorINS5_IJN6thrust23THRUST_200600_302600_NS6detail15normal_iteratorINSC_10device_ptrIKtEEEESI_EEEEESK_NSA_INS5_IJNSE_INSF_ItEEEESM_EEEEEPS7_SP_SP_NSC_11hip_rocprim7__merge17predicate_wrapperIttNSC_7greaterItEEEEEE10hipError_tPvRmT0_T1_T2_T3_T4_T5_mmT6_P12ihipStream_tbEUlT_E_NS1_11comp_targetILNS1_3genE10ELNS1_11target_archE1200ELNS1_3gpuE4ELNS1_3repE0EEENS1_30default_config_static_selectorELNS0_4arch9wavefront6targetE0EEEvS10_, .Lfunc_end395-_ZN7rocprim17ROCPRIM_400000_NS6detail17trampoline_kernelINS0_14default_configENS1_21merge_config_selectorINS0_5tupleIJttEEENS0_10empty_typeEEEZNS1_10merge_implIS3_NS0_12zip_iteratorINS5_IJN6thrust23THRUST_200600_302600_NS6detail15normal_iteratorINSC_10device_ptrIKtEEEESI_EEEEESK_NSA_INS5_IJNSE_INSF_ItEEEESM_EEEEEPS7_SP_SP_NSC_11hip_rocprim7__merge17predicate_wrapperIttNSC_7greaterItEEEEEE10hipError_tPvRmT0_T1_T2_T3_T4_T5_mmT6_P12ihipStream_tbEUlT_E_NS1_11comp_targetILNS1_3genE10ELNS1_11target_archE1200ELNS1_3gpuE4ELNS1_3repE0EEENS1_30default_config_static_selectorELNS0_4arch9wavefront6targetE0EEEvS10_
                                        ; -- End function
	.set _ZN7rocprim17ROCPRIM_400000_NS6detail17trampoline_kernelINS0_14default_configENS1_21merge_config_selectorINS0_5tupleIJttEEENS0_10empty_typeEEEZNS1_10merge_implIS3_NS0_12zip_iteratorINS5_IJN6thrust23THRUST_200600_302600_NS6detail15normal_iteratorINSC_10device_ptrIKtEEEESI_EEEEESK_NSA_INS5_IJNSE_INSF_ItEEEESM_EEEEEPS7_SP_SP_NSC_11hip_rocprim7__merge17predicate_wrapperIttNSC_7greaterItEEEEEE10hipError_tPvRmT0_T1_T2_T3_T4_T5_mmT6_P12ihipStream_tbEUlT_E_NS1_11comp_targetILNS1_3genE10ELNS1_11target_archE1200ELNS1_3gpuE4ELNS1_3repE0EEENS1_30default_config_static_selectorELNS0_4arch9wavefront6targetE0EEEvS10_.num_vgpr, 0
	.set _ZN7rocprim17ROCPRIM_400000_NS6detail17trampoline_kernelINS0_14default_configENS1_21merge_config_selectorINS0_5tupleIJttEEENS0_10empty_typeEEEZNS1_10merge_implIS3_NS0_12zip_iteratorINS5_IJN6thrust23THRUST_200600_302600_NS6detail15normal_iteratorINSC_10device_ptrIKtEEEESI_EEEEESK_NSA_INS5_IJNSE_INSF_ItEEEESM_EEEEEPS7_SP_SP_NSC_11hip_rocprim7__merge17predicate_wrapperIttNSC_7greaterItEEEEEE10hipError_tPvRmT0_T1_T2_T3_T4_T5_mmT6_P12ihipStream_tbEUlT_E_NS1_11comp_targetILNS1_3genE10ELNS1_11target_archE1200ELNS1_3gpuE4ELNS1_3repE0EEENS1_30default_config_static_selectorELNS0_4arch9wavefront6targetE0EEEvS10_.num_agpr, 0
	.set _ZN7rocprim17ROCPRIM_400000_NS6detail17trampoline_kernelINS0_14default_configENS1_21merge_config_selectorINS0_5tupleIJttEEENS0_10empty_typeEEEZNS1_10merge_implIS3_NS0_12zip_iteratorINS5_IJN6thrust23THRUST_200600_302600_NS6detail15normal_iteratorINSC_10device_ptrIKtEEEESI_EEEEESK_NSA_INS5_IJNSE_INSF_ItEEEESM_EEEEEPS7_SP_SP_NSC_11hip_rocprim7__merge17predicate_wrapperIttNSC_7greaterItEEEEEE10hipError_tPvRmT0_T1_T2_T3_T4_T5_mmT6_P12ihipStream_tbEUlT_E_NS1_11comp_targetILNS1_3genE10ELNS1_11target_archE1200ELNS1_3gpuE4ELNS1_3repE0EEENS1_30default_config_static_selectorELNS0_4arch9wavefront6targetE0EEEvS10_.numbered_sgpr, 0
	.set _ZN7rocprim17ROCPRIM_400000_NS6detail17trampoline_kernelINS0_14default_configENS1_21merge_config_selectorINS0_5tupleIJttEEENS0_10empty_typeEEEZNS1_10merge_implIS3_NS0_12zip_iteratorINS5_IJN6thrust23THRUST_200600_302600_NS6detail15normal_iteratorINSC_10device_ptrIKtEEEESI_EEEEESK_NSA_INS5_IJNSE_INSF_ItEEEESM_EEEEEPS7_SP_SP_NSC_11hip_rocprim7__merge17predicate_wrapperIttNSC_7greaterItEEEEEE10hipError_tPvRmT0_T1_T2_T3_T4_T5_mmT6_P12ihipStream_tbEUlT_E_NS1_11comp_targetILNS1_3genE10ELNS1_11target_archE1200ELNS1_3gpuE4ELNS1_3repE0EEENS1_30default_config_static_selectorELNS0_4arch9wavefront6targetE0EEEvS10_.num_named_barrier, 0
	.set _ZN7rocprim17ROCPRIM_400000_NS6detail17trampoline_kernelINS0_14default_configENS1_21merge_config_selectorINS0_5tupleIJttEEENS0_10empty_typeEEEZNS1_10merge_implIS3_NS0_12zip_iteratorINS5_IJN6thrust23THRUST_200600_302600_NS6detail15normal_iteratorINSC_10device_ptrIKtEEEESI_EEEEESK_NSA_INS5_IJNSE_INSF_ItEEEESM_EEEEEPS7_SP_SP_NSC_11hip_rocprim7__merge17predicate_wrapperIttNSC_7greaterItEEEEEE10hipError_tPvRmT0_T1_T2_T3_T4_T5_mmT6_P12ihipStream_tbEUlT_E_NS1_11comp_targetILNS1_3genE10ELNS1_11target_archE1200ELNS1_3gpuE4ELNS1_3repE0EEENS1_30default_config_static_selectorELNS0_4arch9wavefront6targetE0EEEvS10_.private_seg_size, 0
	.set _ZN7rocprim17ROCPRIM_400000_NS6detail17trampoline_kernelINS0_14default_configENS1_21merge_config_selectorINS0_5tupleIJttEEENS0_10empty_typeEEEZNS1_10merge_implIS3_NS0_12zip_iteratorINS5_IJN6thrust23THRUST_200600_302600_NS6detail15normal_iteratorINSC_10device_ptrIKtEEEESI_EEEEESK_NSA_INS5_IJNSE_INSF_ItEEEESM_EEEEEPS7_SP_SP_NSC_11hip_rocprim7__merge17predicate_wrapperIttNSC_7greaterItEEEEEE10hipError_tPvRmT0_T1_T2_T3_T4_T5_mmT6_P12ihipStream_tbEUlT_E_NS1_11comp_targetILNS1_3genE10ELNS1_11target_archE1200ELNS1_3gpuE4ELNS1_3repE0EEENS1_30default_config_static_selectorELNS0_4arch9wavefront6targetE0EEEvS10_.uses_vcc, 0
	.set _ZN7rocprim17ROCPRIM_400000_NS6detail17trampoline_kernelINS0_14default_configENS1_21merge_config_selectorINS0_5tupleIJttEEENS0_10empty_typeEEEZNS1_10merge_implIS3_NS0_12zip_iteratorINS5_IJN6thrust23THRUST_200600_302600_NS6detail15normal_iteratorINSC_10device_ptrIKtEEEESI_EEEEESK_NSA_INS5_IJNSE_INSF_ItEEEESM_EEEEEPS7_SP_SP_NSC_11hip_rocprim7__merge17predicate_wrapperIttNSC_7greaterItEEEEEE10hipError_tPvRmT0_T1_T2_T3_T4_T5_mmT6_P12ihipStream_tbEUlT_E_NS1_11comp_targetILNS1_3genE10ELNS1_11target_archE1200ELNS1_3gpuE4ELNS1_3repE0EEENS1_30default_config_static_selectorELNS0_4arch9wavefront6targetE0EEEvS10_.uses_flat_scratch, 0
	.set _ZN7rocprim17ROCPRIM_400000_NS6detail17trampoline_kernelINS0_14default_configENS1_21merge_config_selectorINS0_5tupleIJttEEENS0_10empty_typeEEEZNS1_10merge_implIS3_NS0_12zip_iteratorINS5_IJN6thrust23THRUST_200600_302600_NS6detail15normal_iteratorINSC_10device_ptrIKtEEEESI_EEEEESK_NSA_INS5_IJNSE_INSF_ItEEEESM_EEEEEPS7_SP_SP_NSC_11hip_rocprim7__merge17predicate_wrapperIttNSC_7greaterItEEEEEE10hipError_tPvRmT0_T1_T2_T3_T4_T5_mmT6_P12ihipStream_tbEUlT_E_NS1_11comp_targetILNS1_3genE10ELNS1_11target_archE1200ELNS1_3gpuE4ELNS1_3repE0EEENS1_30default_config_static_selectorELNS0_4arch9wavefront6targetE0EEEvS10_.has_dyn_sized_stack, 0
	.set _ZN7rocprim17ROCPRIM_400000_NS6detail17trampoline_kernelINS0_14default_configENS1_21merge_config_selectorINS0_5tupleIJttEEENS0_10empty_typeEEEZNS1_10merge_implIS3_NS0_12zip_iteratorINS5_IJN6thrust23THRUST_200600_302600_NS6detail15normal_iteratorINSC_10device_ptrIKtEEEESI_EEEEESK_NSA_INS5_IJNSE_INSF_ItEEEESM_EEEEEPS7_SP_SP_NSC_11hip_rocprim7__merge17predicate_wrapperIttNSC_7greaterItEEEEEE10hipError_tPvRmT0_T1_T2_T3_T4_T5_mmT6_P12ihipStream_tbEUlT_E_NS1_11comp_targetILNS1_3genE10ELNS1_11target_archE1200ELNS1_3gpuE4ELNS1_3repE0EEENS1_30default_config_static_selectorELNS0_4arch9wavefront6targetE0EEEvS10_.has_recursion, 0
	.set _ZN7rocprim17ROCPRIM_400000_NS6detail17trampoline_kernelINS0_14default_configENS1_21merge_config_selectorINS0_5tupleIJttEEENS0_10empty_typeEEEZNS1_10merge_implIS3_NS0_12zip_iteratorINS5_IJN6thrust23THRUST_200600_302600_NS6detail15normal_iteratorINSC_10device_ptrIKtEEEESI_EEEEESK_NSA_INS5_IJNSE_INSF_ItEEEESM_EEEEEPS7_SP_SP_NSC_11hip_rocprim7__merge17predicate_wrapperIttNSC_7greaterItEEEEEE10hipError_tPvRmT0_T1_T2_T3_T4_T5_mmT6_P12ihipStream_tbEUlT_E_NS1_11comp_targetILNS1_3genE10ELNS1_11target_archE1200ELNS1_3gpuE4ELNS1_3repE0EEENS1_30default_config_static_selectorELNS0_4arch9wavefront6targetE0EEEvS10_.has_indirect_call, 0
	.section	.AMDGPU.csdata,"",@progbits
; Kernel info:
; codeLenInByte = 0
; TotalNumSgprs: 0
; NumVgprs: 0
; ScratchSize: 0
; MemoryBound: 0
; FloatMode: 240
; IeeeMode: 1
; LDSByteSize: 0 bytes/workgroup (compile time only)
; SGPRBlocks: 0
; VGPRBlocks: 0
; NumSGPRsForWavesPerEU: 1
; NumVGPRsForWavesPerEU: 1
; Occupancy: 16
; WaveLimiterHint : 0
; COMPUTE_PGM_RSRC2:SCRATCH_EN: 0
; COMPUTE_PGM_RSRC2:USER_SGPR: 6
; COMPUTE_PGM_RSRC2:TRAP_HANDLER: 0
; COMPUTE_PGM_RSRC2:TGID_X_EN: 1
; COMPUTE_PGM_RSRC2:TGID_Y_EN: 0
; COMPUTE_PGM_RSRC2:TGID_Z_EN: 0
; COMPUTE_PGM_RSRC2:TIDIG_COMP_CNT: 0
	.section	.text._ZN7rocprim17ROCPRIM_400000_NS6detail17trampoline_kernelINS0_14default_configENS1_21merge_config_selectorINS0_5tupleIJttEEENS0_10empty_typeEEEZNS1_10merge_implIS3_NS0_12zip_iteratorINS5_IJN6thrust23THRUST_200600_302600_NS6detail15normal_iteratorINSC_10device_ptrIKtEEEESI_EEEEESK_NSA_INS5_IJNSE_INSF_ItEEEESM_EEEEEPS7_SP_SP_NSC_11hip_rocprim7__merge17predicate_wrapperIttNSC_7greaterItEEEEEE10hipError_tPvRmT0_T1_T2_T3_T4_T5_mmT6_P12ihipStream_tbEUlT_E_NS1_11comp_targetILNS1_3genE9ELNS1_11target_archE1100ELNS1_3gpuE3ELNS1_3repE0EEENS1_30default_config_static_selectorELNS0_4arch9wavefront6targetE0EEEvS10_,"axG",@progbits,_ZN7rocprim17ROCPRIM_400000_NS6detail17trampoline_kernelINS0_14default_configENS1_21merge_config_selectorINS0_5tupleIJttEEENS0_10empty_typeEEEZNS1_10merge_implIS3_NS0_12zip_iteratorINS5_IJN6thrust23THRUST_200600_302600_NS6detail15normal_iteratorINSC_10device_ptrIKtEEEESI_EEEEESK_NSA_INS5_IJNSE_INSF_ItEEEESM_EEEEEPS7_SP_SP_NSC_11hip_rocprim7__merge17predicate_wrapperIttNSC_7greaterItEEEEEE10hipError_tPvRmT0_T1_T2_T3_T4_T5_mmT6_P12ihipStream_tbEUlT_E_NS1_11comp_targetILNS1_3genE9ELNS1_11target_archE1100ELNS1_3gpuE3ELNS1_3repE0EEENS1_30default_config_static_selectorELNS0_4arch9wavefront6targetE0EEEvS10_,comdat
	.protected	_ZN7rocprim17ROCPRIM_400000_NS6detail17trampoline_kernelINS0_14default_configENS1_21merge_config_selectorINS0_5tupleIJttEEENS0_10empty_typeEEEZNS1_10merge_implIS3_NS0_12zip_iteratorINS5_IJN6thrust23THRUST_200600_302600_NS6detail15normal_iteratorINSC_10device_ptrIKtEEEESI_EEEEESK_NSA_INS5_IJNSE_INSF_ItEEEESM_EEEEEPS7_SP_SP_NSC_11hip_rocprim7__merge17predicate_wrapperIttNSC_7greaterItEEEEEE10hipError_tPvRmT0_T1_T2_T3_T4_T5_mmT6_P12ihipStream_tbEUlT_E_NS1_11comp_targetILNS1_3genE9ELNS1_11target_archE1100ELNS1_3gpuE3ELNS1_3repE0EEENS1_30default_config_static_selectorELNS0_4arch9wavefront6targetE0EEEvS10_ ; -- Begin function _ZN7rocprim17ROCPRIM_400000_NS6detail17trampoline_kernelINS0_14default_configENS1_21merge_config_selectorINS0_5tupleIJttEEENS0_10empty_typeEEEZNS1_10merge_implIS3_NS0_12zip_iteratorINS5_IJN6thrust23THRUST_200600_302600_NS6detail15normal_iteratorINSC_10device_ptrIKtEEEESI_EEEEESK_NSA_INS5_IJNSE_INSF_ItEEEESM_EEEEEPS7_SP_SP_NSC_11hip_rocprim7__merge17predicate_wrapperIttNSC_7greaterItEEEEEE10hipError_tPvRmT0_T1_T2_T3_T4_T5_mmT6_P12ihipStream_tbEUlT_E_NS1_11comp_targetILNS1_3genE9ELNS1_11target_archE1100ELNS1_3gpuE3ELNS1_3repE0EEENS1_30default_config_static_selectorELNS0_4arch9wavefront6targetE0EEEvS10_
	.globl	_ZN7rocprim17ROCPRIM_400000_NS6detail17trampoline_kernelINS0_14default_configENS1_21merge_config_selectorINS0_5tupleIJttEEENS0_10empty_typeEEEZNS1_10merge_implIS3_NS0_12zip_iteratorINS5_IJN6thrust23THRUST_200600_302600_NS6detail15normal_iteratorINSC_10device_ptrIKtEEEESI_EEEEESK_NSA_INS5_IJNSE_INSF_ItEEEESM_EEEEEPS7_SP_SP_NSC_11hip_rocprim7__merge17predicate_wrapperIttNSC_7greaterItEEEEEE10hipError_tPvRmT0_T1_T2_T3_T4_T5_mmT6_P12ihipStream_tbEUlT_E_NS1_11comp_targetILNS1_3genE9ELNS1_11target_archE1100ELNS1_3gpuE3ELNS1_3repE0EEENS1_30default_config_static_selectorELNS0_4arch9wavefront6targetE0EEEvS10_
	.p2align	8
	.type	_ZN7rocprim17ROCPRIM_400000_NS6detail17trampoline_kernelINS0_14default_configENS1_21merge_config_selectorINS0_5tupleIJttEEENS0_10empty_typeEEEZNS1_10merge_implIS3_NS0_12zip_iteratorINS5_IJN6thrust23THRUST_200600_302600_NS6detail15normal_iteratorINSC_10device_ptrIKtEEEESI_EEEEESK_NSA_INS5_IJNSE_INSF_ItEEEESM_EEEEEPS7_SP_SP_NSC_11hip_rocprim7__merge17predicate_wrapperIttNSC_7greaterItEEEEEE10hipError_tPvRmT0_T1_T2_T3_T4_T5_mmT6_P12ihipStream_tbEUlT_E_NS1_11comp_targetILNS1_3genE9ELNS1_11target_archE1100ELNS1_3gpuE3ELNS1_3repE0EEENS1_30default_config_static_selectorELNS0_4arch9wavefront6targetE0EEEvS10_,@function
_ZN7rocprim17ROCPRIM_400000_NS6detail17trampoline_kernelINS0_14default_configENS1_21merge_config_selectorINS0_5tupleIJttEEENS0_10empty_typeEEEZNS1_10merge_implIS3_NS0_12zip_iteratorINS5_IJN6thrust23THRUST_200600_302600_NS6detail15normal_iteratorINSC_10device_ptrIKtEEEESI_EEEEESK_NSA_INS5_IJNSE_INSF_ItEEEESM_EEEEEPS7_SP_SP_NSC_11hip_rocprim7__merge17predicate_wrapperIttNSC_7greaterItEEEEEE10hipError_tPvRmT0_T1_T2_T3_T4_T5_mmT6_P12ihipStream_tbEUlT_E_NS1_11comp_targetILNS1_3genE9ELNS1_11target_archE1100ELNS1_3gpuE3ELNS1_3repE0EEENS1_30default_config_static_selectorELNS0_4arch9wavefront6targetE0EEEvS10_: ; @_ZN7rocprim17ROCPRIM_400000_NS6detail17trampoline_kernelINS0_14default_configENS1_21merge_config_selectorINS0_5tupleIJttEEENS0_10empty_typeEEEZNS1_10merge_implIS3_NS0_12zip_iteratorINS5_IJN6thrust23THRUST_200600_302600_NS6detail15normal_iteratorINSC_10device_ptrIKtEEEESI_EEEEESK_NSA_INS5_IJNSE_INSF_ItEEEESM_EEEEEPS7_SP_SP_NSC_11hip_rocprim7__merge17predicate_wrapperIttNSC_7greaterItEEEEEE10hipError_tPvRmT0_T1_T2_T3_T4_T5_mmT6_P12ihipStream_tbEUlT_E_NS1_11comp_targetILNS1_3genE9ELNS1_11target_archE1100ELNS1_3gpuE3ELNS1_3repE0EEENS1_30default_config_static_selectorELNS0_4arch9wavefront6targetE0EEEvS10_
; %bb.0:
	.section	.rodata,"a",@progbits
	.p2align	6, 0x0
	.amdhsa_kernel _ZN7rocprim17ROCPRIM_400000_NS6detail17trampoline_kernelINS0_14default_configENS1_21merge_config_selectorINS0_5tupleIJttEEENS0_10empty_typeEEEZNS1_10merge_implIS3_NS0_12zip_iteratorINS5_IJN6thrust23THRUST_200600_302600_NS6detail15normal_iteratorINSC_10device_ptrIKtEEEESI_EEEEESK_NSA_INS5_IJNSE_INSF_ItEEEESM_EEEEEPS7_SP_SP_NSC_11hip_rocprim7__merge17predicate_wrapperIttNSC_7greaterItEEEEEE10hipError_tPvRmT0_T1_T2_T3_T4_T5_mmT6_P12ihipStream_tbEUlT_E_NS1_11comp_targetILNS1_3genE9ELNS1_11target_archE1100ELNS1_3gpuE3ELNS1_3repE0EEENS1_30default_config_static_selectorELNS0_4arch9wavefront6targetE0EEEvS10_
		.amdhsa_group_segment_fixed_size 0
		.amdhsa_private_segment_fixed_size 0
		.amdhsa_kernarg_size 64
		.amdhsa_user_sgpr_count 6
		.amdhsa_user_sgpr_private_segment_buffer 1
		.amdhsa_user_sgpr_dispatch_ptr 0
		.amdhsa_user_sgpr_queue_ptr 0
		.amdhsa_user_sgpr_kernarg_segment_ptr 1
		.amdhsa_user_sgpr_dispatch_id 0
		.amdhsa_user_sgpr_flat_scratch_init 0
		.amdhsa_user_sgpr_private_segment_size 0
		.amdhsa_wavefront_size32 1
		.amdhsa_uses_dynamic_stack 0
		.amdhsa_system_sgpr_private_segment_wavefront_offset 0
		.amdhsa_system_sgpr_workgroup_id_x 1
		.amdhsa_system_sgpr_workgroup_id_y 0
		.amdhsa_system_sgpr_workgroup_id_z 0
		.amdhsa_system_sgpr_workgroup_info 0
		.amdhsa_system_vgpr_workitem_id 0
		.amdhsa_next_free_vgpr 1
		.amdhsa_next_free_sgpr 1
		.amdhsa_reserve_vcc 0
		.amdhsa_reserve_flat_scratch 0
		.amdhsa_float_round_mode_32 0
		.amdhsa_float_round_mode_16_64 0
		.amdhsa_float_denorm_mode_32 3
		.amdhsa_float_denorm_mode_16_64 3
		.amdhsa_dx10_clamp 1
		.amdhsa_ieee_mode 1
		.amdhsa_fp16_overflow 0
		.amdhsa_workgroup_processor_mode 1
		.amdhsa_memory_ordered 1
		.amdhsa_forward_progress 1
		.amdhsa_shared_vgpr_count 0
		.amdhsa_exception_fp_ieee_invalid_op 0
		.amdhsa_exception_fp_denorm_src 0
		.amdhsa_exception_fp_ieee_div_zero 0
		.amdhsa_exception_fp_ieee_overflow 0
		.amdhsa_exception_fp_ieee_underflow 0
		.amdhsa_exception_fp_ieee_inexact 0
		.amdhsa_exception_int_div_zero 0
	.end_amdhsa_kernel
	.section	.text._ZN7rocprim17ROCPRIM_400000_NS6detail17trampoline_kernelINS0_14default_configENS1_21merge_config_selectorINS0_5tupleIJttEEENS0_10empty_typeEEEZNS1_10merge_implIS3_NS0_12zip_iteratorINS5_IJN6thrust23THRUST_200600_302600_NS6detail15normal_iteratorINSC_10device_ptrIKtEEEESI_EEEEESK_NSA_INS5_IJNSE_INSF_ItEEEESM_EEEEEPS7_SP_SP_NSC_11hip_rocprim7__merge17predicate_wrapperIttNSC_7greaterItEEEEEE10hipError_tPvRmT0_T1_T2_T3_T4_T5_mmT6_P12ihipStream_tbEUlT_E_NS1_11comp_targetILNS1_3genE9ELNS1_11target_archE1100ELNS1_3gpuE3ELNS1_3repE0EEENS1_30default_config_static_selectorELNS0_4arch9wavefront6targetE0EEEvS10_,"axG",@progbits,_ZN7rocprim17ROCPRIM_400000_NS6detail17trampoline_kernelINS0_14default_configENS1_21merge_config_selectorINS0_5tupleIJttEEENS0_10empty_typeEEEZNS1_10merge_implIS3_NS0_12zip_iteratorINS5_IJN6thrust23THRUST_200600_302600_NS6detail15normal_iteratorINSC_10device_ptrIKtEEEESI_EEEEESK_NSA_INS5_IJNSE_INSF_ItEEEESM_EEEEEPS7_SP_SP_NSC_11hip_rocprim7__merge17predicate_wrapperIttNSC_7greaterItEEEEEE10hipError_tPvRmT0_T1_T2_T3_T4_T5_mmT6_P12ihipStream_tbEUlT_E_NS1_11comp_targetILNS1_3genE9ELNS1_11target_archE1100ELNS1_3gpuE3ELNS1_3repE0EEENS1_30default_config_static_selectorELNS0_4arch9wavefront6targetE0EEEvS10_,comdat
.Lfunc_end396:
	.size	_ZN7rocprim17ROCPRIM_400000_NS6detail17trampoline_kernelINS0_14default_configENS1_21merge_config_selectorINS0_5tupleIJttEEENS0_10empty_typeEEEZNS1_10merge_implIS3_NS0_12zip_iteratorINS5_IJN6thrust23THRUST_200600_302600_NS6detail15normal_iteratorINSC_10device_ptrIKtEEEESI_EEEEESK_NSA_INS5_IJNSE_INSF_ItEEEESM_EEEEEPS7_SP_SP_NSC_11hip_rocprim7__merge17predicate_wrapperIttNSC_7greaterItEEEEEE10hipError_tPvRmT0_T1_T2_T3_T4_T5_mmT6_P12ihipStream_tbEUlT_E_NS1_11comp_targetILNS1_3genE9ELNS1_11target_archE1100ELNS1_3gpuE3ELNS1_3repE0EEENS1_30default_config_static_selectorELNS0_4arch9wavefront6targetE0EEEvS10_, .Lfunc_end396-_ZN7rocprim17ROCPRIM_400000_NS6detail17trampoline_kernelINS0_14default_configENS1_21merge_config_selectorINS0_5tupleIJttEEENS0_10empty_typeEEEZNS1_10merge_implIS3_NS0_12zip_iteratorINS5_IJN6thrust23THRUST_200600_302600_NS6detail15normal_iteratorINSC_10device_ptrIKtEEEESI_EEEEESK_NSA_INS5_IJNSE_INSF_ItEEEESM_EEEEEPS7_SP_SP_NSC_11hip_rocprim7__merge17predicate_wrapperIttNSC_7greaterItEEEEEE10hipError_tPvRmT0_T1_T2_T3_T4_T5_mmT6_P12ihipStream_tbEUlT_E_NS1_11comp_targetILNS1_3genE9ELNS1_11target_archE1100ELNS1_3gpuE3ELNS1_3repE0EEENS1_30default_config_static_selectorELNS0_4arch9wavefront6targetE0EEEvS10_
                                        ; -- End function
	.set _ZN7rocprim17ROCPRIM_400000_NS6detail17trampoline_kernelINS0_14default_configENS1_21merge_config_selectorINS0_5tupleIJttEEENS0_10empty_typeEEEZNS1_10merge_implIS3_NS0_12zip_iteratorINS5_IJN6thrust23THRUST_200600_302600_NS6detail15normal_iteratorINSC_10device_ptrIKtEEEESI_EEEEESK_NSA_INS5_IJNSE_INSF_ItEEEESM_EEEEEPS7_SP_SP_NSC_11hip_rocprim7__merge17predicate_wrapperIttNSC_7greaterItEEEEEE10hipError_tPvRmT0_T1_T2_T3_T4_T5_mmT6_P12ihipStream_tbEUlT_E_NS1_11comp_targetILNS1_3genE9ELNS1_11target_archE1100ELNS1_3gpuE3ELNS1_3repE0EEENS1_30default_config_static_selectorELNS0_4arch9wavefront6targetE0EEEvS10_.num_vgpr, 0
	.set _ZN7rocprim17ROCPRIM_400000_NS6detail17trampoline_kernelINS0_14default_configENS1_21merge_config_selectorINS0_5tupleIJttEEENS0_10empty_typeEEEZNS1_10merge_implIS3_NS0_12zip_iteratorINS5_IJN6thrust23THRUST_200600_302600_NS6detail15normal_iteratorINSC_10device_ptrIKtEEEESI_EEEEESK_NSA_INS5_IJNSE_INSF_ItEEEESM_EEEEEPS7_SP_SP_NSC_11hip_rocprim7__merge17predicate_wrapperIttNSC_7greaterItEEEEEE10hipError_tPvRmT0_T1_T2_T3_T4_T5_mmT6_P12ihipStream_tbEUlT_E_NS1_11comp_targetILNS1_3genE9ELNS1_11target_archE1100ELNS1_3gpuE3ELNS1_3repE0EEENS1_30default_config_static_selectorELNS0_4arch9wavefront6targetE0EEEvS10_.num_agpr, 0
	.set _ZN7rocprim17ROCPRIM_400000_NS6detail17trampoline_kernelINS0_14default_configENS1_21merge_config_selectorINS0_5tupleIJttEEENS0_10empty_typeEEEZNS1_10merge_implIS3_NS0_12zip_iteratorINS5_IJN6thrust23THRUST_200600_302600_NS6detail15normal_iteratorINSC_10device_ptrIKtEEEESI_EEEEESK_NSA_INS5_IJNSE_INSF_ItEEEESM_EEEEEPS7_SP_SP_NSC_11hip_rocprim7__merge17predicate_wrapperIttNSC_7greaterItEEEEEE10hipError_tPvRmT0_T1_T2_T3_T4_T5_mmT6_P12ihipStream_tbEUlT_E_NS1_11comp_targetILNS1_3genE9ELNS1_11target_archE1100ELNS1_3gpuE3ELNS1_3repE0EEENS1_30default_config_static_selectorELNS0_4arch9wavefront6targetE0EEEvS10_.numbered_sgpr, 0
	.set _ZN7rocprim17ROCPRIM_400000_NS6detail17trampoline_kernelINS0_14default_configENS1_21merge_config_selectorINS0_5tupleIJttEEENS0_10empty_typeEEEZNS1_10merge_implIS3_NS0_12zip_iteratorINS5_IJN6thrust23THRUST_200600_302600_NS6detail15normal_iteratorINSC_10device_ptrIKtEEEESI_EEEEESK_NSA_INS5_IJNSE_INSF_ItEEEESM_EEEEEPS7_SP_SP_NSC_11hip_rocprim7__merge17predicate_wrapperIttNSC_7greaterItEEEEEE10hipError_tPvRmT0_T1_T2_T3_T4_T5_mmT6_P12ihipStream_tbEUlT_E_NS1_11comp_targetILNS1_3genE9ELNS1_11target_archE1100ELNS1_3gpuE3ELNS1_3repE0EEENS1_30default_config_static_selectorELNS0_4arch9wavefront6targetE0EEEvS10_.num_named_barrier, 0
	.set _ZN7rocprim17ROCPRIM_400000_NS6detail17trampoline_kernelINS0_14default_configENS1_21merge_config_selectorINS0_5tupleIJttEEENS0_10empty_typeEEEZNS1_10merge_implIS3_NS0_12zip_iteratorINS5_IJN6thrust23THRUST_200600_302600_NS6detail15normal_iteratorINSC_10device_ptrIKtEEEESI_EEEEESK_NSA_INS5_IJNSE_INSF_ItEEEESM_EEEEEPS7_SP_SP_NSC_11hip_rocprim7__merge17predicate_wrapperIttNSC_7greaterItEEEEEE10hipError_tPvRmT0_T1_T2_T3_T4_T5_mmT6_P12ihipStream_tbEUlT_E_NS1_11comp_targetILNS1_3genE9ELNS1_11target_archE1100ELNS1_3gpuE3ELNS1_3repE0EEENS1_30default_config_static_selectorELNS0_4arch9wavefront6targetE0EEEvS10_.private_seg_size, 0
	.set _ZN7rocprim17ROCPRIM_400000_NS6detail17trampoline_kernelINS0_14default_configENS1_21merge_config_selectorINS0_5tupleIJttEEENS0_10empty_typeEEEZNS1_10merge_implIS3_NS0_12zip_iteratorINS5_IJN6thrust23THRUST_200600_302600_NS6detail15normal_iteratorINSC_10device_ptrIKtEEEESI_EEEEESK_NSA_INS5_IJNSE_INSF_ItEEEESM_EEEEEPS7_SP_SP_NSC_11hip_rocprim7__merge17predicate_wrapperIttNSC_7greaterItEEEEEE10hipError_tPvRmT0_T1_T2_T3_T4_T5_mmT6_P12ihipStream_tbEUlT_E_NS1_11comp_targetILNS1_3genE9ELNS1_11target_archE1100ELNS1_3gpuE3ELNS1_3repE0EEENS1_30default_config_static_selectorELNS0_4arch9wavefront6targetE0EEEvS10_.uses_vcc, 0
	.set _ZN7rocprim17ROCPRIM_400000_NS6detail17trampoline_kernelINS0_14default_configENS1_21merge_config_selectorINS0_5tupleIJttEEENS0_10empty_typeEEEZNS1_10merge_implIS3_NS0_12zip_iteratorINS5_IJN6thrust23THRUST_200600_302600_NS6detail15normal_iteratorINSC_10device_ptrIKtEEEESI_EEEEESK_NSA_INS5_IJNSE_INSF_ItEEEESM_EEEEEPS7_SP_SP_NSC_11hip_rocprim7__merge17predicate_wrapperIttNSC_7greaterItEEEEEE10hipError_tPvRmT0_T1_T2_T3_T4_T5_mmT6_P12ihipStream_tbEUlT_E_NS1_11comp_targetILNS1_3genE9ELNS1_11target_archE1100ELNS1_3gpuE3ELNS1_3repE0EEENS1_30default_config_static_selectorELNS0_4arch9wavefront6targetE0EEEvS10_.uses_flat_scratch, 0
	.set _ZN7rocprim17ROCPRIM_400000_NS6detail17trampoline_kernelINS0_14default_configENS1_21merge_config_selectorINS0_5tupleIJttEEENS0_10empty_typeEEEZNS1_10merge_implIS3_NS0_12zip_iteratorINS5_IJN6thrust23THRUST_200600_302600_NS6detail15normal_iteratorINSC_10device_ptrIKtEEEESI_EEEEESK_NSA_INS5_IJNSE_INSF_ItEEEESM_EEEEEPS7_SP_SP_NSC_11hip_rocprim7__merge17predicate_wrapperIttNSC_7greaterItEEEEEE10hipError_tPvRmT0_T1_T2_T3_T4_T5_mmT6_P12ihipStream_tbEUlT_E_NS1_11comp_targetILNS1_3genE9ELNS1_11target_archE1100ELNS1_3gpuE3ELNS1_3repE0EEENS1_30default_config_static_selectorELNS0_4arch9wavefront6targetE0EEEvS10_.has_dyn_sized_stack, 0
	.set _ZN7rocprim17ROCPRIM_400000_NS6detail17trampoline_kernelINS0_14default_configENS1_21merge_config_selectorINS0_5tupleIJttEEENS0_10empty_typeEEEZNS1_10merge_implIS3_NS0_12zip_iteratorINS5_IJN6thrust23THRUST_200600_302600_NS6detail15normal_iteratorINSC_10device_ptrIKtEEEESI_EEEEESK_NSA_INS5_IJNSE_INSF_ItEEEESM_EEEEEPS7_SP_SP_NSC_11hip_rocprim7__merge17predicate_wrapperIttNSC_7greaterItEEEEEE10hipError_tPvRmT0_T1_T2_T3_T4_T5_mmT6_P12ihipStream_tbEUlT_E_NS1_11comp_targetILNS1_3genE9ELNS1_11target_archE1100ELNS1_3gpuE3ELNS1_3repE0EEENS1_30default_config_static_selectorELNS0_4arch9wavefront6targetE0EEEvS10_.has_recursion, 0
	.set _ZN7rocprim17ROCPRIM_400000_NS6detail17trampoline_kernelINS0_14default_configENS1_21merge_config_selectorINS0_5tupleIJttEEENS0_10empty_typeEEEZNS1_10merge_implIS3_NS0_12zip_iteratorINS5_IJN6thrust23THRUST_200600_302600_NS6detail15normal_iteratorINSC_10device_ptrIKtEEEESI_EEEEESK_NSA_INS5_IJNSE_INSF_ItEEEESM_EEEEEPS7_SP_SP_NSC_11hip_rocprim7__merge17predicate_wrapperIttNSC_7greaterItEEEEEE10hipError_tPvRmT0_T1_T2_T3_T4_T5_mmT6_P12ihipStream_tbEUlT_E_NS1_11comp_targetILNS1_3genE9ELNS1_11target_archE1100ELNS1_3gpuE3ELNS1_3repE0EEENS1_30default_config_static_selectorELNS0_4arch9wavefront6targetE0EEEvS10_.has_indirect_call, 0
	.section	.AMDGPU.csdata,"",@progbits
; Kernel info:
; codeLenInByte = 0
; TotalNumSgprs: 0
; NumVgprs: 0
; ScratchSize: 0
; MemoryBound: 0
; FloatMode: 240
; IeeeMode: 1
; LDSByteSize: 0 bytes/workgroup (compile time only)
; SGPRBlocks: 0
; VGPRBlocks: 0
; NumSGPRsForWavesPerEU: 1
; NumVGPRsForWavesPerEU: 1
; Occupancy: 16
; WaveLimiterHint : 0
; COMPUTE_PGM_RSRC2:SCRATCH_EN: 0
; COMPUTE_PGM_RSRC2:USER_SGPR: 6
; COMPUTE_PGM_RSRC2:TRAP_HANDLER: 0
; COMPUTE_PGM_RSRC2:TGID_X_EN: 1
; COMPUTE_PGM_RSRC2:TGID_Y_EN: 0
; COMPUTE_PGM_RSRC2:TGID_Z_EN: 0
; COMPUTE_PGM_RSRC2:TIDIG_COMP_CNT: 0
	.section	.text._ZN7rocprim17ROCPRIM_400000_NS6detail17trampoline_kernelINS0_14default_configENS1_21merge_config_selectorINS0_5tupleIJttEEENS0_10empty_typeEEEZNS1_10merge_implIS3_NS0_12zip_iteratorINS5_IJN6thrust23THRUST_200600_302600_NS6detail15normal_iteratorINSC_10device_ptrIKtEEEESI_EEEEESK_NSA_INS5_IJNSE_INSF_ItEEEESM_EEEEEPS7_SP_SP_NSC_11hip_rocprim7__merge17predicate_wrapperIttNSC_7greaterItEEEEEE10hipError_tPvRmT0_T1_T2_T3_T4_T5_mmT6_P12ihipStream_tbEUlT_E_NS1_11comp_targetILNS1_3genE8ELNS1_11target_archE1030ELNS1_3gpuE2ELNS1_3repE0EEENS1_30default_config_static_selectorELNS0_4arch9wavefront6targetE0EEEvS10_,"axG",@progbits,_ZN7rocprim17ROCPRIM_400000_NS6detail17trampoline_kernelINS0_14default_configENS1_21merge_config_selectorINS0_5tupleIJttEEENS0_10empty_typeEEEZNS1_10merge_implIS3_NS0_12zip_iteratorINS5_IJN6thrust23THRUST_200600_302600_NS6detail15normal_iteratorINSC_10device_ptrIKtEEEESI_EEEEESK_NSA_INS5_IJNSE_INSF_ItEEEESM_EEEEEPS7_SP_SP_NSC_11hip_rocprim7__merge17predicate_wrapperIttNSC_7greaterItEEEEEE10hipError_tPvRmT0_T1_T2_T3_T4_T5_mmT6_P12ihipStream_tbEUlT_E_NS1_11comp_targetILNS1_3genE8ELNS1_11target_archE1030ELNS1_3gpuE2ELNS1_3repE0EEENS1_30default_config_static_selectorELNS0_4arch9wavefront6targetE0EEEvS10_,comdat
	.protected	_ZN7rocprim17ROCPRIM_400000_NS6detail17trampoline_kernelINS0_14default_configENS1_21merge_config_selectorINS0_5tupleIJttEEENS0_10empty_typeEEEZNS1_10merge_implIS3_NS0_12zip_iteratorINS5_IJN6thrust23THRUST_200600_302600_NS6detail15normal_iteratorINSC_10device_ptrIKtEEEESI_EEEEESK_NSA_INS5_IJNSE_INSF_ItEEEESM_EEEEEPS7_SP_SP_NSC_11hip_rocprim7__merge17predicate_wrapperIttNSC_7greaterItEEEEEE10hipError_tPvRmT0_T1_T2_T3_T4_T5_mmT6_P12ihipStream_tbEUlT_E_NS1_11comp_targetILNS1_3genE8ELNS1_11target_archE1030ELNS1_3gpuE2ELNS1_3repE0EEENS1_30default_config_static_selectorELNS0_4arch9wavefront6targetE0EEEvS10_ ; -- Begin function _ZN7rocprim17ROCPRIM_400000_NS6detail17trampoline_kernelINS0_14default_configENS1_21merge_config_selectorINS0_5tupleIJttEEENS0_10empty_typeEEEZNS1_10merge_implIS3_NS0_12zip_iteratorINS5_IJN6thrust23THRUST_200600_302600_NS6detail15normal_iteratorINSC_10device_ptrIKtEEEESI_EEEEESK_NSA_INS5_IJNSE_INSF_ItEEEESM_EEEEEPS7_SP_SP_NSC_11hip_rocprim7__merge17predicate_wrapperIttNSC_7greaterItEEEEEE10hipError_tPvRmT0_T1_T2_T3_T4_T5_mmT6_P12ihipStream_tbEUlT_E_NS1_11comp_targetILNS1_3genE8ELNS1_11target_archE1030ELNS1_3gpuE2ELNS1_3repE0EEENS1_30default_config_static_selectorELNS0_4arch9wavefront6targetE0EEEvS10_
	.globl	_ZN7rocprim17ROCPRIM_400000_NS6detail17trampoline_kernelINS0_14default_configENS1_21merge_config_selectorINS0_5tupleIJttEEENS0_10empty_typeEEEZNS1_10merge_implIS3_NS0_12zip_iteratorINS5_IJN6thrust23THRUST_200600_302600_NS6detail15normal_iteratorINSC_10device_ptrIKtEEEESI_EEEEESK_NSA_INS5_IJNSE_INSF_ItEEEESM_EEEEEPS7_SP_SP_NSC_11hip_rocprim7__merge17predicate_wrapperIttNSC_7greaterItEEEEEE10hipError_tPvRmT0_T1_T2_T3_T4_T5_mmT6_P12ihipStream_tbEUlT_E_NS1_11comp_targetILNS1_3genE8ELNS1_11target_archE1030ELNS1_3gpuE2ELNS1_3repE0EEENS1_30default_config_static_selectorELNS0_4arch9wavefront6targetE0EEEvS10_
	.p2align	8
	.type	_ZN7rocprim17ROCPRIM_400000_NS6detail17trampoline_kernelINS0_14default_configENS1_21merge_config_selectorINS0_5tupleIJttEEENS0_10empty_typeEEEZNS1_10merge_implIS3_NS0_12zip_iteratorINS5_IJN6thrust23THRUST_200600_302600_NS6detail15normal_iteratorINSC_10device_ptrIKtEEEESI_EEEEESK_NSA_INS5_IJNSE_INSF_ItEEEESM_EEEEEPS7_SP_SP_NSC_11hip_rocprim7__merge17predicate_wrapperIttNSC_7greaterItEEEEEE10hipError_tPvRmT0_T1_T2_T3_T4_T5_mmT6_P12ihipStream_tbEUlT_E_NS1_11comp_targetILNS1_3genE8ELNS1_11target_archE1030ELNS1_3gpuE2ELNS1_3repE0EEENS1_30default_config_static_selectorELNS0_4arch9wavefront6targetE0EEEvS10_,@function
_ZN7rocprim17ROCPRIM_400000_NS6detail17trampoline_kernelINS0_14default_configENS1_21merge_config_selectorINS0_5tupleIJttEEENS0_10empty_typeEEEZNS1_10merge_implIS3_NS0_12zip_iteratorINS5_IJN6thrust23THRUST_200600_302600_NS6detail15normal_iteratorINSC_10device_ptrIKtEEEESI_EEEEESK_NSA_INS5_IJNSE_INSF_ItEEEESM_EEEEEPS7_SP_SP_NSC_11hip_rocprim7__merge17predicate_wrapperIttNSC_7greaterItEEEEEE10hipError_tPvRmT0_T1_T2_T3_T4_T5_mmT6_P12ihipStream_tbEUlT_E_NS1_11comp_targetILNS1_3genE8ELNS1_11target_archE1030ELNS1_3gpuE2ELNS1_3repE0EEENS1_30default_config_static_selectorELNS0_4arch9wavefront6targetE0EEEvS10_: ; @_ZN7rocprim17ROCPRIM_400000_NS6detail17trampoline_kernelINS0_14default_configENS1_21merge_config_selectorINS0_5tupleIJttEEENS0_10empty_typeEEEZNS1_10merge_implIS3_NS0_12zip_iteratorINS5_IJN6thrust23THRUST_200600_302600_NS6detail15normal_iteratorINSC_10device_ptrIKtEEEESI_EEEEESK_NSA_INS5_IJNSE_INSF_ItEEEESM_EEEEEPS7_SP_SP_NSC_11hip_rocprim7__merge17predicate_wrapperIttNSC_7greaterItEEEEEE10hipError_tPvRmT0_T1_T2_T3_T4_T5_mmT6_P12ihipStream_tbEUlT_E_NS1_11comp_targetILNS1_3genE8ELNS1_11target_archE1030ELNS1_3gpuE2ELNS1_3repE0EEENS1_30default_config_static_selectorELNS0_4arch9wavefront6targetE0EEEvS10_
; %bb.0:
	s_clause 0x2
	s_load_dword s2, s[4:5], 0x38
	s_load_dword s0, s[4:5], 0x4c
	s_load_dwordx4 s[12:15], s[4:5], 0x28
	s_waitcnt lgkmcnt(0)
	v_cvt_f32_u32_e32 v1, s2
	s_and_b32 s3, s0, 0xffff
	s_add_u32 s0, s14, s12
	s_addc_u32 s1, s15, s13
	s_sub_i32 s8, 0, s2
	v_rcp_iflag_f32_e32 v1, v1
	s_add_i32 s9, s2, s0
	s_add_i32 s9, s9, -1
	v_mul_f32_e32 v1, 0x4f7ffffe, v1
	v_cvt_u32_f32_e32 v1, v1
	v_readfirstlane_b32 s7, v1
	v_mad_u64_u32 v[0:1], null, s6, s3, v[0:1]
	s_mul_i32 s8, s8, s7
	s_mul_hi_u32 s8, s7, s8
	s_add_i32 s7, s7, s8
	s_mul_hi_u32 s7, s9, s7
	s_mul_i32 s8, s7, s2
	s_sub_i32 s8, s9, s8
	s_add_i32 s9, s7, 1
	s_sub_i32 s10, s8, s2
	s_cmp_ge_u32 s8, s2
	s_cselect_b32 s3, s9, s7
	s_cselect_b32 s6, s10, s8
	s_add_i32 s7, s3, 1
	s_cmp_ge_u32 s6, s2
	s_cselect_b32 s3, s7, s3
	v_cmp_ge_u32_e32 vcc_lo, s3, v0
	s_and_saveexec_b32 s3, vcc_lo
	s_cbranch_execz .LBB397_6
; %bb.1:
	v_mul_lo_u32 v1, v0, s2
	v_mov_b32_e32 v2, 0
	s_load_dwordx4 s[8:11], s[4:5], 0x0
	v_cmp_gt_u64_e32 vcc_lo, s[0:1], v[1:2]
	v_cndmask_b32_e32 v6, s0, v1, vcc_lo
	v_cndmask_b32_e64 v7, s1, 0, vcc_lo
	v_sub_co_u32 v1, vcc_lo, v6, s14
	v_subrev_co_ci_u32_e64 v2, null, s15, v7, vcc_lo
	v_cmp_gt_u64_e64 s0, s[12:13], v[6:7]
	v_cmp_gt_u64_e32 vcc_lo, v[1:2], v[6:7]
	v_cndmask_b32_e64 v5, s13, v7, s0
	v_cndmask_b32_e64 v4, s12, v6, s0
	s_mov_b32 s0, exec_lo
	v_cndmask_b32_e64 v3, v2, 0, vcc_lo
	v_cndmask_b32_e64 v2, v1, 0, vcc_lo
	v_cmpx_lt_u64_e64 v[2:3], v[4:5]
	s_cbranch_execz .LBB397_5
; %bb.2:
	s_load_dwordx2 s[2:3], s[4:5], 0x18
	v_lshlrev_b64 v[6:7], 1, v[6:7]
	s_mov_b32 s1, 0
	s_waitcnt lgkmcnt(0)
	v_add_co_u32 v1, vcc_lo, s2, v6
	v_add_co_ci_u32_e64 v6, null, s3, v7, vcc_lo
	s_inst_prefetch 0x1
	.p2align	6
.LBB397_3:                              ; =>This Inner Loop Header: Depth=1
	v_add_co_u32 v7, vcc_lo, v4, v2
	v_add_co_ci_u32_e64 v8, null, v5, v3, vcc_lo
	v_and_b32_e32 v9, -2, v7
	v_xor_b32_e32 v12, -1, v8
	v_xor_b32_e32 v11, -2, v9
	v_add_co_u32 v9, vcc_lo, s10, v9
	v_add_co_ci_u32_e64 v10, null, s11, v8, vcc_lo
	v_add_co_u32 v11, vcc_lo, v1, v11
	v_add_co_ci_u32_e64 v12, null, v6, v12, vcc_lo
	v_lshrrev_b64 v[7:8], 1, v[7:8]
	global_load_ushort v9, v[9:10], off
	global_load_ushort v10, v[11:12], off
	v_add_co_u32 v11, vcc_lo, v7, 1
	v_add_co_ci_u32_e64 v12, null, 0, v8, vcc_lo
	s_waitcnt vmcnt(0)
	v_cmp_gt_u16_e32 vcc_lo, v10, v9
	v_cndmask_b32_e32 v5, v5, v8, vcc_lo
	v_cndmask_b32_e32 v4, v4, v7, vcc_lo
	;; [unrolled: 1-line block ×4, first 2 shown]
	v_cmp_ge_u64_e32 vcc_lo, v[2:3], v[4:5]
	s_or_b32 s1, vcc_lo, s1
	s_andn2_b32 exec_lo, exec_lo, s1
	s_cbranch_execnz .LBB397_3
; %bb.4:
	s_inst_prefetch 0x2
	s_or_b32 exec_lo, exec_lo, s1
.LBB397_5:
	s_or_b32 exec_lo, exec_lo, s0
	v_mov_b32_e32 v1, 0
	v_lshlrev_b64 v[0:1], 2, v[0:1]
	s_waitcnt lgkmcnt(0)
	v_add_co_u32 v0, vcc_lo, s8, v0
	v_add_co_ci_u32_e64 v1, null, s9, v1, vcc_lo
	global_store_dword v[0:1], v2, off
.LBB397_6:
	s_endpgm
	.section	.rodata,"a",@progbits
	.p2align	6, 0x0
	.amdhsa_kernel _ZN7rocprim17ROCPRIM_400000_NS6detail17trampoline_kernelINS0_14default_configENS1_21merge_config_selectorINS0_5tupleIJttEEENS0_10empty_typeEEEZNS1_10merge_implIS3_NS0_12zip_iteratorINS5_IJN6thrust23THRUST_200600_302600_NS6detail15normal_iteratorINSC_10device_ptrIKtEEEESI_EEEEESK_NSA_INS5_IJNSE_INSF_ItEEEESM_EEEEEPS7_SP_SP_NSC_11hip_rocprim7__merge17predicate_wrapperIttNSC_7greaterItEEEEEE10hipError_tPvRmT0_T1_T2_T3_T4_T5_mmT6_P12ihipStream_tbEUlT_E_NS1_11comp_targetILNS1_3genE8ELNS1_11target_archE1030ELNS1_3gpuE2ELNS1_3repE0EEENS1_30default_config_static_selectorELNS0_4arch9wavefront6targetE0EEEvS10_
		.amdhsa_group_segment_fixed_size 0
		.amdhsa_private_segment_fixed_size 0
		.amdhsa_kernarg_size 320
		.amdhsa_user_sgpr_count 6
		.amdhsa_user_sgpr_private_segment_buffer 1
		.amdhsa_user_sgpr_dispatch_ptr 0
		.amdhsa_user_sgpr_queue_ptr 0
		.amdhsa_user_sgpr_kernarg_segment_ptr 1
		.amdhsa_user_sgpr_dispatch_id 0
		.amdhsa_user_sgpr_flat_scratch_init 0
		.amdhsa_user_sgpr_private_segment_size 0
		.amdhsa_wavefront_size32 1
		.amdhsa_uses_dynamic_stack 0
		.amdhsa_system_sgpr_private_segment_wavefront_offset 0
		.amdhsa_system_sgpr_workgroup_id_x 1
		.amdhsa_system_sgpr_workgroup_id_y 0
		.amdhsa_system_sgpr_workgroup_id_z 0
		.amdhsa_system_sgpr_workgroup_info 0
		.amdhsa_system_vgpr_workitem_id 0
		.amdhsa_next_free_vgpr 13
		.amdhsa_next_free_sgpr 16
		.amdhsa_reserve_vcc 1
		.amdhsa_reserve_flat_scratch 0
		.amdhsa_float_round_mode_32 0
		.amdhsa_float_round_mode_16_64 0
		.amdhsa_float_denorm_mode_32 3
		.amdhsa_float_denorm_mode_16_64 3
		.amdhsa_dx10_clamp 1
		.amdhsa_ieee_mode 1
		.amdhsa_fp16_overflow 0
		.amdhsa_workgroup_processor_mode 1
		.amdhsa_memory_ordered 1
		.amdhsa_forward_progress 1
		.amdhsa_shared_vgpr_count 0
		.amdhsa_exception_fp_ieee_invalid_op 0
		.amdhsa_exception_fp_denorm_src 0
		.amdhsa_exception_fp_ieee_div_zero 0
		.amdhsa_exception_fp_ieee_overflow 0
		.amdhsa_exception_fp_ieee_underflow 0
		.amdhsa_exception_fp_ieee_inexact 0
		.amdhsa_exception_int_div_zero 0
	.end_amdhsa_kernel
	.section	.text._ZN7rocprim17ROCPRIM_400000_NS6detail17trampoline_kernelINS0_14default_configENS1_21merge_config_selectorINS0_5tupleIJttEEENS0_10empty_typeEEEZNS1_10merge_implIS3_NS0_12zip_iteratorINS5_IJN6thrust23THRUST_200600_302600_NS6detail15normal_iteratorINSC_10device_ptrIKtEEEESI_EEEEESK_NSA_INS5_IJNSE_INSF_ItEEEESM_EEEEEPS7_SP_SP_NSC_11hip_rocprim7__merge17predicate_wrapperIttNSC_7greaterItEEEEEE10hipError_tPvRmT0_T1_T2_T3_T4_T5_mmT6_P12ihipStream_tbEUlT_E_NS1_11comp_targetILNS1_3genE8ELNS1_11target_archE1030ELNS1_3gpuE2ELNS1_3repE0EEENS1_30default_config_static_selectorELNS0_4arch9wavefront6targetE0EEEvS10_,"axG",@progbits,_ZN7rocprim17ROCPRIM_400000_NS6detail17trampoline_kernelINS0_14default_configENS1_21merge_config_selectorINS0_5tupleIJttEEENS0_10empty_typeEEEZNS1_10merge_implIS3_NS0_12zip_iteratorINS5_IJN6thrust23THRUST_200600_302600_NS6detail15normal_iteratorINSC_10device_ptrIKtEEEESI_EEEEESK_NSA_INS5_IJNSE_INSF_ItEEEESM_EEEEEPS7_SP_SP_NSC_11hip_rocprim7__merge17predicate_wrapperIttNSC_7greaterItEEEEEE10hipError_tPvRmT0_T1_T2_T3_T4_T5_mmT6_P12ihipStream_tbEUlT_E_NS1_11comp_targetILNS1_3genE8ELNS1_11target_archE1030ELNS1_3gpuE2ELNS1_3repE0EEENS1_30default_config_static_selectorELNS0_4arch9wavefront6targetE0EEEvS10_,comdat
.Lfunc_end397:
	.size	_ZN7rocprim17ROCPRIM_400000_NS6detail17trampoline_kernelINS0_14default_configENS1_21merge_config_selectorINS0_5tupleIJttEEENS0_10empty_typeEEEZNS1_10merge_implIS3_NS0_12zip_iteratorINS5_IJN6thrust23THRUST_200600_302600_NS6detail15normal_iteratorINSC_10device_ptrIKtEEEESI_EEEEESK_NSA_INS5_IJNSE_INSF_ItEEEESM_EEEEEPS7_SP_SP_NSC_11hip_rocprim7__merge17predicate_wrapperIttNSC_7greaterItEEEEEE10hipError_tPvRmT0_T1_T2_T3_T4_T5_mmT6_P12ihipStream_tbEUlT_E_NS1_11comp_targetILNS1_3genE8ELNS1_11target_archE1030ELNS1_3gpuE2ELNS1_3repE0EEENS1_30default_config_static_selectorELNS0_4arch9wavefront6targetE0EEEvS10_, .Lfunc_end397-_ZN7rocprim17ROCPRIM_400000_NS6detail17trampoline_kernelINS0_14default_configENS1_21merge_config_selectorINS0_5tupleIJttEEENS0_10empty_typeEEEZNS1_10merge_implIS3_NS0_12zip_iteratorINS5_IJN6thrust23THRUST_200600_302600_NS6detail15normal_iteratorINSC_10device_ptrIKtEEEESI_EEEEESK_NSA_INS5_IJNSE_INSF_ItEEEESM_EEEEEPS7_SP_SP_NSC_11hip_rocprim7__merge17predicate_wrapperIttNSC_7greaterItEEEEEE10hipError_tPvRmT0_T1_T2_T3_T4_T5_mmT6_P12ihipStream_tbEUlT_E_NS1_11comp_targetILNS1_3genE8ELNS1_11target_archE1030ELNS1_3gpuE2ELNS1_3repE0EEENS1_30default_config_static_selectorELNS0_4arch9wavefront6targetE0EEEvS10_
                                        ; -- End function
	.set _ZN7rocprim17ROCPRIM_400000_NS6detail17trampoline_kernelINS0_14default_configENS1_21merge_config_selectorINS0_5tupleIJttEEENS0_10empty_typeEEEZNS1_10merge_implIS3_NS0_12zip_iteratorINS5_IJN6thrust23THRUST_200600_302600_NS6detail15normal_iteratorINSC_10device_ptrIKtEEEESI_EEEEESK_NSA_INS5_IJNSE_INSF_ItEEEESM_EEEEEPS7_SP_SP_NSC_11hip_rocprim7__merge17predicate_wrapperIttNSC_7greaterItEEEEEE10hipError_tPvRmT0_T1_T2_T3_T4_T5_mmT6_P12ihipStream_tbEUlT_E_NS1_11comp_targetILNS1_3genE8ELNS1_11target_archE1030ELNS1_3gpuE2ELNS1_3repE0EEENS1_30default_config_static_selectorELNS0_4arch9wavefront6targetE0EEEvS10_.num_vgpr, 13
	.set _ZN7rocprim17ROCPRIM_400000_NS6detail17trampoline_kernelINS0_14default_configENS1_21merge_config_selectorINS0_5tupleIJttEEENS0_10empty_typeEEEZNS1_10merge_implIS3_NS0_12zip_iteratorINS5_IJN6thrust23THRUST_200600_302600_NS6detail15normal_iteratorINSC_10device_ptrIKtEEEESI_EEEEESK_NSA_INS5_IJNSE_INSF_ItEEEESM_EEEEEPS7_SP_SP_NSC_11hip_rocprim7__merge17predicate_wrapperIttNSC_7greaterItEEEEEE10hipError_tPvRmT0_T1_T2_T3_T4_T5_mmT6_P12ihipStream_tbEUlT_E_NS1_11comp_targetILNS1_3genE8ELNS1_11target_archE1030ELNS1_3gpuE2ELNS1_3repE0EEENS1_30default_config_static_selectorELNS0_4arch9wavefront6targetE0EEEvS10_.num_agpr, 0
	.set _ZN7rocprim17ROCPRIM_400000_NS6detail17trampoline_kernelINS0_14default_configENS1_21merge_config_selectorINS0_5tupleIJttEEENS0_10empty_typeEEEZNS1_10merge_implIS3_NS0_12zip_iteratorINS5_IJN6thrust23THRUST_200600_302600_NS6detail15normal_iteratorINSC_10device_ptrIKtEEEESI_EEEEESK_NSA_INS5_IJNSE_INSF_ItEEEESM_EEEEEPS7_SP_SP_NSC_11hip_rocprim7__merge17predicate_wrapperIttNSC_7greaterItEEEEEE10hipError_tPvRmT0_T1_T2_T3_T4_T5_mmT6_P12ihipStream_tbEUlT_E_NS1_11comp_targetILNS1_3genE8ELNS1_11target_archE1030ELNS1_3gpuE2ELNS1_3repE0EEENS1_30default_config_static_selectorELNS0_4arch9wavefront6targetE0EEEvS10_.numbered_sgpr, 16
	.set _ZN7rocprim17ROCPRIM_400000_NS6detail17trampoline_kernelINS0_14default_configENS1_21merge_config_selectorINS0_5tupleIJttEEENS0_10empty_typeEEEZNS1_10merge_implIS3_NS0_12zip_iteratorINS5_IJN6thrust23THRUST_200600_302600_NS6detail15normal_iteratorINSC_10device_ptrIKtEEEESI_EEEEESK_NSA_INS5_IJNSE_INSF_ItEEEESM_EEEEEPS7_SP_SP_NSC_11hip_rocprim7__merge17predicate_wrapperIttNSC_7greaterItEEEEEE10hipError_tPvRmT0_T1_T2_T3_T4_T5_mmT6_P12ihipStream_tbEUlT_E_NS1_11comp_targetILNS1_3genE8ELNS1_11target_archE1030ELNS1_3gpuE2ELNS1_3repE0EEENS1_30default_config_static_selectorELNS0_4arch9wavefront6targetE0EEEvS10_.num_named_barrier, 0
	.set _ZN7rocprim17ROCPRIM_400000_NS6detail17trampoline_kernelINS0_14default_configENS1_21merge_config_selectorINS0_5tupleIJttEEENS0_10empty_typeEEEZNS1_10merge_implIS3_NS0_12zip_iteratorINS5_IJN6thrust23THRUST_200600_302600_NS6detail15normal_iteratorINSC_10device_ptrIKtEEEESI_EEEEESK_NSA_INS5_IJNSE_INSF_ItEEEESM_EEEEEPS7_SP_SP_NSC_11hip_rocprim7__merge17predicate_wrapperIttNSC_7greaterItEEEEEE10hipError_tPvRmT0_T1_T2_T3_T4_T5_mmT6_P12ihipStream_tbEUlT_E_NS1_11comp_targetILNS1_3genE8ELNS1_11target_archE1030ELNS1_3gpuE2ELNS1_3repE0EEENS1_30default_config_static_selectorELNS0_4arch9wavefront6targetE0EEEvS10_.private_seg_size, 0
	.set _ZN7rocprim17ROCPRIM_400000_NS6detail17trampoline_kernelINS0_14default_configENS1_21merge_config_selectorINS0_5tupleIJttEEENS0_10empty_typeEEEZNS1_10merge_implIS3_NS0_12zip_iteratorINS5_IJN6thrust23THRUST_200600_302600_NS6detail15normal_iteratorINSC_10device_ptrIKtEEEESI_EEEEESK_NSA_INS5_IJNSE_INSF_ItEEEESM_EEEEEPS7_SP_SP_NSC_11hip_rocprim7__merge17predicate_wrapperIttNSC_7greaterItEEEEEE10hipError_tPvRmT0_T1_T2_T3_T4_T5_mmT6_P12ihipStream_tbEUlT_E_NS1_11comp_targetILNS1_3genE8ELNS1_11target_archE1030ELNS1_3gpuE2ELNS1_3repE0EEENS1_30default_config_static_selectorELNS0_4arch9wavefront6targetE0EEEvS10_.uses_vcc, 1
	.set _ZN7rocprim17ROCPRIM_400000_NS6detail17trampoline_kernelINS0_14default_configENS1_21merge_config_selectorINS0_5tupleIJttEEENS0_10empty_typeEEEZNS1_10merge_implIS3_NS0_12zip_iteratorINS5_IJN6thrust23THRUST_200600_302600_NS6detail15normal_iteratorINSC_10device_ptrIKtEEEESI_EEEEESK_NSA_INS5_IJNSE_INSF_ItEEEESM_EEEEEPS7_SP_SP_NSC_11hip_rocprim7__merge17predicate_wrapperIttNSC_7greaterItEEEEEE10hipError_tPvRmT0_T1_T2_T3_T4_T5_mmT6_P12ihipStream_tbEUlT_E_NS1_11comp_targetILNS1_3genE8ELNS1_11target_archE1030ELNS1_3gpuE2ELNS1_3repE0EEENS1_30default_config_static_selectorELNS0_4arch9wavefront6targetE0EEEvS10_.uses_flat_scratch, 0
	.set _ZN7rocprim17ROCPRIM_400000_NS6detail17trampoline_kernelINS0_14default_configENS1_21merge_config_selectorINS0_5tupleIJttEEENS0_10empty_typeEEEZNS1_10merge_implIS3_NS0_12zip_iteratorINS5_IJN6thrust23THRUST_200600_302600_NS6detail15normal_iteratorINSC_10device_ptrIKtEEEESI_EEEEESK_NSA_INS5_IJNSE_INSF_ItEEEESM_EEEEEPS7_SP_SP_NSC_11hip_rocprim7__merge17predicate_wrapperIttNSC_7greaterItEEEEEE10hipError_tPvRmT0_T1_T2_T3_T4_T5_mmT6_P12ihipStream_tbEUlT_E_NS1_11comp_targetILNS1_3genE8ELNS1_11target_archE1030ELNS1_3gpuE2ELNS1_3repE0EEENS1_30default_config_static_selectorELNS0_4arch9wavefront6targetE0EEEvS10_.has_dyn_sized_stack, 0
	.set _ZN7rocprim17ROCPRIM_400000_NS6detail17trampoline_kernelINS0_14default_configENS1_21merge_config_selectorINS0_5tupleIJttEEENS0_10empty_typeEEEZNS1_10merge_implIS3_NS0_12zip_iteratorINS5_IJN6thrust23THRUST_200600_302600_NS6detail15normal_iteratorINSC_10device_ptrIKtEEEESI_EEEEESK_NSA_INS5_IJNSE_INSF_ItEEEESM_EEEEEPS7_SP_SP_NSC_11hip_rocprim7__merge17predicate_wrapperIttNSC_7greaterItEEEEEE10hipError_tPvRmT0_T1_T2_T3_T4_T5_mmT6_P12ihipStream_tbEUlT_E_NS1_11comp_targetILNS1_3genE8ELNS1_11target_archE1030ELNS1_3gpuE2ELNS1_3repE0EEENS1_30default_config_static_selectorELNS0_4arch9wavefront6targetE0EEEvS10_.has_recursion, 0
	.set _ZN7rocprim17ROCPRIM_400000_NS6detail17trampoline_kernelINS0_14default_configENS1_21merge_config_selectorINS0_5tupleIJttEEENS0_10empty_typeEEEZNS1_10merge_implIS3_NS0_12zip_iteratorINS5_IJN6thrust23THRUST_200600_302600_NS6detail15normal_iteratorINSC_10device_ptrIKtEEEESI_EEEEESK_NSA_INS5_IJNSE_INSF_ItEEEESM_EEEEEPS7_SP_SP_NSC_11hip_rocprim7__merge17predicate_wrapperIttNSC_7greaterItEEEEEE10hipError_tPvRmT0_T1_T2_T3_T4_T5_mmT6_P12ihipStream_tbEUlT_E_NS1_11comp_targetILNS1_3genE8ELNS1_11target_archE1030ELNS1_3gpuE2ELNS1_3repE0EEENS1_30default_config_static_selectorELNS0_4arch9wavefront6targetE0EEEvS10_.has_indirect_call, 0
	.section	.AMDGPU.csdata,"",@progbits
; Kernel info:
; codeLenInByte = 516
; TotalNumSgprs: 18
; NumVgprs: 13
; ScratchSize: 0
; MemoryBound: 0
; FloatMode: 240
; IeeeMode: 1
; LDSByteSize: 0 bytes/workgroup (compile time only)
; SGPRBlocks: 0
; VGPRBlocks: 1
; NumSGPRsForWavesPerEU: 18
; NumVGPRsForWavesPerEU: 13
; Occupancy: 16
; WaveLimiterHint : 0
; COMPUTE_PGM_RSRC2:SCRATCH_EN: 0
; COMPUTE_PGM_RSRC2:USER_SGPR: 6
; COMPUTE_PGM_RSRC2:TRAP_HANDLER: 0
; COMPUTE_PGM_RSRC2:TGID_X_EN: 1
; COMPUTE_PGM_RSRC2:TGID_Y_EN: 0
; COMPUTE_PGM_RSRC2:TGID_Z_EN: 0
; COMPUTE_PGM_RSRC2:TIDIG_COMP_CNT: 0
	.section	.text._ZN7rocprim17ROCPRIM_400000_NS6detail17trampoline_kernelINS0_14default_configENS1_21merge_config_selectorINS0_5tupleIJttEEENS0_10empty_typeEEEZNS1_10merge_implIS3_NS0_12zip_iteratorINS5_IJN6thrust23THRUST_200600_302600_NS6detail15normal_iteratorINSC_10device_ptrIKtEEEESI_EEEEESK_NSA_INS5_IJNSE_INSF_ItEEEESM_EEEEEPS7_SP_SP_NSC_11hip_rocprim7__merge17predicate_wrapperIttNSC_7greaterItEEEEEE10hipError_tPvRmT0_T1_T2_T3_T4_T5_mmT6_P12ihipStream_tbEUlT_E0_NS1_11comp_targetILNS1_3genE0ELNS1_11target_archE4294967295ELNS1_3gpuE0ELNS1_3repE0EEENS1_30default_config_static_selectorELNS0_4arch9wavefront6targetE0EEEvS10_,"axG",@progbits,_ZN7rocprim17ROCPRIM_400000_NS6detail17trampoline_kernelINS0_14default_configENS1_21merge_config_selectorINS0_5tupleIJttEEENS0_10empty_typeEEEZNS1_10merge_implIS3_NS0_12zip_iteratorINS5_IJN6thrust23THRUST_200600_302600_NS6detail15normal_iteratorINSC_10device_ptrIKtEEEESI_EEEEESK_NSA_INS5_IJNSE_INSF_ItEEEESM_EEEEEPS7_SP_SP_NSC_11hip_rocprim7__merge17predicate_wrapperIttNSC_7greaterItEEEEEE10hipError_tPvRmT0_T1_T2_T3_T4_T5_mmT6_P12ihipStream_tbEUlT_E0_NS1_11comp_targetILNS1_3genE0ELNS1_11target_archE4294967295ELNS1_3gpuE0ELNS1_3repE0EEENS1_30default_config_static_selectorELNS0_4arch9wavefront6targetE0EEEvS10_,comdat
	.protected	_ZN7rocprim17ROCPRIM_400000_NS6detail17trampoline_kernelINS0_14default_configENS1_21merge_config_selectorINS0_5tupleIJttEEENS0_10empty_typeEEEZNS1_10merge_implIS3_NS0_12zip_iteratorINS5_IJN6thrust23THRUST_200600_302600_NS6detail15normal_iteratorINSC_10device_ptrIKtEEEESI_EEEEESK_NSA_INS5_IJNSE_INSF_ItEEEESM_EEEEEPS7_SP_SP_NSC_11hip_rocprim7__merge17predicate_wrapperIttNSC_7greaterItEEEEEE10hipError_tPvRmT0_T1_T2_T3_T4_T5_mmT6_P12ihipStream_tbEUlT_E0_NS1_11comp_targetILNS1_3genE0ELNS1_11target_archE4294967295ELNS1_3gpuE0ELNS1_3repE0EEENS1_30default_config_static_selectorELNS0_4arch9wavefront6targetE0EEEvS10_ ; -- Begin function _ZN7rocprim17ROCPRIM_400000_NS6detail17trampoline_kernelINS0_14default_configENS1_21merge_config_selectorINS0_5tupleIJttEEENS0_10empty_typeEEEZNS1_10merge_implIS3_NS0_12zip_iteratorINS5_IJN6thrust23THRUST_200600_302600_NS6detail15normal_iteratorINSC_10device_ptrIKtEEEESI_EEEEESK_NSA_INS5_IJNSE_INSF_ItEEEESM_EEEEEPS7_SP_SP_NSC_11hip_rocprim7__merge17predicate_wrapperIttNSC_7greaterItEEEEEE10hipError_tPvRmT0_T1_T2_T3_T4_T5_mmT6_P12ihipStream_tbEUlT_E0_NS1_11comp_targetILNS1_3genE0ELNS1_11target_archE4294967295ELNS1_3gpuE0ELNS1_3repE0EEENS1_30default_config_static_selectorELNS0_4arch9wavefront6targetE0EEEvS10_
	.globl	_ZN7rocprim17ROCPRIM_400000_NS6detail17trampoline_kernelINS0_14default_configENS1_21merge_config_selectorINS0_5tupleIJttEEENS0_10empty_typeEEEZNS1_10merge_implIS3_NS0_12zip_iteratorINS5_IJN6thrust23THRUST_200600_302600_NS6detail15normal_iteratorINSC_10device_ptrIKtEEEESI_EEEEESK_NSA_INS5_IJNSE_INSF_ItEEEESM_EEEEEPS7_SP_SP_NSC_11hip_rocprim7__merge17predicate_wrapperIttNSC_7greaterItEEEEEE10hipError_tPvRmT0_T1_T2_T3_T4_T5_mmT6_P12ihipStream_tbEUlT_E0_NS1_11comp_targetILNS1_3genE0ELNS1_11target_archE4294967295ELNS1_3gpuE0ELNS1_3repE0EEENS1_30default_config_static_selectorELNS0_4arch9wavefront6targetE0EEEvS10_
	.p2align	8
	.type	_ZN7rocprim17ROCPRIM_400000_NS6detail17trampoline_kernelINS0_14default_configENS1_21merge_config_selectorINS0_5tupleIJttEEENS0_10empty_typeEEEZNS1_10merge_implIS3_NS0_12zip_iteratorINS5_IJN6thrust23THRUST_200600_302600_NS6detail15normal_iteratorINSC_10device_ptrIKtEEEESI_EEEEESK_NSA_INS5_IJNSE_INSF_ItEEEESM_EEEEEPS7_SP_SP_NSC_11hip_rocprim7__merge17predicate_wrapperIttNSC_7greaterItEEEEEE10hipError_tPvRmT0_T1_T2_T3_T4_T5_mmT6_P12ihipStream_tbEUlT_E0_NS1_11comp_targetILNS1_3genE0ELNS1_11target_archE4294967295ELNS1_3gpuE0ELNS1_3repE0EEENS1_30default_config_static_selectorELNS0_4arch9wavefront6targetE0EEEvS10_,@function
_ZN7rocprim17ROCPRIM_400000_NS6detail17trampoline_kernelINS0_14default_configENS1_21merge_config_selectorINS0_5tupleIJttEEENS0_10empty_typeEEEZNS1_10merge_implIS3_NS0_12zip_iteratorINS5_IJN6thrust23THRUST_200600_302600_NS6detail15normal_iteratorINSC_10device_ptrIKtEEEESI_EEEEESK_NSA_INS5_IJNSE_INSF_ItEEEESM_EEEEEPS7_SP_SP_NSC_11hip_rocprim7__merge17predicate_wrapperIttNSC_7greaterItEEEEEE10hipError_tPvRmT0_T1_T2_T3_T4_T5_mmT6_P12ihipStream_tbEUlT_E0_NS1_11comp_targetILNS1_3genE0ELNS1_11target_archE4294967295ELNS1_3gpuE0ELNS1_3repE0EEENS1_30default_config_static_selectorELNS0_4arch9wavefront6targetE0EEEvS10_: ; @_ZN7rocprim17ROCPRIM_400000_NS6detail17trampoline_kernelINS0_14default_configENS1_21merge_config_selectorINS0_5tupleIJttEEENS0_10empty_typeEEEZNS1_10merge_implIS3_NS0_12zip_iteratorINS5_IJN6thrust23THRUST_200600_302600_NS6detail15normal_iteratorINSC_10device_ptrIKtEEEESI_EEEEESK_NSA_INS5_IJNSE_INSF_ItEEEESM_EEEEEPS7_SP_SP_NSC_11hip_rocprim7__merge17predicate_wrapperIttNSC_7greaterItEEEEEE10hipError_tPvRmT0_T1_T2_T3_T4_T5_mmT6_P12ihipStream_tbEUlT_E0_NS1_11comp_targetILNS1_3genE0ELNS1_11target_archE4294967295ELNS1_3gpuE0ELNS1_3repE0EEENS1_30default_config_static_selectorELNS0_4arch9wavefront6targetE0EEEvS10_
; %bb.0:
	.section	.rodata,"a",@progbits
	.p2align	6, 0x0
	.amdhsa_kernel _ZN7rocprim17ROCPRIM_400000_NS6detail17trampoline_kernelINS0_14default_configENS1_21merge_config_selectorINS0_5tupleIJttEEENS0_10empty_typeEEEZNS1_10merge_implIS3_NS0_12zip_iteratorINS5_IJN6thrust23THRUST_200600_302600_NS6detail15normal_iteratorINSC_10device_ptrIKtEEEESI_EEEEESK_NSA_INS5_IJNSE_INSF_ItEEEESM_EEEEEPS7_SP_SP_NSC_11hip_rocprim7__merge17predicate_wrapperIttNSC_7greaterItEEEEEE10hipError_tPvRmT0_T1_T2_T3_T4_T5_mmT6_P12ihipStream_tbEUlT_E0_NS1_11comp_targetILNS1_3genE0ELNS1_11target_archE4294967295ELNS1_3gpuE0ELNS1_3repE0EEENS1_30default_config_static_selectorELNS0_4arch9wavefront6targetE0EEEvS10_
		.amdhsa_group_segment_fixed_size 0
		.amdhsa_private_segment_fixed_size 0
		.amdhsa_kernarg_size 112
		.amdhsa_user_sgpr_count 6
		.amdhsa_user_sgpr_private_segment_buffer 1
		.amdhsa_user_sgpr_dispatch_ptr 0
		.amdhsa_user_sgpr_queue_ptr 0
		.amdhsa_user_sgpr_kernarg_segment_ptr 1
		.amdhsa_user_sgpr_dispatch_id 0
		.amdhsa_user_sgpr_flat_scratch_init 0
		.amdhsa_user_sgpr_private_segment_size 0
		.amdhsa_wavefront_size32 1
		.amdhsa_uses_dynamic_stack 0
		.amdhsa_system_sgpr_private_segment_wavefront_offset 0
		.amdhsa_system_sgpr_workgroup_id_x 1
		.amdhsa_system_sgpr_workgroup_id_y 0
		.amdhsa_system_sgpr_workgroup_id_z 0
		.amdhsa_system_sgpr_workgroup_info 0
		.amdhsa_system_vgpr_workitem_id 0
		.amdhsa_next_free_vgpr 1
		.amdhsa_next_free_sgpr 1
		.amdhsa_reserve_vcc 0
		.amdhsa_reserve_flat_scratch 0
		.amdhsa_float_round_mode_32 0
		.amdhsa_float_round_mode_16_64 0
		.amdhsa_float_denorm_mode_32 3
		.amdhsa_float_denorm_mode_16_64 3
		.amdhsa_dx10_clamp 1
		.amdhsa_ieee_mode 1
		.amdhsa_fp16_overflow 0
		.amdhsa_workgroup_processor_mode 1
		.amdhsa_memory_ordered 1
		.amdhsa_forward_progress 1
		.amdhsa_shared_vgpr_count 0
		.amdhsa_exception_fp_ieee_invalid_op 0
		.amdhsa_exception_fp_denorm_src 0
		.amdhsa_exception_fp_ieee_div_zero 0
		.amdhsa_exception_fp_ieee_overflow 0
		.amdhsa_exception_fp_ieee_underflow 0
		.amdhsa_exception_fp_ieee_inexact 0
		.amdhsa_exception_int_div_zero 0
	.end_amdhsa_kernel
	.section	.text._ZN7rocprim17ROCPRIM_400000_NS6detail17trampoline_kernelINS0_14default_configENS1_21merge_config_selectorINS0_5tupleIJttEEENS0_10empty_typeEEEZNS1_10merge_implIS3_NS0_12zip_iteratorINS5_IJN6thrust23THRUST_200600_302600_NS6detail15normal_iteratorINSC_10device_ptrIKtEEEESI_EEEEESK_NSA_INS5_IJNSE_INSF_ItEEEESM_EEEEEPS7_SP_SP_NSC_11hip_rocprim7__merge17predicate_wrapperIttNSC_7greaterItEEEEEE10hipError_tPvRmT0_T1_T2_T3_T4_T5_mmT6_P12ihipStream_tbEUlT_E0_NS1_11comp_targetILNS1_3genE0ELNS1_11target_archE4294967295ELNS1_3gpuE0ELNS1_3repE0EEENS1_30default_config_static_selectorELNS0_4arch9wavefront6targetE0EEEvS10_,"axG",@progbits,_ZN7rocprim17ROCPRIM_400000_NS6detail17trampoline_kernelINS0_14default_configENS1_21merge_config_selectorINS0_5tupleIJttEEENS0_10empty_typeEEEZNS1_10merge_implIS3_NS0_12zip_iteratorINS5_IJN6thrust23THRUST_200600_302600_NS6detail15normal_iteratorINSC_10device_ptrIKtEEEESI_EEEEESK_NSA_INS5_IJNSE_INSF_ItEEEESM_EEEEEPS7_SP_SP_NSC_11hip_rocprim7__merge17predicate_wrapperIttNSC_7greaterItEEEEEE10hipError_tPvRmT0_T1_T2_T3_T4_T5_mmT6_P12ihipStream_tbEUlT_E0_NS1_11comp_targetILNS1_3genE0ELNS1_11target_archE4294967295ELNS1_3gpuE0ELNS1_3repE0EEENS1_30default_config_static_selectorELNS0_4arch9wavefront6targetE0EEEvS10_,comdat
.Lfunc_end398:
	.size	_ZN7rocprim17ROCPRIM_400000_NS6detail17trampoline_kernelINS0_14default_configENS1_21merge_config_selectorINS0_5tupleIJttEEENS0_10empty_typeEEEZNS1_10merge_implIS3_NS0_12zip_iteratorINS5_IJN6thrust23THRUST_200600_302600_NS6detail15normal_iteratorINSC_10device_ptrIKtEEEESI_EEEEESK_NSA_INS5_IJNSE_INSF_ItEEEESM_EEEEEPS7_SP_SP_NSC_11hip_rocprim7__merge17predicate_wrapperIttNSC_7greaterItEEEEEE10hipError_tPvRmT0_T1_T2_T3_T4_T5_mmT6_P12ihipStream_tbEUlT_E0_NS1_11comp_targetILNS1_3genE0ELNS1_11target_archE4294967295ELNS1_3gpuE0ELNS1_3repE0EEENS1_30default_config_static_selectorELNS0_4arch9wavefront6targetE0EEEvS10_, .Lfunc_end398-_ZN7rocprim17ROCPRIM_400000_NS6detail17trampoline_kernelINS0_14default_configENS1_21merge_config_selectorINS0_5tupleIJttEEENS0_10empty_typeEEEZNS1_10merge_implIS3_NS0_12zip_iteratorINS5_IJN6thrust23THRUST_200600_302600_NS6detail15normal_iteratorINSC_10device_ptrIKtEEEESI_EEEEESK_NSA_INS5_IJNSE_INSF_ItEEEESM_EEEEEPS7_SP_SP_NSC_11hip_rocprim7__merge17predicate_wrapperIttNSC_7greaterItEEEEEE10hipError_tPvRmT0_T1_T2_T3_T4_T5_mmT6_P12ihipStream_tbEUlT_E0_NS1_11comp_targetILNS1_3genE0ELNS1_11target_archE4294967295ELNS1_3gpuE0ELNS1_3repE0EEENS1_30default_config_static_selectorELNS0_4arch9wavefront6targetE0EEEvS10_
                                        ; -- End function
	.set _ZN7rocprim17ROCPRIM_400000_NS6detail17trampoline_kernelINS0_14default_configENS1_21merge_config_selectorINS0_5tupleIJttEEENS0_10empty_typeEEEZNS1_10merge_implIS3_NS0_12zip_iteratorINS5_IJN6thrust23THRUST_200600_302600_NS6detail15normal_iteratorINSC_10device_ptrIKtEEEESI_EEEEESK_NSA_INS5_IJNSE_INSF_ItEEEESM_EEEEEPS7_SP_SP_NSC_11hip_rocprim7__merge17predicate_wrapperIttNSC_7greaterItEEEEEE10hipError_tPvRmT0_T1_T2_T3_T4_T5_mmT6_P12ihipStream_tbEUlT_E0_NS1_11comp_targetILNS1_3genE0ELNS1_11target_archE4294967295ELNS1_3gpuE0ELNS1_3repE0EEENS1_30default_config_static_selectorELNS0_4arch9wavefront6targetE0EEEvS10_.num_vgpr, 0
	.set _ZN7rocprim17ROCPRIM_400000_NS6detail17trampoline_kernelINS0_14default_configENS1_21merge_config_selectorINS0_5tupleIJttEEENS0_10empty_typeEEEZNS1_10merge_implIS3_NS0_12zip_iteratorINS5_IJN6thrust23THRUST_200600_302600_NS6detail15normal_iteratorINSC_10device_ptrIKtEEEESI_EEEEESK_NSA_INS5_IJNSE_INSF_ItEEEESM_EEEEEPS7_SP_SP_NSC_11hip_rocprim7__merge17predicate_wrapperIttNSC_7greaterItEEEEEE10hipError_tPvRmT0_T1_T2_T3_T4_T5_mmT6_P12ihipStream_tbEUlT_E0_NS1_11comp_targetILNS1_3genE0ELNS1_11target_archE4294967295ELNS1_3gpuE0ELNS1_3repE0EEENS1_30default_config_static_selectorELNS0_4arch9wavefront6targetE0EEEvS10_.num_agpr, 0
	.set _ZN7rocprim17ROCPRIM_400000_NS6detail17trampoline_kernelINS0_14default_configENS1_21merge_config_selectorINS0_5tupleIJttEEENS0_10empty_typeEEEZNS1_10merge_implIS3_NS0_12zip_iteratorINS5_IJN6thrust23THRUST_200600_302600_NS6detail15normal_iteratorINSC_10device_ptrIKtEEEESI_EEEEESK_NSA_INS5_IJNSE_INSF_ItEEEESM_EEEEEPS7_SP_SP_NSC_11hip_rocprim7__merge17predicate_wrapperIttNSC_7greaterItEEEEEE10hipError_tPvRmT0_T1_T2_T3_T4_T5_mmT6_P12ihipStream_tbEUlT_E0_NS1_11comp_targetILNS1_3genE0ELNS1_11target_archE4294967295ELNS1_3gpuE0ELNS1_3repE0EEENS1_30default_config_static_selectorELNS0_4arch9wavefront6targetE0EEEvS10_.numbered_sgpr, 0
	.set _ZN7rocprim17ROCPRIM_400000_NS6detail17trampoline_kernelINS0_14default_configENS1_21merge_config_selectorINS0_5tupleIJttEEENS0_10empty_typeEEEZNS1_10merge_implIS3_NS0_12zip_iteratorINS5_IJN6thrust23THRUST_200600_302600_NS6detail15normal_iteratorINSC_10device_ptrIKtEEEESI_EEEEESK_NSA_INS5_IJNSE_INSF_ItEEEESM_EEEEEPS7_SP_SP_NSC_11hip_rocprim7__merge17predicate_wrapperIttNSC_7greaterItEEEEEE10hipError_tPvRmT0_T1_T2_T3_T4_T5_mmT6_P12ihipStream_tbEUlT_E0_NS1_11comp_targetILNS1_3genE0ELNS1_11target_archE4294967295ELNS1_3gpuE0ELNS1_3repE0EEENS1_30default_config_static_selectorELNS0_4arch9wavefront6targetE0EEEvS10_.num_named_barrier, 0
	.set _ZN7rocprim17ROCPRIM_400000_NS6detail17trampoline_kernelINS0_14default_configENS1_21merge_config_selectorINS0_5tupleIJttEEENS0_10empty_typeEEEZNS1_10merge_implIS3_NS0_12zip_iteratorINS5_IJN6thrust23THRUST_200600_302600_NS6detail15normal_iteratorINSC_10device_ptrIKtEEEESI_EEEEESK_NSA_INS5_IJNSE_INSF_ItEEEESM_EEEEEPS7_SP_SP_NSC_11hip_rocprim7__merge17predicate_wrapperIttNSC_7greaterItEEEEEE10hipError_tPvRmT0_T1_T2_T3_T4_T5_mmT6_P12ihipStream_tbEUlT_E0_NS1_11comp_targetILNS1_3genE0ELNS1_11target_archE4294967295ELNS1_3gpuE0ELNS1_3repE0EEENS1_30default_config_static_selectorELNS0_4arch9wavefront6targetE0EEEvS10_.private_seg_size, 0
	.set _ZN7rocprim17ROCPRIM_400000_NS6detail17trampoline_kernelINS0_14default_configENS1_21merge_config_selectorINS0_5tupleIJttEEENS0_10empty_typeEEEZNS1_10merge_implIS3_NS0_12zip_iteratorINS5_IJN6thrust23THRUST_200600_302600_NS6detail15normal_iteratorINSC_10device_ptrIKtEEEESI_EEEEESK_NSA_INS5_IJNSE_INSF_ItEEEESM_EEEEEPS7_SP_SP_NSC_11hip_rocprim7__merge17predicate_wrapperIttNSC_7greaterItEEEEEE10hipError_tPvRmT0_T1_T2_T3_T4_T5_mmT6_P12ihipStream_tbEUlT_E0_NS1_11comp_targetILNS1_3genE0ELNS1_11target_archE4294967295ELNS1_3gpuE0ELNS1_3repE0EEENS1_30default_config_static_selectorELNS0_4arch9wavefront6targetE0EEEvS10_.uses_vcc, 0
	.set _ZN7rocprim17ROCPRIM_400000_NS6detail17trampoline_kernelINS0_14default_configENS1_21merge_config_selectorINS0_5tupleIJttEEENS0_10empty_typeEEEZNS1_10merge_implIS3_NS0_12zip_iteratorINS5_IJN6thrust23THRUST_200600_302600_NS6detail15normal_iteratorINSC_10device_ptrIKtEEEESI_EEEEESK_NSA_INS5_IJNSE_INSF_ItEEEESM_EEEEEPS7_SP_SP_NSC_11hip_rocprim7__merge17predicate_wrapperIttNSC_7greaterItEEEEEE10hipError_tPvRmT0_T1_T2_T3_T4_T5_mmT6_P12ihipStream_tbEUlT_E0_NS1_11comp_targetILNS1_3genE0ELNS1_11target_archE4294967295ELNS1_3gpuE0ELNS1_3repE0EEENS1_30default_config_static_selectorELNS0_4arch9wavefront6targetE0EEEvS10_.uses_flat_scratch, 0
	.set _ZN7rocprim17ROCPRIM_400000_NS6detail17trampoline_kernelINS0_14default_configENS1_21merge_config_selectorINS0_5tupleIJttEEENS0_10empty_typeEEEZNS1_10merge_implIS3_NS0_12zip_iteratorINS5_IJN6thrust23THRUST_200600_302600_NS6detail15normal_iteratorINSC_10device_ptrIKtEEEESI_EEEEESK_NSA_INS5_IJNSE_INSF_ItEEEESM_EEEEEPS7_SP_SP_NSC_11hip_rocprim7__merge17predicate_wrapperIttNSC_7greaterItEEEEEE10hipError_tPvRmT0_T1_T2_T3_T4_T5_mmT6_P12ihipStream_tbEUlT_E0_NS1_11comp_targetILNS1_3genE0ELNS1_11target_archE4294967295ELNS1_3gpuE0ELNS1_3repE0EEENS1_30default_config_static_selectorELNS0_4arch9wavefront6targetE0EEEvS10_.has_dyn_sized_stack, 0
	.set _ZN7rocprim17ROCPRIM_400000_NS6detail17trampoline_kernelINS0_14default_configENS1_21merge_config_selectorINS0_5tupleIJttEEENS0_10empty_typeEEEZNS1_10merge_implIS3_NS0_12zip_iteratorINS5_IJN6thrust23THRUST_200600_302600_NS6detail15normal_iteratorINSC_10device_ptrIKtEEEESI_EEEEESK_NSA_INS5_IJNSE_INSF_ItEEEESM_EEEEEPS7_SP_SP_NSC_11hip_rocprim7__merge17predicate_wrapperIttNSC_7greaterItEEEEEE10hipError_tPvRmT0_T1_T2_T3_T4_T5_mmT6_P12ihipStream_tbEUlT_E0_NS1_11comp_targetILNS1_3genE0ELNS1_11target_archE4294967295ELNS1_3gpuE0ELNS1_3repE0EEENS1_30default_config_static_selectorELNS0_4arch9wavefront6targetE0EEEvS10_.has_recursion, 0
	.set _ZN7rocprim17ROCPRIM_400000_NS6detail17trampoline_kernelINS0_14default_configENS1_21merge_config_selectorINS0_5tupleIJttEEENS0_10empty_typeEEEZNS1_10merge_implIS3_NS0_12zip_iteratorINS5_IJN6thrust23THRUST_200600_302600_NS6detail15normal_iteratorINSC_10device_ptrIKtEEEESI_EEEEESK_NSA_INS5_IJNSE_INSF_ItEEEESM_EEEEEPS7_SP_SP_NSC_11hip_rocprim7__merge17predicate_wrapperIttNSC_7greaterItEEEEEE10hipError_tPvRmT0_T1_T2_T3_T4_T5_mmT6_P12ihipStream_tbEUlT_E0_NS1_11comp_targetILNS1_3genE0ELNS1_11target_archE4294967295ELNS1_3gpuE0ELNS1_3repE0EEENS1_30default_config_static_selectorELNS0_4arch9wavefront6targetE0EEEvS10_.has_indirect_call, 0
	.section	.AMDGPU.csdata,"",@progbits
; Kernel info:
; codeLenInByte = 0
; TotalNumSgprs: 0
; NumVgprs: 0
; ScratchSize: 0
; MemoryBound: 0
; FloatMode: 240
; IeeeMode: 1
; LDSByteSize: 0 bytes/workgroup (compile time only)
; SGPRBlocks: 0
; VGPRBlocks: 0
; NumSGPRsForWavesPerEU: 1
; NumVGPRsForWavesPerEU: 1
; Occupancy: 16
; WaveLimiterHint : 0
; COMPUTE_PGM_RSRC2:SCRATCH_EN: 0
; COMPUTE_PGM_RSRC2:USER_SGPR: 6
; COMPUTE_PGM_RSRC2:TRAP_HANDLER: 0
; COMPUTE_PGM_RSRC2:TGID_X_EN: 1
; COMPUTE_PGM_RSRC2:TGID_Y_EN: 0
; COMPUTE_PGM_RSRC2:TGID_Z_EN: 0
; COMPUTE_PGM_RSRC2:TIDIG_COMP_CNT: 0
	.section	.text._ZN7rocprim17ROCPRIM_400000_NS6detail17trampoline_kernelINS0_14default_configENS1_21merge_config_selectorINS0_5tupleIJttEEENS0_10empty_typeEEEZNS1_10merge_implIS3_NS0_12zip_iteratorINS5_IJN6thrust23THRUST_200600_302600_NS6detail15normal_iteratorINSC_10device_ptrIKtEEEESI_EEEEESK_NSA_INS5_IJNSE_INSF_ItEEEESM_EEEEEPS7_SP_SP_NSC_11hip_rocprim7__merge17predicate_wrapperIttNSC_7greaterItEEEEEE10hipError_tPvRmT0_T1_T2_T3_T4_T5_mmT6_P12ihipStream_tbEUlT_E0_NS1_11comp_targetILNS1_3genE5ELNS1_11target_archE942ELNS1_3gpuE9ELNS1_3repE0EEENS1_30default_config_static_selectorELNS0_4arch9wavefront6targetE0EEEvS10_,"axG",@progbits,_ZN7rocprim17ROCPRIM_400000_NS6detail17trampoline_kernelINS0_14default_configENS1_21merge_config_selectorINS0_5tupleIJttEEENS0_10empty_typeEEEZNS1_10merge_implIS3_NS0_12zip_iteratorINS5_IJN6thrust23THRUST_200600_302600_NS6detail15normal_iteratorINSC_10device_ptrIKtEEEESI_EEEEESK_NSA_INS5_IJNSE_INSF_ItEEEESM_EEEEEPS7_SP_SP_NSC_11hip_rocprim7__merge17predicate_wrapperIttNSC_7greaterItEEEEEE10hipError_tPvRmT0_T1_T2_T3_T4_T5_mmT6_P12ihipStream_tbEUlT_E0_NS1_11comp_targetILNS1_3genE5ELNS1_11target_archE942ELNS1_3gpuE9ELNS1_3repE0EEENS1_30default_config_static_selectorELNS0_4arch9wavefront6targetE0EEEvS10_,comdat
	.protected	_ZN7rocprim17ROCPRIM_400000_NS6detail17trampoline_kernelINS0_14default_configENS1_21merge_config_selectorINS0_5tupleIJttEEENS0_10empty_typeEEEZNS1_10merge_implIS3_NS0_12zip_iteratorINS5_IJN6thrust23THRUST_200600_302600_NS6detail15normal_iteratorINSC_10device_ptrIKtEEEESI_EEEEESK_NSA_INS5_IJNSE_INSF_ItEEEESM_EEEEEPS7_SP_SP_NSC_11hip_rocprim7__merge17predicate_wrapperIttNSC_7greaterItEEEEEE10hipError_tPvRmT0_T1_T2_T3_T4_T5_mmT6_P12ihipStream_tbEUlT_E0_NS1_11comp_targetILNS1_3genE5ELNS1_11target_archE942ELNS1_3gpuE9ELNS1_3repE0EEENS1_30default_config_static_selectorELNS0_4arch9wavefront6targetE0EEEvS10_ ; -- Begin function _ZN7rocprim17ROCPRIM_400000_NS6detail17trampoline_kernelINS0_14default_configENS1_21merge_config_selectorINS0_5tupleIJttEEENS0_10empty_typeEEEZNS1_10merge_implIS3_NS0_12zip_iteratorINS5_IJN6thrust23THRUST_200600_302600_NS6detail15normal_iteratorINSC_10device_ptrIKtEEEESI_EEEEESK_NSA_INS5_IJNSE_INSF_ItEEEESM_EEEEEPS7_SP_SP_NSC_11hip_rocprim7__merge17predicate_wrapperIttNSC_7greaterItEEEEEE10hipError_tPvRmT0_T1_T2_T3_T4_T5_mmT6_P12ihipStream_tbEUlT_E0_NS1_11comp_targetILNS1_3genE5ELNS1_11target_archE942ELNS1_3gpuE9ELNS1_3repE0EEENS1_30default_config_static_selectorELNS0_4arch9wavefront6targetE0EEEvS10_
	.globl	_ZN7rocprim17ROCPRIM_400000_NS6detail17trampoline_kernelINS0_14default_configENS1_21merge_config_selectorINS0_5tupleIJttEEENS0_10empty_typeEEEZNS1_10merge_implIS3_NS0_12zip_iteratorINS5_IJN6thrust23THRUST_200600_302600_NS6detail15normal_iteratorINSC_10device_ptrIKtEEEESI_EEEEESK_NSA_INS5_IJNSE_INSF_ItEEEESM_EEEEEPS7_SP_SP_NSC_11hip_rocprim7__merge17predicate_wrapperIttNSC_7greaterItEEEEEE10hipError_tPvRmT0_T1_T2_T3_T4_T5_mmT6_P12ihipStream_tbEUlT_E0_NS1_11comp_targetILNS1_3genE5ELNS1_11target_archE942ELNS1_3gpuE9ELNS1_3repE0EEENS1_30default_config_static_selectorELNS0_4arch9wavefront6targetE0EEEvS10_
	.p2align	8
	.type	_ZN7rocprim17ROCPRIM_400000_NS6detail17trampoline_kernelINS0_14default_configENS1_21merge_config_selectorINS0_5tupleIJttEEENS0_10empty_typeEEEZNS1_10merge_implIS3_NS0_12zip_iteratorINS5_IJN6thrust23THRUST_200600_302600_NS6detail15normal_iteratorINSC_10device_ptrIKtEEEESI_EEEEESK_NSA_INS5_IJNSE_INSF_ItEEEESM_EEEEEPS7_SP_SP_NSC_11hip_rocprim7__merge17predicate_wrapperIttNSC_7greaterItEEEEEE10hipError_tPvRmT0_T1_T2_T3_T4_T5_mmT6_P12ihipStream_tbEUlT_E0_NS1_11comp_targetILNS1_3genE5ELNS1_11target_archE942ELNS1_3gpuE9ELNS1_3repE0EEENS1_30default_config_static_selectorELNS0_4arch9wavefront6targetE0EEEvS10_,@function
_ZN7rocprim17ROCPRIM_400000_NS6detail17trampoline_kernelINS0_14default_configENS1_21merge_config_selectorINS0_5tupleIJttEEENS0_10empty_typeEEEZNS1_10merge_implIS3_NS0_12zip_iteratorINS5_IJN6thrust23THRUST_200600_302600_NS6detail15normal_iteratorINSC_10device_ptrIKtEEEESI_EEEEESK_NSA_INS5_IJNSE_INSF_ItEEEESM_EEEEEPS7_SP_SP_NSC_11hip_rocprim7__merge17predicate_wrapperIttNSC_7greaterItEEEEEE10hipError_tPvRmT0_T1_T2_T3_T4_T5_mmT6_P12ihipStream_tbEUlT_E0_NS1_11comp_targetILNS1_3genE5ELNS1_11target_archE942ELNS1_3gpuE9ELNS1_3repE0EEENS1_30default_config_static_selectorELNS0_4arch9wavefront6targetE0EEEvS10_: ; @_ZN7rocprim17ROCPRIM_400000_NS6detail17trampoline_kernelINS0_14default_configENS1_21merge_config_selectorINS0_5tupleIJttEEENS0_10empty_typeEEEZNS1_10merge_implIS3_NS0_12zip_iteratorINS5_IJN6thrust23THRUST_200600_302600_NS6detail15normal_iteratorINSC_10device_ptrIKtEEEESI_EEEEESK_NSA_INS5_IJNSE_INSF_ItEEEESM_EEEEEPS7_SP_SP_NSC_11hip_rocprim7__merge17predicate_wrapperIttNSC_7greaterItEEEEEE10hipError_tPvRmT0_T1_T2_T3_T4_T5_mmT6_P12ihipStream_tbEUlT_E0_NS1_11comp_targetILNS1_3genE5ELNS1_11target_archE942ELNS1_3gpuE9ELNS1_3repE0EEENS1_30default_config_static_selectorELNS0_4arch9wavefront6targetE0EEEvS10_
; %bb.0:
	.section	.rodata,"a",@progbits
	.p2align	6, 0x0
	.amdhsa_kernel _ZN7rocprim17ROCPRIM_400000_NS6detail17trampoline_kernelINS0_14default_configENS1_21merge_config_selectorINS0_5tupleIJttEEENS0_10empty_typeEEEZNS1_10merge_implIS3_NS0_12zip_iteratorINS5_IJN6thrust23THRUST_200600_302600_NS6detail15normal_iteratorINSC_10device_ptrIKtEEEESI_EEEEESK_NSA_INS5_IJNSE_INSF_ItEEEESM_EEEEEPS7_SP_SP_NSC_11hip_rocprim7__merge17predicate_wrapperIttNSC_7greaterItEEEEEE10hipError_tPvRmT0_T1_T2_T3_T4_T5_mmT6_P12ihipStream_tbEUlT_E0_NS1_11comp_targetILNS1_3genE5ELNS1_11target_archE942ELNS1_3gpuE9ELNS1_3repE0EEENS1_30default_config_static_selectorELNS0_4arch9wavefront6targetE0EEEvS10_
		.amdhsa_group_segment_fixed_size 0
		.amdhsa_private_segment_fixed_size 0
		.amdhsa_kernarg_size 112
		.amdhsa_user_sgpr_count 6
		.amdhsa_user_sgpr_private_segment_buffer 1
		.amdhsa_user_sgpr_dispatch_ptr 0
		.amdhsa_user_sgpr_queue_ptr 0
		.amdhsa_user_sgpr_kernarg_segment_ptr 1
		.amdhsa_user_sgpr_dispatch_id 0
		.amdhsa_user_sgpr_flat_scratch_init 0
		.amdhsa_user_sgpr_private_segment_size 0
		.amdhsa_wavefront_size32 1
		.amdhsa_uses_dynamic_stack 0
		.amdhsa_system_sgpr_private_segment_wavefront_offset 0
		.amdhsa_system_sgpr_workgroup_id_x 1
		.amdhsa_system_sgpr_workgroup_id_y 0
		.amdhsa_system_sgpr_workgroup_id_z 0
		.amdhsa_system_sgpr_workgroup_info 0
		.amdhsa_system_vgpr_workitem_id 0
		.amdhsa_next_free_vgpr 1
		.amdhsa_next_free_sgpr 1
		.amdhsa_reserve_vcc 0
		.amdhsa_reserve_flat_scratch 0
		.amdhsa_float_round_mode_32 0
		.amdhsa_float_round_mode_16_64 0
		.amdhsa_float_denorm_mode_32 3
		.amdhsa_float_denorm_mode_16_64 3
		.amdhsa_dx10_clamp 1
		.amdhsa_ieee_mode 1
		.amdhsa_fp16_overflow 0
		.amdhsa_workgroup_processor_mode 1
		.amdhsa_memory_ordered 1
		.amdhsa_forward_progress 1
		.amdhsa_shared_vgpr_count 0
		.amdhsa_exception_fp_ieee_invalid_op 0
		.amdhsa_exception_fp_denorm_src 0
		.amdhsa_exception_fp_ieee_div_zero 0
		.amdhsa_exception_fp_ieee_overflow 0
		.amdhsa_exception_fp_ieee_underflow 0
		.amdhsa_exception_fp_ieee_inexact 0
		.amdhsa_exception_int_div_zero 0
	.end_amdhsa_kernel
	.section	.text._ZN7rocprim17ROCPRIM_400000_NS6detail17trampoline_kernelINS0_14default_configENS1_21merge_config_selectorINS0_5tupleIJttEEENS0_10empty_typeEEEZNS1_10merge_implIS3_NS0_12zip_iteratorINS5_IJN6thrust23THRUST_200600_302600_NS6detail15normal_iteratorINSC_10device_ptrIKtEEEESI_EEEEESK_NSA_INS5_IJNSE_INSF_ItEEEESM_EEEEEPS7_SP_SP_NSC_11hip_rocprim7__merge17predicate_wrapperIttNSC_7greaterItEEEEEE10hipError_tPvRmT0_T1_T2_T3_T4_T5_mmT6_P12ihipStream_tbEUlT_E0_NS1_11comp_targetILNS1_3genE5ELNS1_11target_archE942ELNS1_3gpuE9ELNS1_3repE0EEENS1_30default_config_static_selectorELNS0_4arch9wavefront6targetE0EEEvS10_,"axG",@progbits,_ZN7rocprim17ROCPRIM_400000_NS6detail17trampoline_kernelINS0_14default_configENS1_21merge_config_selectorINS0_5tupleIJttEEENS0_10empty_typeEEEZNS1_10merge_implIS3_NS0_12zip_iteratorINS5_IJN6thrust23THRUST_200600_302600_NS6detail15normal_iteratorINSC_10device_ptrIKtEEEESI_EEEEESK_NSA_INS5_IJNSE_INSF_ItEEEESM_EEEEEPS7_SP_SP_NSC_11hip_rocprim7__merge17predicate_wrapperIttNSC_7greaterItEEEEEE10hipError_tPvRmT0_T1_T2_T3_T4_T5_mmT6_P12ihipStream_tbEUlT_E0_NS1_11comp_targetILNS1_3genE5ELNS1_11target_archE942ELNS1_3gpuE9ELNS1_3repE0EEENS1_30default_config_static_selectorELNS0_4arch9wavefront6targetE0EEEvS10_,comdat
.Lfunc_end399:
	.size	_ZN7rocprim17ROCPRIM_400000_NS6detail17trampoline_kernelINS0_14default_configENS1_21merge_config_selectorINS0_5tupleIJttEEENS0_10empty_typeEEEZNS1_10merge_implIS3_NS0_12zip_iteratorINS5_IJN6thrust23THRUST_200600_302600_NS6detail15normal_iteratorINSC_10device_ptrIKtEEEESI_EEEEESK_NSA_INS5_IJNSE_INSF_ItEEEESM_EEEEEPS7_SP_SP_NSC_11hip_rocprim7__merge17predicate_wrapperIttNSC_7greaterItEEEEEE10hipError_tPvRmT0_T1_T2_T3_T4_T5_mmT6_P12ihipStream_tbEUlT_E0_NS1_11comp_targetILNS1_3genE5ELNS1_11target_archE942ELNS1_3gpuE9ELNS1_3repE0EEENS1_30default_config_static_selectorELNS0_4arch9wavefront6targetE0EEEvS10_, .Lfunc_end399-_ZN7rocprim17ROCPRIM_400000_NS6detail17trampoline_kernelINS0_14default_configENS1_21merge_config_selectorINS0_5tupleIJttEEENS0_10empty_typeEEEZNS1_10merge_implIS3_NS0_12zip_iteratorINS5_IJN6thrust23THRUST_200600_302600_NS6detail15normal_iteratorINSC_10device_ptrIKtEEEESI_EEEEESK_NSA_INS5_IJNSE_INSF_ItEEEESM_EEEEEPS7_SP_SP_NSC_11hip_rocprim7__merge17predicate_wrapperIttNSC_7greaterItEEEEEE10hipError_tPvRmT0_T1_T2_T3_T4_T5_mmT6_P12ihipStream_tbEUlT_E0_NS1_11comp_targetILNS1_3genE5ELNS1_11target_archE942ELNS1_3gpuE9ELNS1_3repE0EEENS1_30default_config_static_selectorELNS0_4arch9wavefront6targetE0EEEvS10_
                                        ; -- End function
	.set _ZN7rocprim17ROCPRIM_400000_NS6detail17trampoline_kernelINS0_14default_configENS1_21merge_config_selectorINS0_5tupleIJttEEENS0_10empty_typeEEEZNS1_10merge_implIS3_NS0_12zip_iteratorINS5_IJN6thrust23THRUST_200600_302600_NS6detail15normal_iteratorINSC_10device_ptrIKtEEEESI_EEEEESK_NSA_INS5_IJNSE_INSF_ItEEEESM_EEEEEPS7_SP_SP_NSC_11hip_rocprim7__merge17predicate_wrapperIttNSC_7greaterItEEEEEE10hipError_tPvRmT0_T1_T2_T3_T4_T5_mmT6_P12ihipStream_tbEUlT_E0_NS1_11comp_targetILNS1_3genE5ELNS1_11target_archE942ELNS1_3gpuE9ELNS1_3repE0EEENS1_30default_config_static_selectorELNS0_4arch9wavefront6targetE0EEEvS10_.num_vgpr, 0
	.set _ZN7rocprim17ROCPRIM_400000_NS6detail17trampoline_kernelINS0_14default_configENS1_21merge_config_selectorINS0_5tupleIJttEEENS0_10empty_typeEEEZNS1_10merge_implIS3_NS0_12zip_iteratorINS5_IJN6thrust23THRUST_200600_302600_NS6detail15normal_iteratorINSC_10device_ptrIKtEEEESI_EEEEESK_NSA_INS5_IJNSE_INSF_ItEEEESM_EEEEEPS7_SP_SP_NSC_11hip_rocprim7__merge17predicate_wrapperIttNSC_7greaterItEEEEEE10hipError_tPvRmT0_T1_T2_T3_T4_T5_mmT6_P12ihipStream_tbEUlT_E0_NS1_11comp_targetILNS1_3genE5ELNS1_11target_archE942ELNS1_3gpuE9ELNS1_3repE0EEENS1_30default_config_static_selectorELNS0_4arch9wavefront6targetE0EEEvS10_.num_agpr, 0
	.set _ZN7rocprim17ROCPRIM_400000_NS6detail17trampoline_kernelINS0_14default_configENS1_21merge_config_selectorINS0_5tupleIJttEEENS0_10empty_typeEEEZNS1_10merge_implIS3_NS0_12zip_iteratorINS5_IJN6thrust23THRUST_200600_302600_NS6detail15normal_iteratorINSC_10device_ptrIKtEEEESI_EEEEESK_NSA_INS5_IJNSE_INSF_ItEEEESM_EEEEEPS7_SP_SP_NSC_11hip_rocprim7__merge17predicate_wrapperIttNSC_7greaterItEEEEEE10hipError_tPvRmT0_T1_T2_T3_T4_T5_mmT6_P12ihipStream_tbEUlT_E0_NS1_11comp_targetILNS1_3genE5ELNS1_11target_archE942ELNS1_3gpuE9ELNS1_3repE0EEENS1_30default_config_static_selectorELNS0_4arch9wavefront6targetE0EEEvS10_.numbered_sgpr, 0
	.set _ZN7rocprim17ROCPRIM_400000_NS6detail17trampoline_kernelINS0_14default_configENS1_21merge_config_selectorINS0_5tupleIJttEEENS0_10empty_typeEEEZNS1_10merge_implIS3_NS0_12zip_iteratorINS5_IJN6thrust23THRUST_200600_302600_NS6detail15normal_iteratorINSC_10device_ptrIKtEEEESI_EEEEESK_NSA_INS5_IJNSE_INSF_ItEEEESM_EEEEEPS7_SP_SP_NSC_11hip_rocprim7__merge17predicate_wrapperIttNSC_7greaterItEEEEEE10hipError_tPvRmT0_T1_T2_T3_T4_T5_mmT6_P12ihipStream_tbEUlT_E0_NS1_11comp_targetILNS1_3genE5ELNS1_11target_archE942ELNS1_3gpuE9ELNS1_3repE0EEENS1_30default_config_static_selectorELNS0_4arch9wavefront6targetE0EEEvS10_.num_named_barrier, 0
	.set _ZN7rocprim17ROCPRIM_400000_NS6detail17trampoline_kernelINS0_14default_configENS1_21merge_config_selectorINS0_5tupleIJttEEENS0_10empty_typeEEEZNS1_10merge_implIS3_NS0_12zip_iteratorINS5_IJN6thrust23THRUST_200600_302600_NS6detail15normal_iteratorINSC_10device_ptrIKtEEEESI_EEEEESK_NSA_INS5_IJNSE_INSF_ItEEEESM_EEEEEPS7_SP_SP_NSC_11hip_rocprim7__merge17predicate_wrapperIttNSC_7greaterItEEEEEE10hipError_tPvRmT0_T1_T2_T3_T4_T5_mmT6_P12ihipStream_tbEUlT_E0_NS1_11comp_targetILNS1_3genE5ELNS1_11target_archE942ELNS1_3gpuE9ELNS1_3repE0EEENS1_30default_config_static_selectorELNS0_4arch9wavefront6targetE0EEEvS10_.private_seg_size, 0
	.set _ZN7rocprim17ROCPRIM_400000_NS6detail17trampoline_kernelINS0_14default_configENS1_21merge_config_selectorINS0_5tupleIJttEEENS0_10empty_typeEEEZNS1_10merge_implIS3_NS0_12zip_iteratorINS5_IJN6thrust23THRUST_200600_302600_NS6detail15normal_iteratorINSC_10device_ptrIKtEEEESI_EEEEESK_NSA_INS5_IJNSE_INSF_ItEEEESM_EEEEEPS7_SP_SP_NSC_11hip_rocprim7__merge17predicate_wrapperIttNSC_7greaterItEEEEEE10hipError_tPvRmT0_T1_T2_T3_T4_T5_mmT6_P12ihipStream_tbEUlT_E0_NS1_11comp_targetILNS1_3genE5ELNS1_11target_archE942ELNS1_3gpuE9ELNS1_3repE0EEENS1_30default_config_static_selectorELNS0_4arch9wavefront6targetE0EEEvS10_.uses_vcc, 0
	.set _ZN7rocprim17ROCPRIM_400000_NS6detail17trampoline_kernelINS0_14default_configENS1_21merge_config_selectorINS0_5tupleIJttEEENS0_10empty_typeEEEZNS1_10merge_implIS3_NS0_12zip_iteratorINS5_IJN6thrust23THRUST_200600_302600_NS6detail15normal_iteratorINSC_10device_ptrIKtEEEESI_EEEEESK_NSA_INS5_IJNSE_INSF_ItEEEESM_EEEEEPS7_SP_SP_NSC_11hip_rocprim7__merge17predicate_wrapperIttNSC_7greaterItEEEEEE10hipError_tPvRmT0_T1_T2_T3_T4_T5_mmT6_P12ihipStream_tbEUlT_E0_NS1_11comp_targetILNS1_3genE5ELNS1_11target_archE942ELNS1_3gpuE9ELNS1_3repE0EEENS1_30default_config_static_selectorELNS0_4arch9wavefront6targetE0EEEvS10_.uses_flat_scratch, 0
	.set _ZN7rocprim17ROCPRIM_400000_NS6detail17trampoline_kernelINS0_14default_configENS1_21merge_config_selectorINS0_5tupleIJttEEENS0_10empty_typeEEEZNS1_10merge_implIS3_NS0_12zip_iteratorINS5_IJN6thrust23THRUST_200600_302600_NS6detail15normal_iteratorINSC_10device_ptrIKtEEEESI_EEEEESK_NSA_INS5_IJNSE_INSF_ItEEEESM_EEEEEPS7_SP_SP_NSC_11hip_rocprim7__merge17predicate_wrapperIttNSC_7greaterItEEEEEE10hipError_tPvRmT0_T1_T2_T3_T4_T5_mmT6_P12ihipStream_tbEUlT_E0_NS1_11comp_targetILNS1_3genE5ELNS1_11target_archE942ELNS1_3gpuE9ELNS1_3repE0EEENS1_30default_config_static_selectorELNS0_4arch9wavefront6targetE0EEEvS10_.has_dyn_sized_stack, 0
	.set _ZN7rocprim17ROCPRIM_400000_NS6detail17trampoline_kernelINS0_14default_configENS1_21merge_config_selectorINS0_5tupleIJttEEENS0_10empty_typeEEEZNS1_10merge_implIS3_NS0_12zip_iteratorINS5_IJN6thrust23THRUST_200600_302600_NS6detail15normal_iteratorINSC_10device_ptrIKtEEEESI_EEEEESK_NSA_INS5_IJNSE_INSF_ItEEEESM_EEEEEPS7_SP_SP_NSC_11hip_rocprim7__merge17predicate_wrapperIttNSC_7greaterItEEEEEE10hipError_tPvRmT0_T1_T2_T3_T4_T5_mmT6_P12ihipStream_tbEUlT_E0_NS1_11comp_targetILNS1_3genE5ELNS1_11target_archE942ELNS1_3gpuE9ELNS1_3repE0EEENS1_30default_config_static_selectorELNS0_4arch9wavefront6targetE0EEEvS10_.has_recursion, 0
	.set _ZN7rocprim17ROCPRIM_400000_NS6detail17trampoline_kernelINS0_14default_configENS1_21merge_config_selectorINS0_5tupleIJttEEENS0_10empty_typeEEEZNS1_10merge_implIS3_NS0_12zip_iteratorINS5_IJN6thrust23THRUST_200600_302600_NS6detail15normal_iteratorINSC_10device_ptrIKtEEEESI_EEEEESK_NSA_INS5_IJNSE_INSF_ItEEEESM_EEEEEPS7_SP_SP_NSC_11hip_rocprim7__merge17predicate_wrapperIttNSC_7greaterItEEEEEE10hipError_tPvRmT0_T1_T2_T3_T4_T5_mmT6_P12ihipStream_tbEUlT_E0_NS1_11comp_targetILNS1_3genE5ELNS1_11target_archE942ELNS1_3gpuE9ELNS1_3repE0EEENS1_30default_config_static_selectorELNS0_4arch9wavefront6targetE0EEEvS10_.has_indirect_call, 0
	.section	.AMDGPU.csdata,"",@progbits
; Kernel info:
; codeLenInByte = 0
; TotalNumSgprs: 0
; NumVgprs: 0
; ScratchSize: 0
; MemoryBound: 0
; FloatMode: 240
; IeeeMode: 1
; LDSByteSize: 0 bytes/workgroup (compile time only)
; SGPRBlocks: 0
; VGPRBlocks: 0
; NumSGPRsForWavesPerEU: 1
; NumVGPRsForWavesPerEU: 1
; Occupancy: 16
; WaveLimiterHint : 0
; COMPUTE_PGM_RSRC2:SCRATCH_EN: 0
; COMPUTE_PGM_RSRC2:USER_SGPR: 6
; COMPUTE_PGM_RSRC2:TRAP_HANDLER: 0
; COMPUTE_PGM_RSRC2:TGID_X_EN: 1
; COMPUTE_PGM_RSRC2:TGID_Y_EN: 0
; COMPUTE_PGM_RSRC2:TGID_Z_EN: 0
; COMPUTE_PGM_RSRC2:TIDIG_COMP_CNT: 0
	.section	.text._ZN7rocprim17ROCPRIM_400000_NS6detail17trampoline_kernelINS0_14default_configENS1_21merge_config_selectorINS0_5tupleIJttEEENS0_10empty_typeEEEZNS1_10merge_implIS3_NS0_12zip_iteratorINS5_IJN6thrust23THRUST_200600_302600_NS6detail15normal_iteratorINSC_10device_ptrIKtEEEESI_EEEEESK_NSA_INS5_IJNSE_INSF_ItEEEESM_EEEEEPS7_SP_SP_NSC_11hip_rocprim7__merge17predicate_wrapperIttNSC_7greaterItEEEEEE10hipError_tPvRmT0_T1_T2_T3_T4_T5_mmT6_P12ihipStream_tbEUlT_E0_NS1_11comp_targetILNS1_3genE4ELNS1_11target_archE910ELNS1_3gpuE8ELNS1_3repE0EEENS1_30default_config_static_selectorELNS0_4arch9wavefront6targetE0EEEvS10_,"axG",@progbits,_ZN7rocprim17ROCPRIM_400000_NS6detail17trampoline_kernelINS0_14default_configENS1_21merge_config_selectorINS0_5tupleIJttEEENS0_10empty_typeEEEZNS1_10merge_implIS3_NS0_12zip_iteratorINS5_IJN6thrust23THRUST_200600_302600_NS6detail15normal_iteratorINSC_10device_ptrIKtEEEESI_EEEEESK_NSA_INS5_IJNSE_INSF_ItEEEESM_EEEEEPS7_SP_SP_NSC_11hip_rocprim7__merge17predicate_wrapperIttNSC_7greaterItEEEEEE10hipError_tPvRmT0_T1_T2_T3_T4_T5_mmT6_P12ihipStream_tbEUlT_E0_NS1_11comp_targetILNS1_3genE4ELNS1_11target_archE910ELNS1_3gpuE8ELNS1_3repE0EEENS1_30default_config_static_selectorELNS0_4arch9wavefront6targetE0EEEvS10_,comdat
	.protected	_ZN7rocprim17ROCPRIM_400000_NS6detail17trampoline_kernelINS0_14default_configENS1_21merge_config_selectorINS0_5tupleIJttEEENS0_10empty_typeEEEZNS1_10merge_implIS3_NS0_12zip_iteratorINS5_IJN6thrust23THRUST_200600_302600_NS6detail15normal_iteratorINSC_10device_ptrIKtEEEESI_EEEEESK_NSA_INS5_IJNSE_INSF_ItEEEESM_EEEEEPS7_SP_SP_NSC_11hip_rocprim7__merge17predicate_wrapperIttNSC_7greaterItEEEEEE10hipError_tPvRmT0_T1_T2_T3_T4_T5_mmT6_P12ihipStream_tbEUlT_E0_NS1_11comp_targetILNS1_3genE4ELNS1_11target_archE910ELNS1_3gpuE8ELNS1_3repE0EEENS1_30default_config_static_selectorELNS0_4arch9wavefront6targetE0EEEvS10_ ; -- Begin function _ZN7rocprim17ROCPRIM_400000_NS6detail17trampoline_kernelINS0_14default_configENS1_21merge_config_selectorINS0_5tupleIJttEEENS0_10empty_typeEEEZNS1_10merge_implIS3_NS0_12zip_iteratorINS5_IJN6thrust23THRUST_200600_302600_NS6detail15normal_iteratorINSC_10device_ptrIKtEEEESI_EEEEESK_NSA_INS5_IJNSE_INSF_ItEEEESM_EEEEEPS7_SP_SP_NSC_11hip_rocprim7__merge17predicate_wrapperIttNSC_7greaterItEEEEEE10hipError_tPvRmT0_T1_T2_T3_T4_T5_mmT6_P12ihipStream_tbEUlT_E0_NS1_11comp_targetILNS1_3genE4ELNS1_11target_archE910ELNS1_3gpuE8ELNS1_3repE0EEENS1_30default_config_static_selectorELNS0_4arch9wavefront6targetE0EEEvS10_
	.globl	_ZN7rocprim17ROCPRIM_400000_NS6detail17trampoline_kernelINS0_14default_configENS1_21merge_config_selectorINS0_5tupleIJttEEENS0_10empty_typeEEEZNS1_10merge_implIS3_NS0_12zip_iteratorINS5_IJN6thrust23THRUST_200600_302600_NS6detail15normal_iteratorINSC_10device_ptrIKtEEEESI_EEEEESK_NSA_INS5_IJNSE_INSF_ItEEEESM_EEEEEPS7_SP_SP_NSC_11hip_rocprim7__merge17predicate_wrapperIttNSC_7greaterItEEEEEE10hipError_tPvRmT0_T1_T2_T3_T4_T5_mmT6_P12ihipStream_tbEUlT_E0_NS1_11comp_targetILNS1_3genE4ELNS1_11target_archE910ELNS1_3gpuE8ELNS1_3repE0EEENS1_30default_config_static_selectorELNS0_4arch9wavefront6targetE0EEEvS10_
	.p2align	8
	.type	_ZN7rocprim17ROCPRIM_400000_NS6detail17trampoline_kernelINS0_14default_configENS1_21merge_config_selectorINS0_5tupleIJttEEENS0_10empty_typeEEEZNS1_10merge_implIS3_NS0_12zip_iteratorINS5_IJN6thrust23THRUST_200600_302600_NS6detail15normal_iteratorINSC_10device_ptrIKtEEEESI_EEEEESK_NSA_INS5_IJNSE_INSF_ItEEEESM_EEEEEPS7_SP_SP_NSC_11hip_rocprim7__merge17predicate_wrapperIttNSC_7greaterItEEEEEE10hipError_tPvRmT0_T1_T2_T3_T4_T5_mmT6_P12ihipStream_tbEUlT_E0_NS1_11comp_targetILNS1_3genE4ELNS1_11target_archE910ELNS1_3gpuE8ELNS1_3repE0EEENS1_30default_config_static_selectorELNS0_4arch9wavefront6targetE0EEEvS10_,@function
_ZN7rocprim17ROCPRIM_400000_NS6detail17trampoline_kernelINS0_14default_configENS1_21merge_config_selectorINS0_5tupleIJttEEENS0_10empty_typeEEEZNS1_10merge_implIS3_NS0_12zip_iteratorINS5_IJN6thrust23THRUST_200600_302600_NS6detail15normal_iteratorINSC_10device_ptrIKtEEEESI_EEEEESK_NSA_INS5_IJNSE_INSF_ItEEEESM_EEEEEPS7_SP_SP_NSC_11hip_rocprim7__merge17predicate_wrapperIttNSC_7greaterItEEEEEE10hipError_tPvRmT0_T1_T2_T3_T4_T5_mmT6_P12ihipStream_tbEUlT_E0_NS1_11comp_targetILNS1_3genE4ELNS1_11target_archE910ELNS1_3gpuE8ELNS1_3repE0EEENS1_30default_config_static_selectorELNS0_4arch9wavefront6targetE0EEEvS10_: ; @_ZN7rocprim17ROCPRIM_400000_NS6detail17trampoline_kernelINS0_14default_configENS1_21merge_config_selectorINS0_5tupleIJttEEENS0_10empty_typeEEEZNS1_10merge_implIS3_NS0_12zip_iteratorINS5_IJN6thrust23THRUST_200600_302600_NS6detail15normal_iteratorINSC_10device_ptrIKtEEEESI_EEEEESK_NSA_INS5_IJNSE_INSF_ItEEEESM_EEEEEPS7_SP_SP_NSC_11hip_rocprim7__merge17predicate_wrapperIttNSC_7greaterItEEEEEE10hipError_tPvRmT0_T1_T2_T3_T4_T5_mmT6_P12ihipStream_tbEUlT_E0_NS1_11comp_targetILNS1_3genE4ELNS1_11target_archE910ELNS1_3gpuE8ELNS1_3repE0EEENS1_30default_config_static_selectorELNS0_4arch9wavefront6targetE0EEEvS10_
; %bb.0:
	.section	.rodata,"a",@progbits
	.p2align	6, 0x0
	.amdhsa_kernel _ZN7rocprim17ROCPRIM_400000_NS6detail17trampoline_kernelINS0_14default_configENS1_21merge_config_selectorINS0_5tupleIJttEEENS0_10empty_typeEEEZNS1_10merge_implIS3_NS0_12zip_iteratorINS5_IJN6thrust23THRUST_200600_302600_NS6detail15normal_iteratorINSC_10device_ptrIKtEEEESI_EEEEESK_NSA_INS5_IJNSE_INSF_ItEEEESM_EEEEEPS7_SP_SP_NSC_11hip_rocprim7__merge17predicate_wrapperIttNSC_7greaterItEEEEEE10hipError_tPvRmT0_T1_T2_T3_T4_T5_mmT6_P12ihipStream_tbEUlT_E0_NS1_11comp_targetILNS1_3genE4ELNS1_11target_archE910ELNS1_3gpuE8ELNS1_3repE0EEENS1_30default_config_static_selectorELNS0_4arch9wavefront6targetE0EEEvS10_
		.amdhsa_group_segment_fixed_size 0
		.amdhsa_private_segment_fixed_size 0
		.amdhsa_kernarg_size 112
		.amdhsa_user_sgpr_count 6
		.amdhsa_user_sgpr_private_segment_buffer 1
		.amdhsa_user_sgpr_dispatch_ptr 0
		.amdhsa_user_sgpr_queue_ptr 0
		.amdhsa_user_sgpr_kernarg_segment_ptr 1
		.amdhsa_user_sgpr_dispatch_id 0
		.amdhsa_user_sgpr_flat_scratch_init 0
		.amdhsa_user_sgpr_private_segment_size 0
		.amdhsa_wavefront_size32 1
		.amdhsa_uses_dynamic_stack 0
		.amdhsa_system_sgpr_private_segment_wavefront_offset 0
		.amdhsa_system_sgpr_workgroup_id_x 1
		.amdhsa_system_sgpr_workgroup_id_y 0
		.amdhsa_system_sgpr_workgroup_id_z 0
		.amdhsa_system_sgpr_workgroup_info 0
		.amdhsa_system_vgpr_workitem_id 0
		.amdhsa_next_free_vgpr 1
		.amdhsa_next_free_sgpr 1
		.amdhsa_reserve_vcc 0
		.amdhsa_reserve_flat_scratch 0
		.amdhsa_float_round_mode_32 0
		.amdhsa_float_round_mode_16_64 0
		.amdhsa_float_denorm_mode_32 3
		.amdhsa_float_denorm_mode_16_64 3
		.amdhsa_dx10_clamp 1
		.amdhsa_ieee_mode 1
		.amdhsa_fp16_overflow 0
		.amdhsa_workgroup_processor_mode 1
		.amdhsa_memory_ordered 1
		.amdhsa_forward_progress 1
		.amdhsa_shared_vgpr_count 0
		.amdhsa_exception_fp_ieee_invalid_op 0
		.amdhsa_exception_fp_denorm_src 0
		.amdhsa_exception_fp_ieee_div_zero 0
		.amdhsa_exception_fp_ieee_overflow 0
		.amdhsa_exception_fp_ieee_underflow 0
		.amdhsa_exception_fp_ieee_inexact 0
		.amdhsa_exception_int_div_zero 0
	.end_amdhsa_kernel
	.section	.text._ZN7rocprim17ROCPRIM_400000_NS6detail17trampoline_kernelINS0_14default_configENS1_21merge_config_selectorINS0_5tupleIJttEEENS0_10empty_typeEEEZNS1_10merge_implIS3_NS0_12zip_iteratorINS5_IJN6thrust23THRUST_200600_302600_NS6detail15normal_iteratorINSC_10device_ptrIKtEEEESI_EEEEESK_NSA_INS5_IJNSE_INSF_ItEEEESM_EEEEEPS7_SP_SP_NSC_11hip_rocprim7__merge17predicate_wrapperIttNSC_7greaterItEEEEEE10hipError_tPvRmT0_T1_T2_T3_T4_T5_mmT6_P12ihipStream_tbEUlT_E0_NS1_11comp_targetILNS1_3genE4ELNS1_11target_archE910ELNS1_3gpuE8ELNS1_3repE0EEENS1_30default_config_static_selectorELNS0_4arch9wavefront6targetE0EEEvS10_,"axG",@progbits,_ZN7rocprim17ROCPRIM_400000_NS6detail17trampoline_kernelINS0_14default_configENS1_21merge_config_selectorINS0_5tupleIJttEEENS0_10empty_typeEEEZNS1_10merge_implIS3_NS0_12zip_iteratorINS5_IJN6thrust23THRUST_200600_302600_NS6detail15normal_iteratorINSC_10device_ptrIKtEEEESI_EEEEESK_NSA_INS5_IJNSE_INSF_ItEEEESM_EEEEEPS7_SP_SP_NSC_11hip_rocprim7__merge17predicate_wrapperIttNSC_7greaterItEEEEEE10hipError_tPvRmT0_T1_T2_T3_T4_T5_mmT6_P12ihipStream_tbEUlT_E0_NS1_11comp_targetILNS1_3genE4ELNS1_11target_archE910ELNS1_3gpuE8ELNS1_3repE0EEENS1_30default_config_static_selectorELNS0_4arch9wavefront6targetE0EEEvS10_,comdat
.Lfunc_end400:
	.size	_ZN7rocprim17ROCPRIM_400000_NS6detail17trampoline_kernelINS0_14default_configENS1_21merge_config_selectorINS0_5tupleIJttEEENS0_10empty_typeEEEZNS1_10merge_implIS3_NS0_12zip_iteratorINS5_IJN6thrust23THRUST_200600_302600_NS6detail15normal_iteratorINSC_10device_ptrIKtEEEESI_EEEEESK_NSA_INS5_IJNSE_INSF_ItEEEESM_EEEEEPS7_SP_SP_NSC_11hip_rocprim7__merge17predicate_wrapperIttNSC_7greaterItEEEEEE10hipError_tPvRmT0_T1_T2_T3_T4_T5_mmT6_P12ihipStream_tbEUlT_E0_NS1_11comp_targetILNS1_3genE4ELNS1_11target_archE910ELNS1_3gpuE8ELNS1_3repE0EEENS1_30default_config_static_selectorELNS0_4arch9wavefront6targetE0EEEvS10_, .Lfunc_end400-_ZN7rocprim17ROCPRIM_400000_NS6detail17trampoline_kernelINS0_14default_configENS1_21merge_config_selectorINS0_5tupleIJttEEENS0_10empty_typeEEEZNS1_10merge_implIS3_NS0_12zip_iteratorINS5_IJN6thrust23THRUST_200600_302600_NS6detail15normal_iteratorINSC_10device_ptrIKtEEEESI_EEEEESK_NSA_INS5_IJNSE_INSF_ItEEEESM_EEEEEPS7_SP_SP_NSC_11hip_rocprim7__merge17predicate_wrapperIttNSC_7greaterItEEEEEE10hipError_tPvRmT0_T1_T2_T3_T4_T5_mmT6_P12ihipStream_tbEUlT_E0_NS1_11comp_targetILNS1_3genE4ELNS1_11target_archE910ELNS1_3gpuE8ELNS1_3repE0EEENS1_30default_config_static_selectorELNS0_4arch9wavefront6targetE0EEEvS10_
                                        ; -- End function
	.set _ZN7rocprim17ROCPRIM_400000_NS6detail17trampoline_kernelINS0_14default_configENS1_21merge_config_selectorINS0_5tupleIJttEEENS0_10empty_typeEEEZNS1_10merge_implIS3_NS0_12zip_iteratorINS5_IJN6thrust23THRUST_200600_302600_NS6detail15normal_iteratorINSC_10device_ptrIKtEEEESI_EEEEESK_NSA_INS5_IJNSE_INSF_ItEEEESM_EEEEEPS7_SP_SP_NSC_11hip_rocprim7__merge17predicate_wrapperIttNSC_7greaterItEEEEEE10hipError_tPvRmT0_T1_T2_T3_T4_T5_mmT6_P12ihipStream_tbEUlT_E0_NS1_11comp_targetILNS1_3genE4ELNS1_11target_archE910ELNS1_3gpuE8ELNS1_3repE0EEENS1_30default_config_static_selectorELNS0_4arch9wavefront6targetE0EEEvS10_.num_vgpr, 0
	.set _ZN7rocprim17ROCPRIM_400000_NS6detail17trampoline_kernelINS0_14default_configENS1_21merge_config_selectorINS0_5tupleIJttEEENS0_10empty_typeEEEZNS1_10merge_implIS3_NS0_12zip_iteratorINS5_IJN6thrust23THRUST_200600_302600_NS6detail15normal_iteratorINSC_10device_ptrIKtEEEESI_EEEEESK_NSA_INS5_IJNSE_INSF_ItEEEESM_EEEEEPS7_SP_SP_NSC_11hip_rocprim7__merge17predicate_wrapperIttNSC_7greaterItEEEEEE10hipError_tPvRmT0_T1_T2_T3_T4_T5_mmT6_P12ihipStream_tbEUlT_E0_NS1_11comp_targetILNS1_3genE4ELNS1_11target_archE910ELNS1_3gpuE8ELNS1_3repE0EEENS1_30default_config_static_selectorELNS0_4arch9wavefront6targetE0EEEvS10_.num_agpr, 0
	.set _ZN7rocprim17ROCPRIM_400000_NS6detail17trampoline_kernelINS0_14default_configENS1_21merge_config_selectorINS0_5tupleIJttEEENS0_10empty_typeEEEZNS1_10merge_implIS3_NS0_12zip_iteratorINS5_IJN6thrust23THRUST_200600_302600_NS6detail15normal_iteratorINSC_10device_ptrIKtEEEESI_EEEEESK_NSA_INS5_IJNSE_INSF_ItEEEESM_EEEEEPS7_SP_SP_NSC_11hip_rocprim7__merge17predicate_wrapperIttNSC_7greaterItEEEEEE10hipError_tPvRmT0_T1_T2_T3_T4_T5_mmT6_P12ihipStream_tbEUlT_E0_NS1_11comp_targetILNS1_3genE4ELNS1_11target_archE910ELNS1_3gpuE8ELNS1_3repE0EEENS1_30default_config_static_selectorELNS0_4arch9wavefront6targetE0EEEvS10_.numbered_sgpr, 0
	.set _ZN7rocprim17ROCPRIM_400000_NS6detail17trampoline_kernelINS0_14default_configENS1_21merge_config_selectorINS0_5tupleIJttEEENS0_10empty_typeEEEZNS1_10merge_implIS3_NS0_12zip_iteratorINS5_IJN6thrust23THRUST_200600_302600_NS6detail15normal_iteratorINSC_10device_ptrIKtEEEESI_EEEEESK_NSA_INS5_IJNSE_INSF_ItEEEESM_EEEEEPS7_SP_SP_NSC_11hip_rocprim7__merge17predicate_wrapperIttNSC_7greaterItEEEEEE10hipError_tPvRmT0_T1_T2_T3_T4_T5_mmT6_P12ihipStream_tbEUlT_E0_NS1_11comp_targetILNS1_3genE4ELNS1_11target_archE910ELNS1_3gpuE8ELNS1_3repE0EEENS1_30default_config_static_selectorELNS0_4arch9wavefront6targetE0EEEvS10_.num_named_barrier, 0
	.set _ZN7rocprim17ROCPRIM_400000_NS6detail17trampoline_kernelINS0_14default_configENS1_21merge_config_selectorINS0_5tupleIJttEEENS0_10empty_typeEEEZNS1_10merge_implIS3_NS0_12zip_iteratorINS5_IJN6thrust23THRUST_200600_302600_NS6detail15normal_iteratorINSC_10device_ptrIKtEEEESI_EEEEESK_NSA_INS5_IJNSE_INSF_ItEEEESM_EEEEEPS7_SP_SP_NSC_11hip_rocprim7__merge17predicate_wrapperIttNSC_7greaterItEEEEEE10hipError_tPvRmT0_T1_T2_T3_T4_T5_mmT6_P12ihipStream_tbEUlT_E0_NS1_11comp_targetILNS1_3genE4ELNS1_11target_archE910ELNS1_3gpuE8ELNS1_3repE0EEENS1_30default_config_static_selectorELNS0_4arch9wavefront6targetE0EEEvS10_.private_seg_size, 0
	.set _ZN7rocprim17ROCPRIM_400000_NS6detail17trampoline_kernelINS0_14default_configENS1_21merge_config_selectorINS0_5tupleIJttEEENS0_10empty_typeEEEZNS1_10merge_implIS3_NS0_12zip_iteratorINS5_IJN6thrust23THRUST_200600_302600_NS6detail15normal_iteratorINSC_10device_ptrIKtEEEESI_EEEEESK_NSA_INS5_IJNSE_INSF_ItEEEESM_EEEEEPS7_SP_SP_NSC_11hip_rocprim7__merge17predicate_wrapperIttNSC_7greaterItEEEEEE10hipError_tPvRmT0_T1_T2_T3_T4_T5_mmT6_P12ihipStream_tbEUlT_E0_NS1_11comp_targetILNS1_3genE4ELNS1_11target_archE910ELNS1_3gpuE8ELNS1_3repE0EEENS1_30default_config_static_selectorELNS0_4arch9wavefront6targetE0EEEvS10_.uses_vcc, 0
	.set _ZN7rocprim17ROCPRIM_400000_NS6detail17trampoline_kernelINS0_14default_configENS1_21merge_config_selectorINS0_5tupleIJttEEENS0_10empty_typeEEEZNS1_10merge_implIS3_NS0_12zip_iteratorINS5_IJN6thrust23THRUST_200600_302600_NS6detail15normal_iteratorINSC_10device_ptrIKtEEEESI_EEEEESK_NSA_INS5_IJNSE_INSF_ItEEEESM_EEEEEPS7_SP_SP_NSC_11hip_rocprim7__merge17predicate_wrapperIttNSC_7greaterItEEEEEE10hipError_tPvRmT0_T1_T2_T3_T4_T5_mmT6_P12ihipStream_tbEUlT_E0_NS1_11comp_targetILNS1_3genE4ELNS1_11target_archE910ELNS1_3gpuE8ELNS1_3repE0EEENS1_30default_config_static_selectorELNS0_4arch9wavefront6targetE0EEEvS10_.uses_flat_scratch, 0
	.set _ZN7rocprim17ROCPRIM_400000_NS6detail17trampoline_kernelINS0_14default_configENS1_21merge_config_selectorINS0_5tupleIJttEEENS0_10empty_typeEEEZNS1_10merge_implIS3_NS0_12zip_iteratorINS5_IJN6thrust23THRUST_200600_302600_NS6detail15normal_iteratorINSC_10device_ptrIKtEEEESI_EEEEESK_NSA_INS5_IJNSE_INSF_ItEEEESM_EEEEEPS7_SP_SP_NSC_11hip_rocprim7__merge17predicate_wrapperIttNSC_7greaterItEEEEEE10hipError_tPvRmT0_T1_T2_T3_T4_T5_mmT6_P12ihipStream_tbEUlT_E0_NS1_11comp_targetILNS1_3genE4ELNS1_11target_archE910ELNS1_3gpuE8ELNS1_3repE0EEENS1_30default_config_static_selectorELNS0_4arch9wavefront6targetE0EEEvS10_.has_dyn_sized_stack, 0
	.set _ZN7rocprim17ROCPRIM_400000_NS6detail17trampoline_kernelINS0_14default_configENS1_21merge_config_selectorINS0_5tupleIJttEEENS0_10empty_typeEEEZNS1_10merge_implIS3_NS0_12zip_iteratorINS5_IJN6thrust23THRUST_200600_302600_NS6detail15normal_iteratorINSC_10device_ptrIKtEEEESI_EEEEESK_NSA_INS5_IJNSE_INSF_ItEEEESM_EEEEEPS7_SP_SP_NSC_11hip_rocprim7__merge17predicate_wrapperIttNSC_7greaterItEEEEEE10hipError_tPvRmT0_T1_T2_T3_T4_T5_mmT6_P12ihipStream_tbEUlT_E0_NS1_11comp_targetILNS1_3genE4ELNS1_11target_archE910ELNS1_3gpuE8ELNS1_3repE0EEENS1_30default_config_static_selectorELNS0_4arch9wavefront6targetE0EEEvS10_.has_recursion, 0
	.set _ZN7rocprim17ROCPRIM_400000_NS6detail17trampoline_kernelINS0_14default_configENS1_21merge_config_selectorINS0_5tupleIJttEEENS0_10empty_typeEEEZNS1_10merge_implIS3_NS0_12zip_iteratorINS5_IJN6thrust23THRUST_200600_302600_NS6detail15normal_iteratorINSC_10device_ptrIKtEEEESI_EEEEESK_NSA_INS5_IJNSE_INSF_ItEEEESM_EEEEEPS7_SP_SP_NSC_11hip_rocprim7__merge17predicate_wrapperIttNSC_7greaterItEEEEEE10hipError_tPvRmT0_T1_T2_T3_T4_T5_mmT6_P12ihipStream_tbEUlT_E0_NS1_11comp_targetILNS1_3genE4ELNS1_11target_archE910ELNS1_3gpuE8ELNS1_3repE0EEENS1_30default_config_static_selectorELNS0_4arch9wavefront6targetE0EEEvS10_.has_indirect_call, 0
	.section	.AMDGPU.csdata,"",@progbits
; Kernel info:
; codeLenInByte = 0
; TotalNumSgprs: 0
; NumVgprs: 0
; ScratchSize: 0
; MemoryBound: 0
; FloatMode: 240
; IeeeMode: 1
; LDSByteSize: 0 bytes/workgroup (compile time only)
; SGPRBlocks: 0
; VGPRBlocks: 0
; NumSGPRsForWavesPerEU: 1
; NumVGPRsForWavesPerEU: 1
; Occupancy: 16
; WaveLimiterHint : 0
; COMPUTE_PGM_RSRC2:SCRATCH_EN: 0
; COMPUTE_PGM_RSRC2:USER_SGPR: 6
; COMPUTE_PGM_RSRC2:TRAP_HANDLER: 0
; COMPUTE_PGM_RSRC2:TGID_X_EN: 1
; COMPUTE_PGM_RSRC2:TGID_Y_EN: 0
; COMPUTE_PGM_RSRC2:TGID_Z_EN: 0
; COMPUTE_PGM_RSRC2:TIDIG_COMP_CNT: 0
	.section	.text._ZN7rocprim17ROCPRIM_400000_NS6detail17trampoline_kernelINS0_14default_configENS1_21merge_config_selectorINS0_5tupleIJttEEENS0_10empty_typeEEEZNS1_10merge_implIS3_NS0_12zip_iteratorINS5_IJN6thrust23THRUST_200600_302600_NS6detail15normal_iteratorINSC_10device_ptrIKtEEEESI_EEEEESK_NSA_INS5_IJNSE_INSF_ItEEEESM_EEEEEPS7_SP_SP_NSC_11hip_rocprim7__merge17predicate_wrapperIttNSC_7greaterItEEEEEE10hipError_tPvRmT0_T1_T2_T3_T4_T5_mmT6_P12ihipStream_tbEUlT_E0_NS1_11comp_targetILNS1_3genE3ELNS1_11target_archE908ELNS1_3gpuE7ELNS1_3repE0EEENS1_30default_config_static_selectorELNS0_4arch9wavefront6targetE0EEEvS10_,"axG",@progbits,_ZN7rocprim17ROCPRIM_400000_NS6detail17trampoline_kernelINS0_14default_configENS1_21merge_config_selectorINS0_5tupleIJttEEENS0_10empty_typeEEEZNS1_10merge_implIS3_NS0_12zip_iteratorINS5_IJN6thrust23THRUST_200600_302600_NS6detail15normal_iteratorINSC_10device_ptrIKtEEEESI_EEEEESK_NSA_INS5_IJNSE_INSF_ItEEEESM_EEEEEPS7_SP_SP_NSC_11hip_rocprim7__merge17predicate_wrapperIttNSC_7greaterItEEEEEE10hipError_tPvRmT0_T1_T2_T3_T4_T5_mmT6_P12ihipStream_tbEUlT_E0_NS1_11comp_targetILNS1_3genE3ELNS1_11target_archE908ELNS1_3gpuE7ELNS1_3repE0EEENS1_30default_config_static_selectorELNS0_4arch9wavefront6targetE0EEEvS10_,comdat
	.protected	_ZN7rocprim17ROCPRIM_400000_NS6detail17trampoline_kernelINS0_14default_configENS1_21merge_config_selectorINS0_5tupleIJttEEENS0_10empty_typeEEEZNS1_10merge_implIS3_NS0_12zip_iteratorINS5_IJN6thrust23THRUST_200600_302600_NS6detail15normal_iteratorINSC_10device_ptrIKtEEEESI_EEEEESK_NSA_INS5_IJNSE_INSF_ItEEEESM_EEEEEPS7_SP_SP_NSC_11hip_rocprim7__merge17predicate_wrapperIttNSC_7greaterItEEEEEE10hipError_tPvRmT0_T1_T2_T3_T4_T5_mmT6_P12ihipStream_tbEUlT_E0_NS1_11comp_targetILNS1_3genE3ELNS1_11target_archE908ELNS1_3gpuE7ELNS1_3repE0EEENS1_30default_config_static_selectorELNS0_4arch9wavefront6targetE0EEEvS10_ ; -- Begin function _ZN7rocprim17ROCPRIM_400000_NS6detail17trampoline_kernelINS0_14default_configENS1_21merge_config_selectorINS0_5tupleIJttEEENS0_10empty_typeEEEZNS1_10merge_implIS3_NS0_12zip_iteratorINS5_IJN6thrust23THRUST_200600_302600_NS6detail15normal_iteratorINSC_10device_ptrIKtEEEESI_EEEEESK_NSA_INS5_IJNSE_INSF_ItEEEESM_EEEEEPS7_SP_SP_NSC_11hip_rocprim7__merge17predicate_wrapperIttNSC_7greaterItEEEEEE10hipError_tPvRmT0_T1_T2_T3_T4_T5_mmT6_P12ihipStream_tbEUlT_E0_NS1_11comp_targetILNS1_3genE3ELNS1_11target_archE908ELNS1_3gpuE7ELNS1_3repE0EEENS1_30default_config_static_selectorELNS0_4arch9wavefront6targetE0EEEvS10_
	.globl	_ZN7rocprim17ROCPRIM_400000_NS6detail17trampoline_kernelINS0_14default_configENS1_21merge_config_selectorINS0_5tupleIJttEEENS0_10empty_typeEEEZNS1_10merge_implIS3_NS0_12zip_iteratorINS5_IJN6thrust23THRUST_200600_302600_NS6detail15normal_iteratorINSC_10device_ptrIKtEEEESI_EEEEESK_NSA_INS5_IJNSE_INSF_ItEEEESM_EEEEEPS7_SP_SP_NSC_11hip_rocprim7__merge17predicate_wrapperIttNSC_7greaterItEEEEEE10hipError_tPvRmT0_T1_T2_T3_T4_T5_mmT6_P12ihipStream_tbEUlT_E0_NS1_11comp_targetILNS1_3genE3ELNS1_11target_archE908ELNS1_3gpuE7ELNS1_3repE0EEENS1_30default_config_static_selectorELNS0_4arch9wavefront6targetE0EEEvS10_
	.p2align	8
	.type	_ZN7rocprim17ROCPRIM_400000_NS6detail17trampoline_kernelINS0_14default_configENS1_21merge_config_selectorINS0_5tupleIJttEEENS0_10empty_typeEEEZNS1_10merge_implIS3_NS0_12zip_iteratorINS5_IJN6thrust23THRUST_200600_302600_NS6detail15normal_iteratorINSC_10device_ptrIKtEEEESI_EEEEESK_NSA_INS5_IJNSE_INSF_ItEEEESM_EEEEEPS7_SP_SP_NSC_11hip_rocprim7__merge17predicate_wrapperIttNSC_7greaterItEEEEEE10hipError_tPvRmT0_T1_T2_T3_T4_T5_mmT6_P12ihipStream_tbEUlT_E0_NS1_11comp_targetILNS1_3genE3ELNS1_11target_archE908ELNS1_3gpuE7ELNS1_3repE0EEENS1_30default_config_static_selectorELNS0_4arch9wavefront6targetE0EEEvS10_,@function
_ZN7rocprim17ROCPRIM_400000_NS6detail17trampoline_kernelINS0_14default_configENS1_21merge_config_selectorINS0_5tupleIJttEEENS0_10empty_typeEEEZNS1_10merge_implIS3_NS0_12zip_iteratorINS5_IJN6thrust23THRUST_200600_302600_NS6detail15normal_iteratorINSC_10device_ptrIKtEEEESI_EEEEESK_NSA_INS5_IJNSE_INSF_ItEEEESM_EEEEEPS7_SP_SP_NSC_11hip_rocprim7__merge17predicate_wrapperIttNSC_7greaterItEEEEEE10hipError_tPvRmT0_T1_T2_T3_T4_T5_mmT6_P12ihipStream_tbEUlT_E0_NS1_11comp_targetILNS1_3genE3ELNS1_11target_archE908ELNS1_3gpuE7ELNS1_3repE0EEENS1_30default_config_static_selectorELNS0_4arch9wavefront6targetE0EEEvS10_: ; @_ZN7rocprim17ROCPRIM_400000_NS6detail17trampoline_kernelINS0_14default_configENS1_21merge_config_selectorINS0_5tupleIJttEEENS0_10empty_typeEEEZNS1_10merge_implIS3_NS0_12zip_iteratorINS5_IJN6thrust23THRUST_200600_302600_NS6detail15normal_iteratorINSC_10device_ptrIKtEEEESI_EEEEESK_NSA_INS5_IJNSE_INSF_ItEEEESM_EEEEEPS7_SP_SP_NSC_11hip_rocprim7__merge17predicate_wrapperIttNSC_7greaterItEEEEEE10hipError_tPvRmT0_T1_T2_T3_T4_T5_mmT6_P12ihipStream_tbEUlT_E0_NS1_11comp_targetILNS1_3genE3ELNS1_11target_archE908ELNS1_3gpuE7ELNS1_3repE0EEENS1_30default_config_static_selectorELNS0_4arch9wavefront6targetE0EEEvS10_
; %bb.0:
	.section	.rodata,"a",@progbits
	.p2align	6, 0x0
	.amdhsa_kernel _ZN7rocprim17ROCPRIM_400000_NS6detail17trampoline_kernelINS0_14default_configENS1_21merge_config_selectorINS0_5tupleIJttEEENS0_10empty_typeEEEZNS1_10merge_implIS3_NS0_12zip_iteratorINS5_IJN6thrust23THRUST_200600_302600_NS6detail15normal_iteratorINSC_10device_ptrIKtEEEESI_EEEEESK_NSA_INS5_IJNSE_INSF_ItEEEESM_EEEEEPS7_SP_SP_NSC_11hip_rocprim7__merge17predicate_wrapperIttNSC_7greaterItEEEEEE10hipError_tPvRmT0_T1_T2_T3_T4_T5_mmT6_P12ihipStream_tbEUlT_E0_NS1_11comp_targetILNS1_3genE3ELNS1_11target_archE908ELNS1_3gpuE7ELNS1_3repE0EEENS1_30default_config_static_selectorELNS0_4arch9wavefront6targetE0EEEvS10_
		.amdhsa_group_segment_fixed_size 0
		.amdhsa_private_segment_fixed_size 0
		.amdhsa_kernarg_size 112
		.amdhsa_user_sgpr_count 6
		.amdhsa_user_sgpr_private_segment_buffer 1
		.amdhsa_user_sgpr_dispatch_ptr 0
		.amdhsa_user_sgpr_queue_ptr 0
		.amdhsa_user_sgpr_kernarg_segment_ptr 1
		.amdhsa_user_sgpr_dispatch_id 0
		.amdhsa_user_sgpr_flat_scratch_init 0
		.amdhsa_user_sgpr_private_segment_size 0
		.amdhsa_wavefront_size32 1
		.amdhsa_uses_dynamic_stack 0
		.amdhsa_system_sgpr_private_segment_wavefront_offset 0
		.amdhsa_system_sgpr_workgroup_id_x 1
		.amdhsa_system_sgpr_workgroup_id_y 0
		.amdhsa_system_sgpr_workgroup_id_z 0
		.amdhsa_system_sgpr_workgroup_info 0
		.amdhsa_system_vgpr_workitem_id 0
		.amdhsa_next_free_vgpr 1
		.amdhsa_next_free_sgpr 1
		.amdhsa_reserve_vcc 0
		.amdhsa_reserve_flat_scratch 0
		.amdhsa_float_round_mode_32 0
		.amdhsa_float_round_mode_16_64 0
		.amdhsa_float_denorm_mode_32 3
		.amdhsa_float_denorm_mode_16_64 3
		.amdhsa_dx10_clamp 1
		.amdhsa_ieee_mode 1
		.amdhsa_fp16_overflow 0
		.amdhsa_workgroup_processor_mode 1
		.amdhsa_memory_ordered 1
		.amdhsa_forward_progress 1
		.amdhsa_shared_vgpr_count 0
		.amdhsa_exception_fp_ieee_invalid_op 0
		.amdhsa_exception_fp_denorm_src 0
		.amdhsa_exception_fp_ieee_div_zero 0
		.amdhsa_exception_fp_ieee_overflow 0
		.amdhsa_exception_fp_ieee_underflow 0
		.amdhsa_exception_fp_ieee_inexact 0
		.amdhsa_exception_int_div_zero 0
	.end_amdhsa_kernel
	.section	.text._ZN7rocprim17ROCPRIM_400000_NS6detail17trampoline_kernelINS0_14default_configENS1_21merge_config_selectorINS0_5tupleIJttEEENS0_10empty_typeEEEZNS1_10merge_implIS3_NS0_12zip_iteratorINS5_IJN6thrust23THRUST_200600_302600_NS6detail15normal_iteratorINSC_10device_ptrIKtEEEESI_EEEEESK_NSA_INS5_IJNSE_INSF_ItEEEESM_EEEEEPS7_SP_SP_NSC_11hip_rocprim7__merge17predicate_wrapperIttNSC_7greaterItEEEEEE10hipError_tPvRmT0_T1_T2_T3_T4_T5_mmT6_P12ihipStream_tbEUlT_E0_NS1_11comp_targetILNS1_3genE3ELNS1_11target_archE908ELNS1_3gpuE7ELNS1_3repE0EEENS1_30default_config_static_selectorELNS0_4arch9wavefront6targetE0EEEvS10_,"axG",@progbits,_ZN7rocprim17ROCPRIM_400000_NS6detail17trampoline_kernelINS0_14default_configENS1_21merge_config_selectorINS0_5tupleIJttEEENS0_10empty_typeEEEZNS1_10merge_implIS3_NS0_12zip_iteratorINS5_IJN6thrust23THRUST_200600_302600_NS6detail15normal_iteratorINSC_10device_ptrIKtEEEESI_EEEEESK_NSA_INS5_IJNSE_INSF_ItEEEESM_EEEEEPS7_SP_SP_NSC_11hip_rocprim7__merge17predicate_wrapperIttNSC_7greaterItEEEEEE10hipError_tPvRmT0_T1_T2_T3_T4_T5_mmT6_P12ihipStream_tbEUlT_E0_NS1_11comp_targetILNS1_3genE3ELNS1_11target_archE908ELNS1_3gpuE7ELNS1_3repE0EEENS1_30default_config_static_selectorELNS0_4arch9wavefront6targetE0EEEvS10_,comdat
.Lfunc_end401:
	.size	_ZN7rocprim17ROCPRIM_400000_NS6detail17trampoline_kernelINS0_14default_configENS1_21merge_config_selectorINS0_5tupleIJttEEENS0_10empty_typeEEEZNS1_10merge_implIS3_NS0_12zip_iteratorINS5_IJN6thrust23THRUST_200600_302600_NS6detail15normal_iteratorINSC_10device_ptrIKtEEEESI_EEEEESK_NSA_INS5_IJNSE_INSF_ItEEEESM_EEEEEPS7_SP_SP_NSC_11hip_rocprim7__merge17predicate_wrapperIttNSC_7greaterItEEEEEE10hipError_tPvRmT0_T1_T2_T3_T4_T5_mmT6_P12ihipStream_tbEUlT_E0_NS1_11comp_targetILNS1_3genE3ELNS1_11target_archE908ELNS1_3gpuE7ELNS1_3repE0EEENS1_30default_config_static_selectorELNS0_4arch9wavefront6targetE0EEEvS10_, .Lfunc_end401-_ZN7rocprim17ROCPRIM_400000_NS6detail17trampoline_kernelINS0_14default_configENS1_21merge_config_selectorINS0_5tupleIJttEEENS0_10empty_typeEEEZNS1_10merge_implIS3_NS0_12zip_iteratorINS5_IJN6thrust23THRUST_200600_302600_NS6detail15normal_iteratorINSC_10device_ptrIKtEEEESI_EEEEESK_NSA_INS5_IJNSE_INSF_ItEEEESM_EEEEEPS7_SP_SP_NSC_11hip_rocprim7__merge17predicate_wrapperIttNSC_7greaterItEEEEEE10hipError_tPvRmT0_T1_T2_T3_T4_T5_mmT6_P12ihipStream_tbEUlT_E0_NS1_11comp_targetILNS1_3genE3ELNS1_11target_archE908ELNS1_3gpuE7ELNS1_3repE0EEENS1_30default_config_static_selectorELNS0_4arch9wavefront6targetE0EEEvS10_
                                        ; -- End function
	.set _ZN7rocprim17ROCPRIM_400000_NS6detail17trampoline_kernelINS0_14default_configENS1_21merge_config_selectorINS0_5tupleIJttEEENS0_10empty_typeEEEZNS1_10merge_implIS3_NS0_12zip_iteratorINS5_IJN6thrust23THRUST_200600_302600_NS6detail15normal_iteratorINSC_10device_ptrIKtEEEESI_EEEEESK_NSA_INS5_IJNSE_INSF_ItEEEESM_EEEEEPS7_SP_SP_NSC_11hip_rocprim7__merge17predicate_wrapperIttNSC_7greaterItEEEEEE10hipError_tPvRmT0_T1_T2_T3_T4_T5_mmT6_P12ihipStream_tbEUlT_E0_NS1_11comp_targetILNS1_3genE3ELNS1_11target_archE908ELNS1_3gpuE7ELNS1_3repE0EEENS1_30default_config_static_selectorELNS0_4arch9wavefront6targetE0EEEvS10_.num_vgpr, 0
	.set _ZN7rocprim17ROCPRIM_400000_NS6detail17trampoline_kernelINS0_14default_configENS1_21merge_config_selectorINS0_5tupleIJttEEENS0_10empty_typeEEEZNS1_10merge_implIS3_NS0_12zip_iteratorINS5_IJN6thrust23THRUST_200600_302600_NS6detail15normal_iteratorINSC_10device_ptrIKtEEEESI_EEEEESK_NSA_INS5_IJNSE_INSF_ItEEEESM_EEEEEPS7_SP_SP_NSC_11hip_rocprim7__merge17predicate_wrapperIttNSC_7greaterItEEEEEE10hipError_tPvRmT0_T1_T2_T3_T4_T5_mmT6_P12ihipStream_tbEUlT_E0_NS1_11comp_targetILNS1_3genE3ELNS1_11target_archE908ELNS1_3gpuE7ELNS1_3repE0EEENS1_30default_config_static_selectorELNS0_4arch9wavefront6targetE0EEEvS10_.num_agpr, 0
	.set _ZN7rocprim17ROCPRIM_400000_NS6detail17trampoline_kernelINS0_14default_configENS1_21merge_config_selectorINS0_5tupleIJttEEENS0_10empty_typeEEEZNS1_10merge_implIS3_NS0_12zip_iteratorINS5_IJN6thrust23THRUST_200600_302600_NS6detail15normal_iteratorINSC_10device_ptrIKtEEEESI_EEEEESK_NSA_INS5_IJNSE_INSF_ItEEEESM_EEEEEPS7_SP_SP_NSC_11hip_rocprim7__merge17predicate_wrapperIttNSC_7greaterItEEEEEE10hipError_tPvRmT0_T1_T2_T3_T4_T5_mmT6_P12ihipStream_tbEUlT_E0_NS1_11comp_targetILNS1_3genE3ELNS1_11target_archE908ELNS1_3gpuE7ELNS1_3repE0EEENS1_30default_config_static_selectorELNS0_4arch9wavefront6targetE0EEEvS10_.numbered_sgpr, 0
	.set _ZN7rocprim17ROCPRIM_400000_NS6detail17trampoline_kernelINS0_14default_configENS1_21merge_config_selectorINS0_5tupleIJttEEENS0_10empty_typeEEEZNS1_10merge_implIS3_NS0_12zip_iteratorINS5_IJN6thrust23THRUST_200600_302600_NS6detail15normal_iteratorINSC_10device_ptrIKtEEEESI_EEEEESK_NSA_INS5_IJNSE_INSF_ItEEEESM_EEEEEPS7_SP_SP_NSC_11hip_rocprim7__merge17predicate_wrapperIttNSC_7greaterItEEEEEE10hipError_tPvRmT0_T1_T2_T3_T4_T5_mmT6_P12ihipStream_tbEUlT_E0_NS1_11comp_targetILNS1_3genE3ELNS1_11target_archE908ELNS1_3gpuE7ELNS1_3repE0EEENS1_30default_config_static_selectorELNS0_4arch9wavefront6targetE0EEEvS10_.num_named_barrier, 0
	.set _ZN7rocprim17ROCPRIM_400000_NS6detail17trampoline_kernelINS0_14default_configENS1_21merge_config_selectorINS0_5tupleIJttEEENS0_10empty_typeEEEZNS1_10merge_implIS3_NS0_12zip_iteratorINS5_IJN6thrust23THRUST_200600_302600_NS6detail15normal_iteratorINSC_10device_ptrIKtEEEESI_EEEEESK_NSA_INS5_IJNSE_INSF_ItEEEESM_EEEEEPS7_SP_SP_NSC_11hip_rocprim7__merge17predicate_wrapperIttNSC_7greaterItEEEEEE10hipError_tPvRmT0_T1_T2_T3_T4_T5_mmT6_P12ihipStream_tbEUlT_E0_NS1_11comp_targetILNS1_3genE3ELNS1_11target_archE908ELNS1_3gpuE7ELNS1_3repE0EEENS1_30default_config_static_selectorELNS0_4arch9wavefront6targetE0EEEvS10_.private_seg_size, 0
	.set _ZN7rocprim17ROCPRIM_400000_NS6detail17trampoline_kernelINS0_14default_configENS1_21merge_config_selectorINS0_5tupleIJttEEENS0_10empty_typeEEEZNS1_10merge_implIS3_NS0_12zip_iteratorINS5_IJN6thrust23THRUST_200600_302600_NS6detail15normal_iteratorINSC_10device_ptrIKtEEEESI_EEEEESK_NSA_INS5_IJNSE_INSF_ItEEEESM_EEEEEPS7_SP_SP_NSC_11hip_rocprim7__merge17predicate_wrapperIttNSC_7greaterItEEEEEE10hipError_tPvRmT0_T1_T2_T3_T4_T5_mmT6_P12ihipStream_tbEUlT_E0_NS1_11comp_targetILNS1_3genE3ELNS1_11target_archE908ELNS1_3gpuE7ELNS1_3repE0EEENS1_30default_config_static_selectorELNS0_4arch9wavefront6targetE0EEEvS10_.uses_vcc, 0
	.set _ZN7rocprim17ROCPRIM_400000_NS6detail17trampoline_kernelINS0_14default_configENS1_21merge_config_selectorINS0_5tupleIJttEEENS0_10empty_typeEEEZNS1_10merge_implIS3_NS0_12zip_iteratorINS5_IJN6thrust23THRUST_200600_302600_NS6detail15normal_iteratorINSC_10device_ptrIKtEEEESI_EEEEESK_NSA_INS5_IJNSE_INSF_ItEEEESM_EEEEEPS7_SP_SP_NSC_11hip_rocprim7__merge17predicate_wrapperIttNSC_7greaterItEEEEEE10hipError_tPvRmT0_T1_T2_T3_T4_T5_mmT6_P12ihipStream_tbEUlT_E0_NS1_11comp_targetILNS1_3genE3ELNS1_11target_archE908ELNS1_3gpuE7ELNS1_3repE0EEENS1_30default_config_static_selectorELNS0_4arch9wavefront6targetE0EEEvS10_.uses_flat_scratch, 0
	.set _ZN7rocprim17ROCPRIM_400000_NS6detail17trampoline_kernelINS0_14default_configENS1_21merge_config_selectorINS0_5tupleIJttEEENS0_10empty_typeEEEZNS1_10merge_implIS3_NS0_12zip_iteratorINS5_IJN6thrust23THRUST_200600_302600_NS6detail15normal_iteratorINSC_10device_ptrIKtEEEESI_EEEEESK_NSA_INS5_IJNSE_INSF_ItEEEESM_EEEEEPS7_SP_SP_NSC_11hip_rocprim7__merge17predicate_wrapperIttNSC_7greaterItEEEEEE10hipError_tPvRmT0_T1_T2_T3_T4_T5_mmT6_P12ihipStream_tbEUlT_E0_NS1_11comp_targetILNS1_3genE3ELNS1_11target_archE908ELNS1_3gpuE7ELNS1_3repE0EEENS1_30default_config_static_selectorELNS0_4arch9wavefront6targetE0EEEvS10_.has_dyn_sized_stack, 0
	.set _ZN7rocprim17ROCPRIM_400000_NS6detail17trampoline_kernelINS0_14default_configENS1_21merge_config_selectorINS0_5tupleIJttEEENS0_10empty_typeEEEZNS1_10merge_implIS3_NS0_12zip_iteratorINS5_IJN6thrust23THRUST_200600_302600_NS6detail15normal_iteratorINSC_10device_ptrIKtEEEESI_EEEEESK_NSA_INS5_IJNSE_INSF_ItEEEESM_EEEEEPS7_SP_SP_NSC_11hip_rocprim7__merge17predicate_wrapperIttNSC_7greaterItEEEEEE10hipError_tPvRmT0_T1_T2_T3_T4_T5_mmT6_P12ihipStream_tbEUlT_E0_NS1_11comp_targetILNS1_3genE3ELNS1_11target_archE908ELNS1_3gpuE7ELNS1_3repE0EEENS1_30default_config_static_selectorELNS0_4arch9wavefront6targetE0EEEvS10_.has_recursion, 0
	.set _ZN7rocprim17ROCPRIM_400000_NS6detail17trampoline_kernelINS0_14default_configENS1_21merge_config_selectorINS0_5tupleIJttEEENS0_10empty_typeEEEZNS1_10merge_implIS3_NS0_12zip_iteratorINS5_IJN6thrust23THRUST_200600_302600_NS6detail15normal_iteratorINSC_10device_ptrIKtEEEESI_EEEEESK_NSA_INS5_IJNSE_INSF_ItEEEESM_EEEEEPS7_SP_SP_NSC_11hip_rocprim7__merge17predicate_wrapperIttNSC_7greaterItEEEEEE10hipError_tPvRmT0_T1_T2_T3_T4_T5_mmT6_P12ihipStream_tbEUlT_E0_NS1_11comp_targetILNS1_3genE3ELNS1_11target_archE908ELNS1_3gpuE7ELNS1_3repE0EEENS1_30default_config_static_selectorELNS0_4arch9wavefront6targetE0EEEvS10_.has_indirect_call, 0
	.section	.AMDGPU.csdata,"",@progbits
; Kernel info:
; codeLenInByte = 0
; TotalNumSgprs: 0
; NumVgprs: 0
; ScratchSize: 0
; MemoryBound: 0
; FloatMode: 240
; IeeeMode: 1
; LDSByteSize: 0 bytes/workgroup (compile time only)
; SGPRBlocks: 0
; VGPRBlocks: 0
; NumSGPRsForWavesPerEU: 1
; NumVGPRsForWavesPerEU: 1
; Occupancy: 16
; WaveLimiterHint : 0
; COMPUTE_PGM_RSRC2:SCRATCH_EN: 0
; COMPUTE_PGM_RSRC2:USER_SGPR: 6
; COMPUTE_PGM_RSRC2:TRAP_HANDLER: 0
; COMPUTE_PGM_RSRC2:TGID_X_EN: 1
; COMPUTE_PGM_RSRC2:TGID_Y_EN: 0
; COMPUTE_PGM_RSRC2:TGID_Z_EN: 0
; COMPUTE_PGM_RSRC2:TIDIG_COMP_CNT: 0
	.section	.text._ZN7rocprim17ROCPRIM_400000_NS6detail17trampoline_kernelINS0_14default_configENS1_21merge_config_selectorINS0_5tupleIJttEEENS0_10empty_typeEEEZNS1_10merge_implIS3_NS0_12zip_iteratorINS5_IJN6thrust23THRUST_200600_302600_NS6detail15normal_iteratorINSC_10device_ptrIKtEEEESI_EEEEESK_NSA_INS5_IJNSE_INSF_ItEEEESM_EEEEEPS7_SP_SP_NSC_11hip_rocprim7__merge17predicate_wrapperIttNSC_7greaterItEEEEEE10hipError_tPvRmT0_T1_T2_T3_T4_T5_mmT6_P12ihipStream_tbEUlT_E0_NS1_11comp_targetILNS1_3genE2ELNS1_11target_archE906ELNS1_3gpuE6ELNS1_3repE0EEENS1_30default_config_static_selectorELNS0_4arch9wavefront6targetE0EEEvS10_,"axG",@progbits,_ZN7rocprim17ROCPRIM_400000_NS6detail17trampoline_kernelINS0_14default_configENS1_21merge_config_selectorINS0_5tupleIJttEEENS0_10empty_typeEEEZNS1_10merge_implIS3_NS0_12zip_iteratorINS5_IJN6thrust23THRUST_200600_302600_NS6detail15normal_iteratorINSC_10device_ptrIKtEEEESI_EEEEESK_NSA_INS5_IJNSE_INSF_ItEEEESM_EEEEEPS7_SP_SP_NSC_11hip_rocprim7__merge17predicate_wrapperIttNSC_7greaterItEEEEEE10hipError_tPvRmT0_T1_T2_T3_T4_T5_mmT6_P12ihipStream_tbEUlT_E0_NS1_11comp_targetILNS1_3genE2ELNS1_11target_archE906ELNS1_3gpuE6ELNS1_3repE0EEENS1_30default_config_static_selectorELNS0_4arch9wavefront6targetE0EEEvS10_,comdat
	.protected	_ZN7rocprim17ROCPRIM_400000_NS6detail17trampoline_kernelINS0_14default_configENS1_21merge_config_selectorINS0_5tupleIJttEEENS0_10empty_typeEEEZNS1_10merge_implIS3_NS0_12zip_iteratorINS5_IJN6thrust23THRUST_200600_302600_NS6detail15normal_iteratorINSC_10device_ptrIKtEEEESI_EEEEESK_NSA_INS5_IJNSE_INSF_ItEEEESM_EEEEEPS7_SP_SP_NSC_11hip_rocprim7__merge17predicate_wrapperIttNSC_7greaterItEEEEEE10hipError_tPvRmT0_T1_T2_T3_T4_T5_mmT6_P12ihipStream_tbEUlT_E0_NS1_11comp_targetILNS1_3genE2ELNS1_11target_archE906ELNS1_3gpuE6ELNS1_3repE0EEENS1_30default_config_static_selectorELNS0_4arch9wavefront6targetE0EEEvS10_ ; -- Begin function _ZN7rocprim17ROCPRIM_400000_NS6detail17trampoline_kernelINS0_14default_configENS1_21merge_config_selectorINS0_5tupleIJttEEENS0_10empty_typeEEEZNS1_10merge_implIS3_NS0_12zip_iteratorINS5_IJN6thrust23THRUST_200600_302600_NS6detail15normal_iteratorINSC_10device_ptrIKtEEEESI_EEEEESK_NSA_INS5_IJNSE_INSF_ItEEEESM_EEEEEPS7_SP_SP_NSC_11hip_rocprim7__merge17predicate_wrapperIttNSC_7greaterItEEEEEE10hipError_tPvRmT0_T1_T2_T3_T4_T5_mmT6_P12ihipStream_tbEUlT_E0_NS1_11comp_targetILNS1_3genE2ELNS1_11target_archE906ELNS1_3gpuE6ELNS1_3repE0EEENS1_30default_config_static_selectorELNS0_4arch9wavefront6targetE0EEEvS10_
	.globl	_ZN7rocprim17ROCPRIM_400000_NS6detail17trampoline_kernelINS0_14default_configENS1_21merge_config_selectorINS0_5tupleIJttEEENS0_10empty_typeEEEZNS1_10merge_implIS3_NS0_12zip_iteratorINS5_IJN6thrust23THRUST_200600_302600_NS6detail15normal_iteratorINSC_10device_ptrIKtEEEESI_EEEEESK_NSA_INS5_IJNSE_INSF_ItEEEESM_EEEEEPS7_SP_SP_NSC_11hip_rocprim7__merge17predicate_wrapperIttNSC_7greaterItEEEEEE10hipError_tPvRmT0_T1_T2_T3_T4_T5_mmT6_P12ihipStream_tbEUlT_E0_NS1_11comp_targetILNS1_3genE2ELNS1_11target_archE906ELNS1_3gpuE6ELNS1_3repE0EEENS1_30default_config_static_selectorELNS0_4arch9wavefront6targetE0EEEvS10_
	.p2align	8
	.type	_ZN7rocprim17ROCPRIM_400000_NS6detail17trampoline_kernelINS0_14default_configENS1_21merge_config_selectorINS0_5tupleIJttEEENS0_10empty_typeEEEZNS1_10merge_implIS3_NS0_12zip_iteratorINS5_IJN6thrust23THRUST_200600_302600_NS6detail15normal_iteratorINSC_10device_ptrIKtEEEESI_EEEEESK_NSA_INS5_IJNSE_INSF_ItEEEESM_EEEEEPS7_SP_SP_NSC_11hip_rocprim7__merge17predicate_wrapperIttNSC_7greaterItEEEEEE10hipError_tPvRmT0_T1_T2_T3_T4_T5_mmT6_P12ihipStream_tbEUlT_E0_NS1_11comp_targetILNS1_3genE2ELNS1_11target_archE906ELNS1_3gpuE6ELNS1_3repE0EEENS1_30default_config_static_selectorELNS0_4arch9wavefront6targetE0EEEvS10_,@function
_ZN7rocprim17ROCPRIM_400000_NS6detail17trampoline_kernelINS0_14default_configENS1_21merge_config_selectorINS0_5tupleIJttEEENS0_10empty_typeEEEZNS1_10merge_implIS3_NS0_12zip_iteratorINS5_IJN6thrust23THRUST_200600_302600_NS6detail15normal_iteratorINSC_10device_ptrIKtEEEESI_EEEEESK_NSA_INS5_IJNSE_INSF_ItEEEESM_EEEEEPS7_SP_SP_NSC_11hip_rocprim7__merge17predicate_wrapperIttNSC_7greaterItEEEEEE10hipError_tPvRmT0_T1_T2_T3_T4_T5_mmT6_P12ihipStream_tbEUlT_E0_NS1_11comp_targetILNS1_3genE2ELNS1_11target_archE906ELNS1_3gpuE6ELNS1_3repE0EEENS1_30default_config_static_selectorELNS0_4arch9wavefront6targetE0EEEvS10_: ; @_ZN7rocprim17ROCPRIM_400000_NS6detail17trampoline_kernelINS0_14default_configENS1_21merge_config_selectorINS0_5tupleIJttEEENS0_10empty_typeEEEZNS1_10merge_implIS3_NS0_12zip_iteratorINS5_IJN6thrust23THRUST_200600_302600_NS6detail15normal_iteratorINSC_10device_ptrIKtEEEESI_EEEEESK_NSA_INS5_IJNSE_INSF_ItEEEESM_EEEEEPS7_SP_SP_NSC_11hip_rocprim7__merge17predicate_wrapperIttNSC_7greaterItEEEEEE10hipError_tPvRmT0_T1_T2_T3_T4_T5_mmT6_P12ihipStream_tbEUlT_E0_NS1_11comp_targetILNS1_3genE2ELNS1_11target_archE906ELNS1_3gpuE6ELNS1_3repE0EEENS1_30default_config_static_selectorELNS0_4arch9wavefront6targetE0EEEvS10_
; %bb.0:
	.section	.rodata,"a",@progbits
	.p2align	6, 0x0
	.amdhsa_kernel _ZN7rocprim17ROCPRIM_400000_NS6detail17trampoline_kernelINS0_14default_configENS1_21merge_config_selectorINS0_5tupleIJttEEENS0_10empty_typeEEEZNS1_10merge_implIS3_NS0_12zip_iteratorINS5_IJN6thrust23THRUST_200600_302600_NS6detail15normal_iteratorINSC_10device_ptrIKtEEEESI_EEEEESK_NSA_INS5_IJNSE_INSF_ItEEEESM_EEEEEPS7_SP_SP_NSC_11hip_rocprim7__merge17predicate_wrapperIttNSC_7greaterItEEEEEE10hipError_tPvRmT0_T1_T2_T3_T4_T5_mmT6_P12ihipStream_tbEUlT_E0_NS1_11comp_targetILNS1_3genE2ELNS1_11target_archE906ELNS1_3gpuE6ELNS1_3repE0EEENS1_30default_config_static_selectorELNS0_4arch9wavefront6targetE0EEEvS10_
		.amdhsa_group_segment_fixed_size 0
		.amdhsa_private_segment_fixed_size 0
		.amdhsa_kernarg_size 112
		.amdhsa_user_sgpr_count 6
		.amdhsa_user_sgpr_private_segment_buffer 1
		.amdhsa_user_sgpr_dispatch_ptr 0
		.amdhsa_user_sgpr_queue_ptr 0
		.amdhsa_user_sgpr_kernarg_segment_ptr 1
		.amdhsa_user_sgpr_dispatch_id 0
		.amdhsa_user_sgpr_flat_scratch_init 0
		.amdhsa_user_sgpr_private_segment_size 0
		.amdhsa_wavefront_size32 1
		.amdhsa_uses_dynamic_stack 0
		.amdhsa_system_sgpr_private_segment_wavefront_offset 0
		.amdhsa_system_sgpr_workgroup_id_x 1
		.amdhsa_system_sgpr_workgroup_id_y 0
		.amdhsa_system_sgpr_workgroup_id_z 0
		.amdhsa_system_sgpr_workgroup_info 0
		.amdhsa_system_vgpr_workitem_id 0
		.amdhsa_next_free_vgpr 1
		.amdhsa_next_free_sgpr 1
		.amdhsa_reserve_vcc 0
		.amdhsa_reserve_flat_scratch 0
		.amdhsa_float_round_mode_32 0
		.amdhsa_float_round_mode_16_64 0
		.amdhsa_float_denorm_mode_32 3
		.amdhsa_float_denorm_mode_16_64 3
		.amdhsa_dx10_clamp 1
		.amdhsa_ieee_mode 1
		.amdhsa_fp16_overflow 0
		.amdhsa_workgroup_processor_mode 1
		.amdhsa_memory_ordered 1
		.amdhsa_forward_progress 1
		.amdhsa_shared_vgpr_count 0
		.amdhsa_exception_fp_ieee_invalid_op 0
		.amdhsa_exception_fp_denorm_src 0
		.amdhsa_exception_fp_ieee_div_zero 0
		.amdhsa_exception_fp_ieee_overflow 0
		.amdhsa_exception_fp_ieee_underflow 0
		.amdhsa_exception_fp_ieee_inexact 0
		.amdhsa_exception_int_div_zero 0
	.end_amdhsa_kernel
	.section	.text._ZN7rocprim17ROCPRIM_400000_NS6detail17trampoline_kernelINS0_14default_configENS1_21merge_config_selectorINS0_5tupleIJttEEENS0_10empty_typeEEEZNS1_10merge_implIS3_NS0_12zip_iteratorINS5_IJN6thrust23THRUST_200600_302600_NS6detail15normal_iteratorINSC_10device_ptrIKtEEEESI_EEEEESK_NSA_INS5_IJNSE_INSF_ItEEEESM_EEEEEPS7_SP_SP_NSC_11hip_rocprim7__merge17predicate_wrapperIttNSC_7greaterItEEEEEE10hipError_tPvRmT0_T1_T2_T3_T4_T5_mmT6_P12ihipStream_tbEUlT_E0_NS1_11comp_targetILNS1_3genE2ELNS1_11target_archE906ELNS1_3gpuE6ELNS1_3repE0EEENS1_30default_config_static_selectorELNS0_4arch9wavefront6targetE0EEEvS10_,"axG",@progbits,_ZN7rocprim17ROCPRIM_400000_NS6detail17trampoline_kernelINS0_14default_configENS1_21merge_config_selectorINS0_5tupleIJttEEENS0_10empty_typeEEEZNS1_10merge_implIS3_NS0_12zip_iteratorINS5_IJN6thrust23THRUST_200600_302600_NS6detail15normal_iteratorINSC_10device_ptrIKtEEEESI_EEEEESK_NSA_INS5_IJNSE_INSF_ItEEEESM_EEEEEPS7_SP_SP_NSC_11hip_rocprim7__merge17predicate_wrapperIttNSC_7greaterItEEEEEE10hipError_tPvRmT0_T1_T2_T3_T4_T5_mmT6_P12ihipStream_tbEUlT_E0_NS1_11comp_targetILNS1_3genE2ELNS1_11target_archE906ELNS1_3gpuE6ELNS1_3repE0EEENS1_30default_config_static_selectorELNS0_4arch9wavefront6targetE0EEEvS10_,comdat
.Lfunc_end402:
	.size	_ZN7rocprim17ROCPRIM_400000_NS6detail17trampoline_kernelINS0_14default_configENS1_21merge_config_selectorINS0_5tupleIJttEEENS0_10empty_typeEEEZNS1_10merge_implIS3_NS0_12zip_iteratorINS5_IJN6thrust23THRUST_200600_302600_NS6detail15normal_iteratorINSC_10device_ptrIKtEEEESI_EEEEESK_NSA_INS5_IJNSE_INSF_ItEEEESM_EEEEEPS7_SP_SP_NSC_11hip_rocprim7__merge17predicate_wrapperIttNSC_7greaterItEEEEEE10hipError_tPvRmT0_T1_T2_T3_T4_T5_mmT6_P12ihipStream_tbEUlT_E0_NS1_11comp_targetILNS1_3genE2ELNS1_11target_archE906ELNS1_3gpuE6ELNS1_3repE0EEENS1_30default_config_static_selectorELNS0_4arch9wavefront6targetE0EEEvS10_, .Lfunc_end402-_ZN7rocprim17ROCPRIM_400000_NS6detail17trampoline_kernelINS0_14default_configENS1_21merge_config_selectorINS0_5tupleIJttEEENS0_10empty_typeEEEZNS1_10merge_implIS3_NS0_12zip_iteratorINS5_IJN6thrust23THRUST_200600_302600_NS6detail15normal_iteratorINSC_10device_ptrIKtEEEESI_EEEEESK_NSA_INS5_IJNSE_INSF_ItEEEESM_EEEEEPS7_SP_SP_NSC_11hip_rocprim7__merge17predicate_wrapperIttNSC_7greaterItEEEEEE10hipError_tPvRmT0_T1_T2_T3_T4_T5_mmT6_P12ihipStream_tbEUlT_E0_NS1_11comp_targetILNS1_3genE2ELNS1_11target_archE906ELNS1_3gpuE6ELNS1_3repE0EEENS1_30default_config_static_selectorELNS0_4arch9wavefront6targetE0EEEvS10_
                                        ; -- End function
	.set _ZN7rocprim17ROCPRIM_400000_NS6detail17trampoline_kernelINS0_14default_configENS1_21merge_config_selectorINS0_5tupleIJttEEENS0_10empty_typeEEEZNS1_10merge_implIS3_NS0_12zip_iteratorINS5_IJN6thrust23THRUST_200600_302600_NS6detail15normal_iteratorINSC_10device_ptrIKtEEEESI_EEEEESK_NSA_INS5_IJNSE_INSF_ItEEEESM_EEEEEPS7_SP_SP_NSC_11hip_rocprim7__merge17predicate_wrapperIttNSC_7greaterItEEEEEE10hipError_tPvRmT0_T1_T2_T3_T4_T5_mmT6_P12ihipStream_tbEUlT_E0_NS1_11comp_targetILNS1_3genE2ELNS1_11target_archE906ELNS1_3gpuE6ELNS1_3repE0EEENS1_30default_config_static_selectorELNS0_4arch9wavefront6targetE0EEEvS10_.num_vgpr, 0
	.set _ZN7rocprim17ROCPRIM_400000_NS6detail17trampoline_kernelINS0_14default_configENS1_21merge_config_selectorINS0_5tupleIJttEEENS0_10empty_typeEEEZNS1_10merge_implIS3_NS0_12zip_iteratorINS5_IJN6thrust23THRUST_200600_302600_NS6detail15normal_iteratorINSC_10device_ptrIKtEEEESI_EEEEESK_NSA_INS5_IJNSE_INSF_ItEEEESM_EEEEEPS7_SP_SP_NSC_11hip_rocprim7__merge17predicate_wrapperIttNSC_7greaterItEEEEEE10hipError_tPvRmT0_T1_T2_T3_T4_T5_mmT6_P12ihipStream_tbEUlT_E0_NS1_11comp_targetILNS1_3genE2ELNS1_11target_archE906ELNS1_3gpuE6ELNS1_3repE0EEENS1_30default_config_static_selectorELNS0_4arch9wavefront6targetE0EEEvS10_.num_agpr, 0
	.set _ZN7rocprim17ROCPRIM_400000_NS6detail17trampoline_kernelINS0_14default_configENS1_21merge_config_selectorINS0_5tupleIJttEEENS0_10empty_typeEEEZNS1_10merge_implIS3_NS0_12zip_iteratorINS5_IJN6thrust23THRUST_200600_302600_NS6detail15normal_iteratorINSC_10device_ptrIKtEEEESI_EEEEESK_NSA_INS5_IJNSE_INSF_ItEEEESM_EEEEEPS7_SP_SP_NSC_11hip_rocprim7__merge17predicate_wrapperIttNSC_7greaterItEEEEEE10hipError_tPvRmT0_T1_T2_T3_T4_T5_mmT6_P12ihipStream_tbEUlT_E0_NS1_11comp_targetILNS1_3genE2ELNS1_11target_archE906ELNS1_3gpuE6ELNS1_3repE0EEENS1_30default_config_static_selectorELNS0_4arch9wavefront6targetE0EEEvS10_.numbered_sgpr, 0
	.set _ZN7rocprim17ROCPRIM_400000_NS6detail17trampoline_kernelINS0_14default_configENS1_21merge_config_selectorINS0_5tupleIJttEEENS0_10empty_typeEEEZNS1_10merge_implIS3_NS0_12zip_iteratorINS5_IJN6thrust23THRUST_200600_302600_NS6detail15normal_iteratorINSC_10device_ptrIKtEEEESI_EEEEESK_NSA_INS5_IJNSE_INSF_ItEEEESM_EEEEEPS7_SP_SP_NSC_11hip_rocprim7__merge17predicate_wrapperIttNSC_7greaterItEEEEEE10hipError_tPvRmT0_T1_T2_T3_T4_T5_mmT6_P12ihipStream_tbEUlT_E0_NS1_11comp_targetILNS1_3genE2ELNS1_11target_archE906ELNS1_3gpuE6ELNS1_3repE0EEENS1_30default_config_static_selectorELNS0_4arch9wavefront6targetE0EEEvS10_.num_named_barrier, 0
	.set _ZN7rocprim17ROCPRIM_400000_NS6detail17trampoline_kernelINS0_14default_configENS1_21merge_config_selectorINS0_5tupleIJttEEENS0_10empty_typeEEEZNS1_10merge_implIS3_NS0_12zip_iteratorINS5_IJN6thrust23THRUST_200600_302600_NS6detail15normal_iteratorINSC_10device_ptrIKtEEEESI_EEEEESK_NSA_INS5_IJNSE_INSF_ItEEEESM_EEEEEPS7_SP_SP_NSC_11hip_rocprim7__merge17predicate_wrapperIttNSC_7greaterItEEEEEE10hipError_tPvRmT0_T1_T2_T3_T4_T5_mmT6_P12ihipStream_tbEUlT_E0_NS1_11comp_targetILNS1_3genE2ELNS1_11target_archE906ELNS1_3gpuE6ELNS1_3repE0EEENS1_30default_config_static_selectorELNS0_4arch9wavefront6targetE0EEEvS10_.private_seg_size, 0
	.set _ZN7rocprim17ROCPRIM_400000_NS6detail17trampoline_kernelINS0_14default_configENS1_21merge_config_selectorINS0_5tupleIJttEEENS0_10empty_typeEEEZNS1_10merge_implIS3_NS0_12zip_iteratorINS5_IJN6thrust23THRUST_200600_302600_NS6detail15normal_iteratorINSC_10device_ptrIKtEEEESI_EEEEESK_NSA_INS5_IJNSE_INSF_ItEEEESM_EEEEEPS7_SP_SP_NSC_11hip_rocprim7__merge17predicate_wrapperIttNSC_7greaterItEEEEEE10hipError_tPvRmT0_T1_T2_T3_T4_T5_mmT6_P12ihipStream_tbEUlT_E0_NS1_11comp_targetILNS1_3genE2ELNS1_11target_archE906ELNS1_3gpuE6ELNS1_3repE0EEENS1_30default_config_static_selectorELNS0_4arch9wavefront6targetE0EEEvS10_.uses_vcc, 0
	.set _ZN7rocprim17ROCPRIM_400000_NS6detail17trampoline_kernelINS0_14default_configENS1_21merge_config_selectorINS0_5tupleIJttEEENS0_10empty_typeEEEZNS1_10merge_implIS3_NS0_12zip_iteratorINS5_IJN6thrust23THRUST_200600_302600_NS6detail15normal_iteratorINSC_10device_ptrIKtEEEESI_EEEEESK_NSA_INS5_IJNSE_INSF_ItEEEESM_EEEEEPS7_SP_SP_NSC_11hip_rocprim7__merge17predicate_wrapperIttNSC_7greaterItEEEEEE10hipError_tPvRmT0_T1_T2_T3_T4_T5_mmT6_P12ihipStream_tbEUlT_E0_NS1_11comp_targetILNS1_3genE2ELNS1_11target_archE906ELNS1_3gpuE6ELNS1_3repE0EEENS1_30default_config_static_selectorELNS0_4arch9wavefront6targetE0EEEvS10_.uses_flat_scratch, 0
	.set _ZN7rocprim17ROCPRIM_400000_NS6detail17trampoline_kernelINS0_14default_configENS1_21merge_config_selectorINS0_5tupleIJttEEENS0_10empty_typeEEEZNS1_10merge_implIS3_NS0_12zip_iteratorINS5_IJN6thrust23THRUST_200600_302600_NS6detail15normal_iteratorINSC_10device_ptrIKtEEEESI_EEEEESK_NSA_INS5_IJNSE_INSF_ItEEEESM_EEEEEPS7_SP_SP_NSC_11hip_rocprim7__merge17predicate_wrapperIttNSC_7greaterItEEEEEE10hipError_tPvRmT0_T1_T2_T3_T4_T5_mmT6_P12ihipStream_tbEUlT_E0_NS1_11comp_targetILNS1_3genE2ELNS1_11target_archE906ELNS1_3gpuE6ELNS1_3repE0EEENS1_30default_config_static_selectorELNS0_4arch9wavefront6targetE0EEEvS10_.has_dyn_sized_stack, 0
	.set _ZN7rocprim17ROCPRIM_400000_NS6detail17trampoline_kernelINS0_14default_configENS1_21merge_config_selectorINS0_5tupleIJttEEENS0_10empty_typeEEEZNS1_10merge_implIS3_NS0_12zip_iteratorINS5_IJN6thrust23THRUST_200600_302600_NS6detail15normal_iteratorINSC_10device_ptrIKtEEEESI_EEEEESK_NSA_INS5_IJNSE_INSF_ItEEEESM_EEEEEPS7_SP_SP_NSC_11hip_rocprim7__merge17predicate_wrapperIttNSC_7greaterItEEEEEE10hipError_tPvRmT0_T1_T2_T3_T4_T5_mmT6_P12ihipStream_tbEUlT_E0_NS1_11comp_targetILNS1_3genE2ELNS1_11target_archE906ELNS1_3gpuE6ELNS1_3repE0EEENS1_30default_config_static_selectorELNS0_4arch9wavefront6targetE0EEEvS10_.has_recursion, 0
	.set _ZN7rocprim17ROCPRIM_400000_NS6detail17trampoline_kernelINS0_14default_configENS1_21merge_config_selectorINS0_5tupleIJttEEENS0_10empty_typeEEEZNS1_10merge_implIS3_NS0_12zip_iteratorINS5_IJN6thrust23THRUST_200600_302600_NS6detail15normal_iteratorINSC_10device_ptrIKtEEEESI_EEEEESK_NSA_INS5_IJNSE_INSF_ItEEEESM_EEEEEPS7_SP_SP_NSC_11hip_rocprim7__merge17predicate_wrapperIttNSC_7greaterItEEEEEE10hipError_tPvRmT0_T1_T2_T3_T4_T5_mmT6_P12ihipStream_tbEUlT_E0_NS1_11comp_targetILNS1_3genE2ELNS1_11target_archE906ELNS1_3gpuE6ELNS1_3repE0EEENS1_30default_config_static_selectorELNS0_4arch9wavefront6targetE0EEEvS10_.has_indirect_call, 0
	.section	.AMDGPU.csdata,"",@progbits
; Kernel info:
; codeLenInByte = 0
; TotalNumSgprs: 0
; NumVgprs: 0
; ScratchSize: 0
; MemoryBound: 0
; FloatMode: 240
; IeeeMode: 1
; LDSByteSize: 0 bytes/workgroup (compile time only)
; SGPRBlocks: 0
; VGPRBlocks: 0
; NumSGPRsForWavesPerEU: 1
; NumVGPRsForWavesPerEU: 1
; Occupancy: 16
; WaveLimiterHint : 0
; COMPUTE_PGM_RSRC2:SCRATCH_EN: 0
; COMPUTE_PGM_RSRC2:USER_SGPR: 6
; COMPUTE_PGM_RSRC2:TRAP_HANDLER: 0
; COMPUTE_PGM_RSRC2:TGID_X_EN: 1
; COMPUTE_PGM_RSRC2:TGID_Y_EN: 0
; COMPUTE_PGM_RSRC2:TGID_Z_EN: 0
; COMPUTE_PGM_RSRC2:TIDIG_COMP_CNT: 0
	.section	.text._ZN7rocprim17ROCPRIM_400000_NS6detail17trampoline_kernelINS0_14default_configENS1_21merge_config_selectorINS0_5tupleIJttEEENS0_10empty_typeEEEZNS1_10merge_implIS3_NS0_12zip_iteratorINS5_IJN6thrust23THRUST_200600_302600_NS6detail15normal_iteratorINSC_10device_ptrIKtEEEESI_EEEEESK_NSA_INS5_IJNSE_INSF_ItEEEESM_EEEEEPS7_SP_SP_NSC_11hip_rocprim7__merge17predicate_wrapperIttNSC_7greaterItEEEEEE10hipError_tPvRmT0_T1_T2_T3_T4_T5_mmT6_P12ihipStream_tbEUlT_E0_NS1_11comp_targetILNS1_3genE10ELNS1_11target_archE1201ELNS1_3gpuE5ELNS1_3repE0EEENS1_30default_config_static_selectorELNS0_4arch9wavefront6targetE0EEEvS10_,"axG",@progbits,_ZN7rocprim17ROCPRIM_400000_NS6detail17trampoline_kernelINS0_14default_configENS1_21merge_config_selectorINS0_5tupleIJttEEENS0_10empty_typeEEEZNS1_10merge_implIS3_NS0_12zip_iteratorINS5_IJN6thrust23THRUST_200600_302600_NS6detail15normal_iteratorINSC_10device_ptrIKtEEEESI_EEEEESK_NSA_INS5_IJNSE_INSF_ItEEEESM_EEEEEPS7_SP_SP_NSC_11hip_rocprim7__merge17predicate_wrapperIttNSC_7greaterItEEEEEE10hipError_tPvRmT0_T1_T2_T3_T4_T5_mmT6_P12ihipStream_tbEUlT_E0_NS1_11comp_targetILNS1_3genE10ELNS1_11target_archE1201ELNS1_3gpuE5ELNS1_3repE0EEENS1_30default_config_static_selectorELNS0_4arch9wavefront6targetE0EEEvS10_,comdat
	.protected	_ZN7rocprim17ROCPRIM_400000_NS6detail17trampoline_kernelINS0_14default_configENS1_21merge_config_selectorINS0_5tupleIJttEEENS0_10empty_typeEEEZNS1_10merge_implIS3_NS0_12zip_iteratorINS5_IJN6thrust23THRUST_200600_302600_NS6detail15normal_iteratorINSC_10device_ptrIKtEEEESI_EEEEESK_NSA_INS5_IJNSE_INSF_ItEEEESM_EEEEEPS7_SP_SP_NSC_11hip_rocprim7__merge17predicate_wrapperIttNSC_7greaterItEEEEEE10hipError_tPvRmT0_T1_T2_T3_T4_T5_mmT6_P12ihipStream_tbEUlT_E0_NS1_11comp_targetILNS1_3genE10ELNS1_11target_archE1201ELNS1_3gpuE5ELNS1_3repE0EEENS1_30default_config_static_selectorELNS0_4arch9wavefront6targetE0EEEvS10_ ; -- Begin function _ZN7rocprim17ROCPRIM_400000_NS6detail17trampoline_kernelINS0_14default_configENS1_21merge_config_selectorINS0_5tupleIJttEEENS0_10empty_typeEEEZNS1_10merge_implIS3_NS0_12zip_iteratorINS5_IJN6thrust23THRUST_200600_302600_NS6detail15normal_iteratorINSC_10device_ptrIKtEEEESI_EEEEESK_NSA_INS5_IJNSE_INSF_ItEEEESM_EEEEEPS7_SP_SP_NSC_11hip_rocprim7__merge17predicate_wrapperIttNSC_7greaterItEEEEEE10hipError_tPvRmT0_T1_T2_T3_T4_T5_mmT6_P12ihipStream_tbEUlT_E0_NS1_11comp_targetILNS1_3genE10ELNS1_11target_archE1201ELNS1_3gpuE5ELNS1_3repE0EEENS1_30default_config_static_selectorELNS0_4arch9wavefront6targetE0EEEvS10_
	.globl	_ZN7rocprim17ROCPRIM_400000_NS6detail17trampoline_kernelINS0_14default_configENS1_21merge_config_selectorINS0_5tupleIJttEEENS0_10empty_typeEEEZNS1_10merge_implIS3_NS0_12zip_iteratorINS5_IJN6thrust23THRUST_200600_302600_NS6detail15normal_iteratorINSC_10device_ptrIKtEEEESI_EEEEESK_NSA_INS5_IJNSE_INSF_ItEEEESM_EEEEEPS7_SP_SP_NSC_11hip_rocprim7__merge17predicate_wrapperIttNSC_7greaterItEEEEEE10hipError_tPvRmT0_T1_T2_T3_T4_T5_mmT6_P12ihipStream_tbEUlT_E0_NS1_11comp_targetILNS1_3genE10ELNS1_11target_archE1201ELNS1_3gpuE5ELNS1_3repE0EEENS1_30default_config_static_selectorELNS0_4arch9wavefront6targetE0EEEvS10_
	.p2align	8
	.type	_ZN7rocprim17ROCPRIM_400000_NS6detail17trampoline_kernelINS0_14default_configENS1_21merge_config_selectorINS0_5tupleIJttEEENS0_10empty_typeEEEZNS1_10merge_implIS3_NS0_12zip_iteratorINS5_IJN6thrust23THRUST_200600_302600_NS6detail15normal_iteratorINSC_10device_ptrIKtEEEESI_EEEEESK_NSA_INS5_IJNSE_INSF_ItEEEESM_EEEEEPS7_SP_SP_NSC_11hip_rocprim7__merge17predicate_wrapperIttNSC_7greaterItEEEEEE10hipError_tPvRmT0_T1_T2_T3_T4_T5_mmT6_P12ihipStream_tbEUlT_E0_NS1_11comp_targetILNS1_3genE10ELNS1_11target_archE1201ELNS1_3gpuE5ELNS1_3repE0EEENS1_30default_config_static_selectorELNS0_4arch9wavefront6targetE0EEEvS10_,@function
_ZN7rocprim17ROCPRIM_400000_NS6detail17trampoline_kernelINS0_14default_configENS1_21merge_config_selectorINS0_5tupleIJttEEENS0_10empty_typeEEEZNS1_10merge_implIS3_NS0_12zip_iteratorINS5_IJN6thrust23THRUST_200600_302600_NS6detail15normal_iteratorINSC_10device_ptrIKtEEEESI_EEEEESK_NSA_INS5_IJNSE_INSF_ItEEEESM_EEEEEPS7_SP_SP_NSC_11hip_rocprim7__merge17predicate_wrapperIttNSC_7greaterItEEEEEE10hipError_tPvRmT0_T1_T2_T3_T4_T5_mmT6_P12ihipStream_tbEUlT_E0_NS1_11comp_targetILNS1_3genE10ELNS1_11target_archE1201ELNS1_3gpuE5ELNS1_3repE0EEENS1_30default_config_static_selectorELNS0_4arch9wavefront6targetE0EEEvS10_: ; @_ZN7rocprim17ROCPRIM_400000_NS6detail17trampoline_kernelINS0_14default_configENS1_21merge_config_selectorINS0_5tupleIJttEEENS0_10empty_typeEEEZNS1_10merge_implIS3_NS0_12zip_iteratorINS5_IJN6thrust23THRUST_200600_302600_NS6detail15normal_iteratorINSC_10device_ptrIKtEEEESI_EEEEESK_NSA_INS5_IJNSE_INSF_ItEEEESM_EEEEEPS7_SP_SP_NSC_11hip_rocprim7__merge17predicate_wrapperIttNSC_7greaterItEEEEEE10hipError_tPvRmT0_T1_T2_T3_T4_T5_mmT6_P12ihipStream_tbEUlT_E0_NS1_11comp_targetILNS1_3genE10ELNS1_11target_archE1201ELNS1_3gpuE5ELNS1_3repE0EEENS1_30default_config_static_selectorELNS0_4arch9wavefront6targetE0EEEvS10_
; %bb.0:
	.section	.rodata,"a",@progbits
	.p2align	6, 0x0
	.amdhsa_kernel _ZN7rocprim17ROCPRIM_400000_NS6detail17trampoline_kernelINS0_14default_configENS1_21merge_config_selectorINS0_5tupleIJttEEENS0_10empty_typeEEEZNS1_10merge_implIS3_NS0_12zip_iteratorINS5_IJN6thrust23THRUST_200600_302600_NS6detail15normal_iteratorINSC_10device_ptrIKtEEEESI_EEEEESK_NSA_INS5_IJNSE_INSF_ItEEEESM_EEEEEPS7_SP_SP_NSC_11hip_rocprim7__merge17predicate_wrapperIttNSC_7greaterItEEEEEE10hipError_tPvRmT0_T1_T2_T3_T4_T5_mmT6_P12ihipStream_tbEUlT_E0_NS1_11comp_targetILNS1_3genE10ELNS1_11target_archE1201ELNS1_3gpuE5ELNS1_3repE0EEENS1_30default_config_static_selectorELNS0_4arch9wavefront6targetE0EEEvS10_
		.amdhsa_group_segment_fixed_size 0
		.amdhsa_private_segment_fixed_size 0
		.amdhsa_kernarg_size 112
		.amdhsa_user_sgpr_count 6
		.amdhsa_user_sgpr_private_segment_buffer 1
		.amdhsa_user_sgpr_dispatch_ptr 0
		.amdhsa_user_sgpr_queue_ptr 0
		.amdhsa_user_sgpr_kernarg_segment_ptr 1
		.amdhsa_user_sgpr_dispatch_id 0
		.amdhsa_user_sgpr_flat_scratch_init 0
		.amdhsa_user_sgpr_private_segment_size 0
		.amdhsa_wavefront_size32 1
		.amdhsa_uses_dynamic_stack 0
		.amdhsa_system_sgpr_private_segment_wavefront_offset 0
		.amdhsa_system_sgpr_workgroup_id_x 1
		.amdhsa_system_sgpr_workgroup_id_y 0
		.amdhsa_system_sgpr_workgroup_id_z 0
		.amdhsa_system_sgpr_workgroup_info 0
		.amdhsa_system_vgpr_workitem_id 0
		.amdhsa_next_free_vgpr 1
		.amdhsa_next_free_sgpr 1
		.amdhsa_reserve_vcc 0
		.amdhsa_reserve_flat_scratch 0
		.amdhsa_float_round_mode_32 0
		.amdhsa_float_round_mode_16_64 0
		.amdhsa_float_denorm_mode_32 3
		.amdhsa_float_denorm_mode_16_64 3
		.amdhsa_dx10_clamp 1
		.amdhsa_ieee_mode 1
		.amdhsa_fp16_overflow 0
		.amdhsa_workgroup_processor_mode 1
		.amdhsa_memory_ordered 1
		.amdhsa_forward_progress 1
		.amdhsa_shared_vgpr_count 0
		.amdhsa_exception_fp_ieee_invalid_op 0
		.amdhsa_exception_fp_denorm_src 0
		.amdhsa_exception_fp_ieee_div_zero 0
		.amdhsa_exception_fp_ieee_overflow 0
		.amdhsa_exception_fp_ieee_underflow 0
		.amdhsa_exception_fp_ieee_inexact 0
		.amdhsa_exception_int_div_zero 0
	.end_amdhsa_kernel
	.section	.text._ZN7rocprim17ROCPRIM_400000_NS6detail17trampoline_kernelINS0_14default_configENS1_21merge_config_selectorINS0_5tupleIJttEEENS0_10empty_typeEEEZNS1_10merge_implIS3_NS0_12zip_iteratorINS5_IJN6thrust23THRUST_200600_302600_NS6detail15normal_iteratorINSC_10device_ptrIKtEEEESI_EEEEESK_NSA_INS5_IJNSE_INSF_ItEEEESM_EEEEEPS7_SP_SP_NSC_11hip_rocprim7__merge17predicate_wrapperIttNSC_7greaterItEEEEEE10hipError_tPvRmT0_T1_T2_T3_T4_T5_mmT6_P12ihipStream_tbEUlT_E0_NS1_11comp_targetILNS1_3genE10ELNS1_11target_archE1201ELNS1_3gpuE5ELNS1_3repE0EEENS1_30default_config_static_selectorELNS0_4arch9wavefront6targetE0EEEvS10_,"axG",@progbits,_ZN7rocprim17ROCPRIM_400000_NS6detail17trampoline_kernelINS0_14default_configENS1_21merge_config_selectorINS0_5tupleIJttEEENS0_10empty_typeEEEZNS1_10merge_implIS3_NS0_12zip_iteratorINS5_IJN6thrust23THRUST_200600_302600_NS6detail15normal_iteratorINSC_10device_ptrIKtEEEESI_EEEEESK_NSA_INS5_IJNSE_INSF_ItEEEESM_EEEEEPS7_SP_SP_NSC_11hip_rocprim7__merge17predicate_wrapperIttNSC_7greaterItEEEEEE10hipError_tPvRmT0_T1_T2_T3_T4_T5_mmT6_P12ihipStream_tbEUlT_E0_NS1_11comp_targetILNS1_3genE10ELNS1_11target_archE1201ELNS1_3gpuE5ELNS1_3repE0EEENS1_30default_config_static_selectorELNS0_4arch9wavefront6targetE0EEEvS10_,comdat
.Lfunc_end403:
	.size	_ZN7rocprim17ROCPRIM_400000_NS6detail17trampoline_kernelINS0_14default_configENS1_21merge_config_selectorINS0_5tupleIJttEEENS0_10empty_typeEEEZNS1_10merge_implIS3_NS0_12zip_iteratorINS5_IJN6thrust23THRUST_200600_302600_NS6detail15normal_iteratorINSC_10device_ptrIKtEEEESI_EEEEESK_NSA_INS5_IJNSE_INSF_ItEEEESM_EEEEEPS7_SP_SP_NSC_11hip_rocprim7__merge17predicate_wrapperIttNSC_7greaterItEEEEEE10hipError_tPvRmT0_T1_T2_T3_T4_T5_mmT6_P12ihipStream_tbEUlT_E0_NS1_11comp_targetILNS1_3genE10ELNS1_11target_archE1201ELNS1_3gpuE5ELNS1_3repE0EEENS1_30default_config_static_selectorELNS0_4arch9wavefront6targetE0EEEvS10_, .Lfunc_end403-_ZN7rocprim17ROCPRIM_400000_NS6detail17trampoline_kernelINS0_14default_configENS1_21merge_config_selectorINS0_5tupleIJttEEENS0_10empty_typeEEEZNS1_10merge_implIS3_NS0_12zip_iteratorINS5_IJN6thrust23THRUST_200600_302600_NS6detail15normal_iteratorINSC_10device_ptrIKtEEEESI_EEEEESK_NSA_INS5_IJNSE_INSF_ItEEEESM_EEEEEPS7_SP_SP_NSC_11hip_rocprim7__merge17predicate_wrapperIttNSC_7greaterItEEEEEE10hipError_tPvRmT0_T1_T2_T3_T4_T5_mmT6_P12ihipStream_tbEUlT_E0_NS1_11comp_targetILNS1_3genE10ELNS1_11target_archE1201ELNS1_3gpuE5ELNS1_3repE0EEENS1_30default_config_static_selectorELNS0_4arch9wavefront6targetE0EEEvS10_
                                        ; -- End function
	.set _ZN7rocprim17ROCPRIM_400000_NS6detail17trampoline_kernelINS0_14default_configENS1_21merge_config_selectorINS0_5tupleIJttEEENS0_10empty_typeEEEZNS1_10merge_implIS3_NS0_12zip_iteratorINS5_IJN6thrust23THRUST_200600_302600_NS6detail15normal_iteratorINSC_10device_ptrIKtEEEESI_EEEEESK_NSA_INS5_IJNSE_INSF_ItEEEESM_EEEEEPS7_SP_SP_NSC_11hip_rocprim7__merge17predicate_wrapperIttNSC_7greaterItEEEEEE10hipError_tPvRmT0_T1_T2_T3_T4_T5_mmT6_P12ihipStream_tbEUlT_E0_NS1_11comp_targetILNS1_3genE10ELNS1_11target_archE1201ELNS1_3gpuE5ELNS1_3repE0EEENS1_30default_config_static_selectorELNS0_4arch9wavefront6targetE0EEEvS10_.num_vgpr, 0
	.set _ZN7rocprim17ROCPRIM_400000_NS6detail17trampoline_kernelINS0_14default_configENS1_21merge_config_selectorINS0_5tupleIJttEEENS0_10empty_typeEEEZNS1_10merge_implIS3_NS0_12zip_iteratorINS5_IJN6thrust23THRUST_200600_302600_NS6detail15normal_iteratorINSC_10device_ptrIKtEEEESI_EEEEESK_NSA_INS5_IJNSE_INSF_ItEEEESM_EEEEEPS7_SP_SP_NSC_11hip_rocprim7__merge17predicate_wrapperIttNSC_7greaterItEEEEEE10hipError_tPvRmT0_T1_T2_T3_T4_T5_mmT6_P12ihipStream_tbEUlT_E0_NS1_11comp_targetILNS1_3genE10ELNS1_11target_archE1201ELNS1_3gpuE5ELNS1_3repE0EEENS1_30default_config_static_selectorELNS0_4arch9wavefront6targetE0EEEvS10_.num_agpr, 0
	.set _ZN7rocprim17ROCPRIM_400000_NS6detail17trampoline_kernelINS0_14default_configENS1_21merge_config_selectorINS0_5tupleIJttEEENS0_10empty_typeEEEZNS1_10merge_implIS3_NS0_12zip_iteratorINS5_IJN6thrust23THRUST_200600_302600_NS6detail15normal_iteratorINSC_10device_ptrIKtEEEESI_EEEEESK_NSA_INS5_IJNSE_INSF_ItEEEESM_EEEEEPS7_SP_SP_NSC_11hip_rocprim7__merge17predicate_wrapperIttNSC_7greaterItEEEEEE10hipError_tPvRmT0_T1_T2_T3_T4_T5_mmT6_P12ihipStream_tbEUlT_E0_NS1_11comp_targetILNS1_3genE10ELNS1_11target_archE1201ELNS1_3gpuE5ELNS1_3repE0EEENS1_30default_config_static_selectorELNS0_4arch9wavefront6targetE0EEEvS10_.numbered_sgpr, 0
	.set _ZN7rocprim17ROCPRIM_400000_NS6detail17trampoline_kernelINS0_14default_configENS1_21merge_config_selectorINS0_5tupleIJttEEENS0_10empty_typeEEEZNS1_10merge_implIS3_NS0_12zip_iteratorINS5_IJN6thrust23THRUST_200600_302600_NS6detail15normal_iteratorINSC_10device_ptrIKtEEEESI_EEEEESK_NSA_INS5_IJNSE_INSF_ItEEEESM_EEEEEPS7_SP_SP_NSC_11hip_rocprim7__merge17predicate_wrapperIttNSC_7greaterItEEEEEE10hipError_tPvRmT0_T1_T2_T3_T4_T5_mmT6_P12ihipStream_tbEUlT_E0_NS1_11comp_targetILNS1_3genE10ELNS1_11target_archE1201ELNS1_3gpuE5ELNS1_3repE0EEENS1_30default_config_static_selectorELNS0_4arch9wavefront6targetE0EEEvS10_.num_named_barrier, 0
	.set _ZN7rocprim17ROCPRIM_400000_NS6detail17trampoline_kernelINS0_14default_configENS1_21merge_config_selectorINS0_5tupleIJttEEENS0_10empty_typeEEEZNS1_10merge_implIS3_NS0_12zip_iteratorINS5_IJN6thrust23THRUST_200600_302600_NS6detail15normal_iteratorINSC_10device_ptrIKtEEEESI_EEEEESK_NSA_INS5_IJNSE_INSF_ItEEEESM_EEEEEPS7_SP_SP_NSC_11hip_rocprim7__merge17predicate_wrapperIttNSC_7greaterItEEEEEE10hipError_tPvRmT0_T1_T2_T3_T4_T5_mmT6_P12ihipStream_tbEUlT_E0_NS1_11comp_targetILNS1_3genE10ELNS1_11target_archE1201ELNS1_3gpuE5ELNS1_3repE0EEENS1_30default_config_static_selectorELNS0_4arch9wavefront6targetE0EEEvS10_.private_seg_size, 0
	.set _ZN7rocprim17ROCPRIM_400000_NS6detail17trampoline_kernelINS0_14default_configENS1_21merge_config_selectorINS0_5tupleIJttEEENS0_10empty_typeEEEZNS1_10merge_implIS3_NS0_12zip_iteratorINS5_IJN6thrust23THRUST_200600_302600_NS6detail15normal_iteratorINSC_10device_ptrIKtEEEESI_EEEEESK_NSA_INS5_IJNSE_INSF_ItEEEESM_EEEEEPS7_SP_SP_NSC_11hip_rocprim7__merge17predicate_wrapperIttNSC_7greaterItEEEEEE10hipError_tPvRmT0_T1_T2_T3_T4_T5_mmT6_P12ihipStream_tbEUlT_E0_NS1_11comp_targetILNS1_3genE10ELNS1_11target_archE1201ELNS1_3gpuE5ELNS1_3repE0EEENS1_30default_config_static_selectorELNS0_4arch9wavefront6targetE0EEEvS10_.uses_vcc, 0
	.set _ZN7rocprim17ROCPRIM_400000_NS6detail17trampoline_kernelINS0_14default_configENS1_21merge_config_selectorINS0_5tupleIJttEEENS0_10empty_typeEEEZNS1_10merge_implIS3_NS0_12zip_iteratorINS5_IJN6thrust23THRUST_200600_302600_NS6detail15normal_iteratorINSC_10device_ptrIKtEEEESI_EEEEESK_NSA_INS5_IJNSE_INSF_ItEEEESM_EEEEEPS7_SP_SP_NSC_11hip_rocprim7__merge17predicate_wrapperIttNSC_7greaterItEEEEEE10hipError_tPvRmT0_T1_T2_T3_T4_T5_mmT6_P12ihipStream_tbEUlT_E0_NS1_11comp_targetILNS1_3genE10ELNS1_11target_archE1201ELNS1_3gpuE5ELNS1_3repE0EEENS1_30default_config_static_selectorELNS0_4arch9wavefront6targetE0EEEvS10_.uses_flat_scratch, 0
	.set _ZN7rocprim17ROCPRIM_400000_NS6detail17trampoline_kernelINS0_14default_configENS1_21merge_config_selectorINS0_5tupleIJttEEENS0_10empty_typeEEEZNS1_10merge_implIS3_NS0_12zip_iteratorINS5_IJN6thrust23THRUST_200600_302600_NS6detail15normal_iteratorINSC_10device_ptrIKtEEEESI_EEEEESK_NSA_INS5_IJNSE_INSF_ItEEEESM_EEEEEPS7_SP_SP_NSC_11hip_rocprim7__merge17predicate_wrapperIttNSC_7greaterItEEEEEE10hipError_tPvRmT0_T1_T2_T3_T4_T5_mmT6_P12ihipStream_tbEUlT_E0_NS1_11comp_targetILNS1_3genE10ELNS1_11target_archE1201ELNS1_3gpuE5ELNS1_3repE0EEENS1_30default_config_static_selectorELNS0_4arch9wavefront6targetE0EEEvS10_.has_dyn_sized_stack, 0
	.set _ZN7rocprim17ROCPRIM_400000_NS6detail17trampoline_kernelINS0_14default_configENS1_21merge_config_selectorINS0_5tupleIJttEEENS0_10empty_typeEEEZNS1_10merge_implIS3_NS0_12zip_iteratorINS5_IJN6thrust23THRUST_200600_302600_NS6detail15normal_iteratorINSC_10device_ptrIKtEEEESI_EEEEESK_NSA_INS5_IJNSE_INSF_ItEEEESM_EEEEEPS7_SP_SP_NSC_11hip_rocprim7__merge17predicate_wrapperIttNSC_7greaterItEEEEEE10hipError_tPvRmT0_T1_T2_T3_T4_T5_mmT6_P12ihipStream_tbEUlT_E0_NS1_11comp_targetILNS1_3genE10ELNS1_11target_archE1201ELNS1_3gpuE5ELNS1_3repE0EEENS1_30default_config_static_selectorELNS0_4arch9wavefront6targetE0EEEvS10_.has_recursion, 0
	.set _ZN7rocprim17ROCPRIM_400000_NS6detail17trampoline_kernelINS0_14default_configENS1_21merge_config_selectorINS0_5tupleIJttEEENS0_10empty_typeEEEZNS1_10merge_implIS3_NS0_12zip_iteratorINS5_IJN6thrust23THRUST_200600_302600_NS6detail15normal_iteratorINSC_10device_ptrIKtEEEESI_EEEEESK_NSA_INS5_IJNSE_INSF_ItEEEESM_EEEEEPS7_SP_SP_NSC_11hip_rocprim7__merge17predicate_wrapperIttNSC_7greaterItEEEEEE10hipError_tPvRmT0_T1_T2_T3_T4_T5_mmT6_P12ihipStream_tbEUlT_E0_NS1_11comp_targetILNS1_3genE10ELNS1_11target_archE1201ELNS1_3gpuE5ELNS1_3repE0EEENS1_30default_config_static_selectorELNS0_4arch9wavefront6targetE0EEEvS10_.has_indirect_call, 0
	.section	.AMDGPU.csdata,"",@progbits
; Kernel info:
; codeLenInByte = 0
; TotalNumSgprs: 0
; NumVgprs: 0
; ScratchSize: 0
; MemoryBound: 0
; FloatMode: 240
; IeeeMode: 1
; LDSByteSize: 0 bytes/workgroup (compile time only)
; SGPRBlocks: 0
; VGPRBlocks: 0
; NumSGPRsForWavesPerEU: 1
; NumVGPRsForWavesPerEU: 1
; Occupancy: 16
; WaveLimiterHint : 0
; COMPUTE_PGM_RSRC2:SCRATCH_EN: 0
; COMPUTE_PGM_RSRC2:USER_SGPR: 6
; COMPUTE_PGM_RSRC2:TRAP_HANDLER: 0
; COMPUTE_PGM_RSRC2:TGID_X_EN: 1
; COMPUTE_PGM_RSRC2:TGID_Y_EN: 0
; COMPUTE_PGM_RSRC2:TGID_Z_EN: 0
; COMPUTE_PGM_RSRC2:TIDIG_COMP_CNT: 0
	.section	.text._ZN7rocprim17ROCPRIM_400000_NS6detail17trampoline_kernelINS0_14default_configENS1_21merge_config_selectorINS0_5tupleIJttEEENS0_10empty_typeEEEZNS1_10merge_implIS3_NS0_12zip_iteratorINS5_IJN6thrust23THRUST_200600_302600_NS6detail15normal_iteratorINSC_10device_ptrIKtEEEESI_EEEEESK_NSA_INS5_IJNSE_INSF_ItEEEESM_EEEEEPS7_SP_SP_NSC_11hip_rocprim7__merge17predicate_wrapperIttNSC_7greaterItEEEEEE10hipError_tPvRmT0_T1_T2_T3_T4_T5_mmT6_P12ihipStream_tbEUlT_E0_NS1_11comp_targetILNS1_3genE10ELNS1_11target_archE1200ELNS1_3gpuE4ELNS1_3repE0EEENS1_30default_config_static_selectorELNS0_4arch9wavefront6targetE0EEEvS10_,"axG",@progbits,_ZN7rocprim17ROCPRIM_400000_NS6detail17trampoline_kernelINS0_14default_configENS1_21merge_config_selectorINS0_5tupleIJttEEENS0_10empty_typeEEEZNS1_10merge_implIS3_NS0_12zip_iteratorINS5_IJN6thrust23THRUST_200600_302600_NS6detail15normal_iteratorINSC_10device_ptrIKtEEEESI_EEEEESK_NSA_INS5_IJNSE_INSF_ItEEEESM_EEEEEPS7_SP_SP_NSC_11hip_rocprim7__merge17predicate_wrapperIttNSC_7greaterItEEEEEE10hipError_tPvRmT0_T1_T2_T3_T4_T5_mmT6_P12ihipStream_tbEUlT_E0_NS1_11comp_targetILNS1_3genE10ELNS1_11target_archE1200ELNS1_3gpuE4ELNS1_3repE0EEENS1_30default_config_static_selectorELNS0_4arch9wavefront6targetE0EEEvS10_,comdat
	.protected	_ZN7rocprim17ROCPRIM_400000_NS6detail17trampoline_kernelINS0_14default_configENS1_21merge_config_selectorINS0_5tupleIJttEEENS0_10empty_typeEEEZNS1_10merge_implIS3_NS0_12zip_iteratorINS5_IJN6thrust23THRUST_200600_302600_NS6detail15normal_iteratorINSC_10device_ptrIKtEEEESI_EEEEESK_NSA_INS5_IJNSE_INSF_ItEEEESM_EEEEEPS7_SP_SP_NSC_11hip_rocprim7__merge17predicate_wrapperIttNSC_7greaterItEEEEEE10hipError_tPvRmT0_T1_T2_T3_T4_T5_mmT6_P12ihipStream_tbEUlT_E0_NS1_11comp_targetILNS1_3genE10ELNS1_11target_archE1200ELNS1_3gpuE4ELNS1_3repE0EEENS1_30default_config_static_selectorELNS0_4arch9wavefront6targetE0EEEvS10_ ; -- Begin function _ZN7rocprim17ROCPRIM_400000_NS6detail17trampoline_kernelINS0_14default_configENS1_21merge_config_selectorINS0_5tupleIJttEEENS0_10empty_typeEEEZNS1_10merge_implIS3_NS0_12zip_iteratorINS5_IJN6thrust23THRUST_200600_302600_NS6detail15normal_iteratorINSC_10device_ptrIKtEEEESI_EEEEESK_NSA_INS5_IJNSE_INSF_ItEEEESM_EEEEEPS7_SP_SP_NSC_11hip_rocprim7__merge17predicate_wrapperIttNSC_7greaterItEEEEEE10hipError_tPvRmT0_T1_T2_T3_T4_T5_mmT6_P12ihipStream_tbEUlT_E0_NS1_11comp_targetILNS1_3genE10ELNS1_11target_archE1200ELNS1_3gpuE4ELNS1_3repE0EEENS1_30default_config_static_selectorELNS0_4arch9wavefront6targetE0EEEvS10_
	.globl	_ZN7rocprim17ROCPRIM_400000_NS6detail17trampoline_kernelINS0_14default_configENS1_21merge_config_selectorINS0_5tupleIJttEEENS0_10empty_typeEEEZNS1_10merge_implIS3_NS0_12zip_iteratorINS5_IJN6thrust23THRUST_200600_302600_NS6detail15normal_iteratorINSC_10device_ptrIKtEEEESI_EEEEESK_NSA_INS5_IJNSE_INSF_ItEEEESM_EEEEEPS7_SP_SP_NSC_11hip_rocprim7__merge17predicate_wrapperIttNSC_7greaterItEEEEEE10hipError_tPvRmT0_T1_T2_T3_T4_T5_mmT6_P12ihipStream_tbEUlT_E0_NS1_11comp_targetILNS1_3genE10ELNS1_11target_archE1200ELNS1_3gpuE4ELNS1_3repE0EEENS1_30default_config_static_selectorELNS0_4arch9wavefront6targetE0EEEvS10_
	.p2align	8
	.type	_ZN7rocprim17ROCPRIM_400000_NS6detail17trampoline_kernelINS0_14default_configENS1_21merge_config_selectorINS0_5tupleIJttEEENS0_10empty_typeEEEZNS1_10merge_implIS3_NS0_12zip_iteratorINS5_IJN6thrust23THRUST_200600_302600_NS6detail15normal_iteratorINSC_10device_ptrIKtEEEESI_EEEEESK_NSA_INS5_IJNSE_INSF_ItEEEESM_EEEEEPS7_SP_SP_NSC_11hip_rocprim7__merge17predicate_wrapperIttNSC_7greaterItEEEEEE10hipError_tPvRmT0_T1_T2_T3_T4_T5_mmT6_P12ihipStream_tbEUlT_E0_NS1_11comp_targetILNS1_3genE10ELNS1_11target_archE1200ELNS1_3gpuE4ELNS1_3repE0EEENS1_30default_config_static_selectorELNS0_4arch9wavefront6targetE0EEEvS10_,@function
_ZN7rocprim17ROCPRIM_400000_NS6detail17trampoline_kernelINS0_14default_configENS1_21merge_config_selectorINS0_5tupleIJttEEENS0_10empty_typeEEEZNS1_10merge_implIS3_NS0_12zip_iteratorINS5_IJN6thrust23THRUST_200600_302600_NS6detail15normal_iteratorINSC_10device_ptrIKtEEEESI_EEEEESK_NSA_INS5_IJNSE_INSF_ItEEEESM_EEEEEPS7_SP_SP_NSC_11hip_rocprim7__merge17predicate_wrapperIttNSC_7greaterItEEEEEE10hipError_tPvRmT0_T1_T2_T3_T4_T5_mmT6_P12ihipStream_tbEUlT_E0_NS1_11comp_targetILNS1_3genE10ELNS1_11target_archE1200ELNS1_3gpuE4ELNS1_3repE0EEENS1_30default_config_static_selectorELNS0_4arch9wavefront6targetE0EEEvS10_: ; @_ZN7rocprim17ROCPRIM_400000_NS6detail17trampoline_kernelINS0_14default_configENS1_21merge_config_selectorINS0_5tupleIJttEEENS0_10empty_typeEEEZNS1_10merge_implIS3_NS0_12zip_iteratorINS5_IJN6thrust23THRUST_200600_302600_NS6detail15normal_iteratorINSC_10device_ptrIKtEEEESI_EEEEESK_NSA_INS5_IJNSE_INSF_ItEEEESM_EEEEEPS7_SP_SP_NSC_11hip_rocprim7__merge17predicate_wrapperIttNSC_7greaterItEEEEEE10hipError_tPvRmT0_T1_T2_T3_T4_T5_mmT6_P12ihipStream_tbEUlT_E0_NS1_11comp_targetILNS1_3genE10ELNS1_11target_archE1200ELNS1_3gpuE4ELNS1_3repE0EEENS1_30default_config_static_selectorELNS0_4arch9wavefront6targetE0EEEvS10_
; %bb.0:
	.section	.rodata,"a",@progbits
	.p2align	6, 0x0
	.amdhsa_kernel _ZN7rocprim17ROCPRIM_400000_NS6detail17trampoline_kernelINS0_14default_configENS1_21merge_config_selectorINS0_5tupleIJttEEENS0_10empty_typeEEEZNS1_10merge_implIS3_NS0_12zip_iteratorINS5_IJN6thrust23THRUST_200600_302600_NS6detail15normal_iteratorINSC_10device_ptrIKtEEEESI_EEEEESK_NSA_INS5_IJNSE_INSF_ItEEEESM_EEEEEPS7_SP_SP_NSC_11hip_rocprim7__merge17predicate_wrapperIttNSC_7greaterItEEEEEE10hipError_tPvRmT0_T1_T2_T3_T4_T5_mmT6_P12ihipStream_tbEUlT_E0_NS1_11comp_targetILNS1_3genE10ELNS1_11target_archE1200ELNS1_3gpuE4ELNS1_3repE0EEENS1_30default_config_static_selectorELNS0_4arch9wavefront6targetE0EEEvS10_
		.amdhsa_group_segment_fixed_size 0
		.amdhsa_private_segment_fixed_size 0
		.amdhsa_kernarg_size 112
		.amdhsa_user_sgpr_count 6
		.amdhsa_user_sgpr_private_segment_buffer 1
		.amdhsa_user_sgpr_dispatch_ptr 0
		.amdhsa_user_sgpr_queue_ptr 0
		.amdhsa_user_sgpr_kernarg_segment_ptr 1
		.amdhsa_user_sgpr_dispatch_id 0
		.amdhsa_user_sgpr_flat_scratch_init 0
		.amdhsa_user_sgpr_private_segment_size 0
		.amdhsa_wavefront_size32 1
		.amdhsa_uses_dynamic_stack 0
		.amdhsa_system_sgpr_private_segment_wavefront_offset 0
		.amdhsa_system_sgpr_workgroup_id_x 1
		.amdhsa_system_sgpr_workgroup_id_y 0
		.amdhsa_system_sgpr_workgroup_id_z 0
		.amdhsa_system_sgpr_workgroup_info 0
		.amdhsa_system_vgpr_workitem_id 0
		.amdhsa_next_free_vgpr 1
		.amdhsa_next_free_sgpr 1
		.amdhsa_reserve_vcc 0
		.amdhsa_reserve_flat_scratch 0
		.amdhsa_float_round_mode_32 0
		.amdhsa_float_round_mode_16_64 0
		.amdhsa_float_denorm_mode_32 3
		.amdhsa_float_denorm_mode_16_64 3
		.amdhsa_dx10_clamp 1
		.amdhsa_ieee_mode 1
		.amdhsa_fp16_overflow 0
		.amdhsa_workgroup_processor_mode 1
		.amdhsa_memory_ordered 1
		.amdhsa_forward_progress 1
		.amdhsa_shared_vgpr_count 0
		.amdhsa_exception_fp_ieee_invalid_op 0
		.amdhsa_exception_fp_denorm_src 0
		.amdhsa_exception_fp_ieee_div_zero 0
		.amdhsa_exception_fp_ieee_overflow 0
		.amdhsa_exception_fp_ieee_underflow 0
		.amdhsa_exception_fp_ieee_inexact 0
		.amdhsa_exception_int_div_zero 0
	.end_amdhsa_kernel
	.section	.text._ZN7rocprim17ROCPRIM_400000_NS6detail17trampoline_kernelINS0_14default_configENS1_21merge_config_selectorINS0_5tupleIJttEEENS0_10empty_typeEEEZNS1_10merge_implIS3_NS0_12zip_iteratorINS5_IJN6thrust23THRUST_200600_302600_NS6detail15normal_iteratorINSC_10device_ptrIKtEEEESI_EEEEESK_NSA_INS5_IJNSE_INSF_ItEEEESM_EEEEEPS7_SP_SP_NSC_11hip_rocprim7__merge17predicate_wrapperIttNSC_7greaterItEEEEEE10hipError_tPvRmT0_T1_T2_T3_T4_T5_mmT6_P12ihipStream_tbEUlT_E0_NS1_11comp_targetILNS1_3genE10ELNS1_11target_archE1200ELNS1_3gpuE4ELNS1_3repE0EEENS1_30default_config_static_selectorELNS0_4arch9wavefront6targetE0EEEvS10_,"axG",@progbits,_ZN7rocprim17ROCPRIM_400000_NS6detail17trampoline_kernelINS0_14default_configENS1_21merge_config_selectorINS0_5tupleIJttEEENS0_10empty_typeEEEZNS1_10merge_implIS3_NS0_12zip_iteratorINS5_IJN6thrust23THRUST_200600_302600_NS6detail15normal_iteratorINSC_10device_ptrIKtEEEESI_EEEEESK_NSA_INS5_IJNSE_INSF_ItEEEESM_EEEEEPS7_SP_SP_NSC_11hip_rocprim7__merge17predicate_wrapperIttNSC_7greaterItEEEEEE10hipError_tPvRmT0_T1_T2_T3_T4_T5_mmT6_P12ihipStream_tbEUlT_E0_NS1_11comp_targetILNS1_3genE10ELNS1_11target_archE1200ELNS1_3gpuE4ELNS1_3repE0EEENS1_30default_config_static_selectorELNS0_4arch9wavefront6targetE0EEEvS10_,comdat
.Lfunc_end404:
	.size	_ZN7rocprim17ROCPRIM_400000_NS6detail17trampoline_kernelINS0_14default_configENS1_21merge_config_selectorINS0_5tupleIJttEEENS0_10empty_typeEEEZNS1_10merge_implIS3_NS0_12zip_iteratorINS5_IJN6thrust23THRUST_200600_302600_NS6detail15normal_iteratorINSC_10device_ptrIKtEEEESI_EEEEESK_NSA_INS5_IJNSE_INSF_ItEEEESM_EEEEEPS7_SP_SP_NSC_11hip_rocprim7__merge17predicate_wrapperIttNSC_7greaterItEEEEEE10hipError_tPvRmT0_T1_T2_T3_T4_T5_mmT6_P12ihipStream_tbEUlT_E0_NS1_11comp_targetILNS1_3genE10ELNS1_11target_archE1200ELNS1_3gpuE4ELNS1_3repE0EEENS1_30default_config_static_selectorELNS0_4arch9wavefront6targetE0EEEvS10_, .Lfunc_end404-_ZN7rocprim17ROCPRIM_400000_NS6detail17trampoline_kernelINS0_14default_configENS1_21merge_config_selectorINS0_5tupleIJttEEENS0_10empty_typeEEEZNS1_10merge_implIS3_NS0_12zip_iteratorINS5_IJN6thrust23THRUST_200600_302600_NS6detail15normal_iteratorINSC_10device_ptrIKtEEEESI_EEEEESK_NSA_INS5_IJNSE_INSF_ItEEEESM_EEEEEPS7_SP_SP_NSC_11hip_rocprim7__merge17predicate_wrapperIttNSC_7greaterItEEEEEE10hipError_tPvRmT0_T1_T2_T3_T4_T5_mmT6_P12ihipStream_tbEUlT_E0_NS1_11comp_targetILNS1_3genE10ELNS1_11target_archE1200ELNS1_3gpuE4ELNS1_3repE0EEENS1_30default_config_static_selectorELNS0_4arch9wavefront6targetE0EEEvS10_
                                        ; -- End function
	.set _ZN7rocprim17ROCPRIM_400000_NS6detail17trampoline_kernelINS0_14default_configENS1_21merge_config_selectorINS0_5tupleIJttEEENS0_10empty_typeEEEZNS1_10merge_implIS3_NS0_12zip_iteratorINS5_IJN6thrust23THRUST_200600_302600_NS6detail15normal_iteratorINSC_10device_ptrIKtEEEESI_EEEEESK_NSA_INS5_IJNSE_INSF_ItEEEESM_EEEEEPS7_SP_SP_NSC_11hip_rocprim7__merge17predicate_wrapperIttNSC_7greaterItEEEEEE10hipError_tPvRmT0_T1_T2_T3_T4_T5_mmT6_P12ihipStream_tbEUlT_E0_NS1_11comp_targetILNS1_3genE10ELNS1_11target_archE1200ELNS1_3gpuE4ELNS1_3repE0EEENS1_30default_config_static_selectorELNS0_4arch9wavefront6targetE0EEEvS10_.num_vgpr, 0
	.set _ZN7rocprim17ROCPRIM_400000_NS6detail17trampoline_kernelINS0_14default_configENS1_21merge_config_selectorINS0_5tupleIJttEEENS0_10empty_typeEEEZNS1_10merge_implIS3_NS0_12zip_iteratorINS5_IJN6thrust23THRUST_200600_302600_NS6detail15normal_iteratorINSC_10device_ptrIKtEEEESI_EEEEESK_NSA_INS5_IJNSE_INSF_ItEEEESM_EEEEEPS7_SP_SP_NSC_11hip_rocprim7__merge17predicate_wrapperIttNSC_7greaterItEEEEEE10hipError_tPvRmT0_T1_T2_T3_T4_T5_mmT6_P12ihipStream_tbEUlT_E0_NS1_11comp_targetILNS1_3genE10ELNS1_11target_archE1200ELNS1_3gpuE4ELNS1_3repE0EEENS1_30default_config_static_selectorELNS0_4arch9wavefront6targetE0EEEvS10_.num_agpr, 0
	.set _ZN7rocprim17ROCPRIM_400000_NS6detail17trampoline_kernelINS0_14default_configENS1_21merge_config_selectorINS0_5tupleIJttEEENS0_10empty_typeEEEZNS1_10merge_implIS3_NS0_12zip_iteratorINS5_IJN6thrust23THRUST_200600_302600_NS6detail15normal_iteratorINSC_10device_ptrIKtEEEESI_EEEEESK_NSA_INS5_IJNSE_INSF_ItEEEESM_EEEEEPS7_SP_SP_NSC_11hip_rocprim7__merge17predicate_wrapperIttNSC_7greaterItEEEEEE10hipError_tPvRmT0_T1_T2_T3_T4_T5_mmT6_P12ihipStream_tbEUlT_E0_NS1_11comp_targetILNS1_3genE10ELNS1_11target_archE1200ELNS1_3gpuE4ELNS1_3repE0EEENS1_30default_config_static_selectorELNS0_4arch9wavefront6targetE0EEEvS10_.numbered_sgpr, 0
	.set _ZN7rocprim17ROCPRIM_400000_NS6detail17trampoline_kernelINS0_14default_configENS1_21merge_config_selectorINS0_5tupleIJttEEENS0_10empty_typeEEEZNS1_10merge_implIS3_NS0_12zip_iteratorINS5_IJN6thrust23THRUST_200600_302600_NS6detail15normal_iteratorINSC_10device_ptrIKtEEEESI_EEEEESK_NSA_INS5_IJNSE_INSF_ItEEEESM_EEEEEPS7_SP_SP_NSC_11hip_rocprim7__merge17predicate_wrapperIttNSC_7greaterItEEEEEE10hipError_tPvRmT0_T1_T2_T3_T4_T5_mmT6_P12ihipStream_tbEUlT_E0_NS1_11comp_targetILNS1_3genE10ELNS1_11target_archE1200ELNS1_3gpuE4ELNS1_3repE0EEENS1_30default_config_static_selectorELNS0_4arch9wavefront6targetE0EEEvS10_.num_named_barrier, 0
	.set _ZN7rocprim17ROCPRIM_400000_NS6detail17trampoline_kernelINS0_14default_configENS1_21merge_config_selectorINS0_5tupleIJttEEENS0_10empty_typeEEEZNS1_10merge_implIS3_NS0_12zip_iteratorINS5_IJN6thrust23THRUST_200600_302600_NS6detail15normal_iteratorINSC_10device_ptrIKtEEEESI_EEEEESK_NSA_INS5_IJNSE_INSF_ItEEEESM_EEEEEPS7_SP_SP_NSC_11hip_rocprim7__merge17predicate_wrapperIttNSC_7greaterItEEEEEE10hipError_tPvRmT0_T1_T2_T3_T4_T5_mmT6_P12ihipStream_tbEUlT_E0_NS1_11comp_targetILNS1_3genE10ELNS1_11target_archE1200ELNS1_3gpuE4ELNS1_3repE0EEENS1_30default_config_static_selectorELNS0_4arch9wavefront6targetE0EEEvS10_.private_seg_size, 0
	.set _ZN7rocprim17ROCPRIM_400000_NS6detail17trampoline_kernelINS0_14default_configENS1_21merge_config_selectorINS0_5tupleIJttEEENS0_10empty_typeEEEZNS1_10merge_implIS3_NS0_12zip_iteratorINS5_IJN6thrust23THRUST_200600_302600_NS6detail15normal_iteratorINSC_10device_ptrIKtEEEESI_EEEEESK_NSA_INS5_IJNSE_INSF_ItEEEESM_EEEEEPS7_SP_SP_NSC_11hip_rocprim7__merge17predicate_wrapperIttNSC_7greaterItEEEEEE10hipError_tPvRmT0_T1_T2_T3_T4_T5_mmT6_P12ihipStream_tbEUlT_E0_NS1_11comp_targetILNS1_3genE10ELNS1_11target_archE1200ELNS1_3gpuE4ELNS1_3repE0EEENS1_30default_config_static_selectorELNS0_4arch9wavefront6targetE0EEEvS10_.uses_vcc, 0
	.set _ZN7rocprim17ROCPRIM_400000_NS6detail17trampoline_kernelINS0_14default_configENS1_21merge_config_selectorINS0_5tupleIJttEEENS0_10empty_typeEEEZNS1_10merge_implIS3_NS0_12zip_iteratorINS5_IJN6thrust23THRUST_200600_302600_NS6detail15normal_iteratorINSC_10device_ptrIKtEEEESI_EEEEESK_NSA_INS5_IJNSE_INSF_ItEEEESM_EEEEEPS7_SP_SP_NSC_11hip_rocprim7__merge17predicate_wrapperIttNSC_7greaterItEEEEEE10hipError_tPvRmT0_T1_T2_T3_T4_T5_mmT6_P12ihipStream_tbEUlT_E0_NS1_11comp_targetILNS1_3genE10ELNS1_11target_archE1200ELNS1_3gpuE4ELNS1_3repE0EEENS1_30default_config_static_selectorELNS0_4arch9wavefront6targetE0EEEvS10_.uses_flat_scratch, 0
	.set _ZN7rocprim17ROCPRIM_400000_NS6detail17trampoline_kernelINS0_14default_configENS1_21merge_config_selectorINS0_5tupleIJttEEENS0_10empty_typeEEEZNS1_10merge_implIS3_NS0_12zip_iteratorINS5_IJN6thrust23THRUST_200600_302600_NS6detail15normal_iteratorINSC_10device_ptrIKtEEEESI_EEEEESK_NSA_INS5_IJNSE_INSF_ItEEEESM_EEEEEPS7_SP_SP_NSC_11hip_rocprim7__merge17predicate_wrapperIttNSC_7greaterItEEEEEE10hipError_tPvRmT0_T1_T2_T3_T4_T5_mmT6_P12ihipStream_tbEUlT_E0_NS1_11comp_targetILNS1_3genE10ELNS1_11target_archE1200ELNS1_3gpuE4ELNS1_3repE0EEENS1_30default_config_static_selectorELNS0_4arch9wavefront6targetE0EEEvS10_.has_dyn_sized_stack, 0
	.set _ZN7rocprim17ROCPRIM_400000_NS6detail17trampoline_kernelINS0_14default_configENS1_21merge_config_selectorINS0_5tupleIJttEEENS0_10empty_typeEEEZNS1_10merge_implIS3_NS0_12zip_iteratorINS5_IJN6thrust23THRUST_200600_302600_NS6detail15normal_iteratorINSC_10device_ptrIKtEEEESI_EEEEESK_NSA_INS5_IJNSE_INSF_ItEEEESM_EEEEEPS7_SP_SP_NSC_11hip_rocprim7__merge17predicate_wrapperIttNSC_7greaterItEEEEEE10hipError_tPvRmT0_T1_T2_T3_T4_T5_mmT6_P12ihipStream_tbEUlT_E0_NS1_11comp_targetILNS1_3genE10ELNS1_11target_archE1200ELNS1_3gpuE4ELNS1_3repE0EEENS1_30default_config_static_selectorELNS0_4arch9wavefront6targetE0EEEvS10_.has_recursion, 0
	.set _ZN7rocprim17ROCPRIM_400000_NS6detail17trampoline_kernelINS0_14default_configENS1_21merge_config_selectorINS0_5tupleIJttEEENS0_10empty_typeEEEZNS1_10merge_implIS3_NS0_12zip_iteratorINS5_IJN6thrust23THRUST_200600_302600_NS6detail15normal_iteratorINSC_10device_ptrIKtEEEESI_EEEEESK_NSA_INS5_IJNSE_INSF_ItEEEESM_EEEEEPS7_SP_SP_NSC_11hip_rocprim7__merge17predicate_wrapperIttNSC_7greaterItEEEEEE10hipError_tPvRmT0_T1_T2_T3_T4_T5_mmT6_P12ihipStream_tbEUlT_E0_NS1_11comp_targetILNS1_3genE10ELNS1_11target_archE1200ELNS1_3gpuE4ELNS1_3repE0EEENS1_30default_config_static_selectorELNS0_4arch9wavefront6targetE0EEEvS10_.has_indirect_call, 0
	.section	.AMDGPU.csdata,"",@progbits
; Kernel info:
; codeLenInByte = 0
; TotalNumSgprs: 0
; NumVgprs: 0
; ScratchSize: 0
; MemoryBound: 0
; FloatMode: 240
; IeeeMode: 1
; LDSByteSize: 0 bytes/workgroup (compile time only)
; SGPRBlocks: 0
; VGPRBlocks: 0
; NumSGPRsForWavesPerEU: 1
; NumVGPRsForWavesPerEU: 1
; Occupancy: 16
; WaveLimiterHint : 0
; COMPUTE_PGM_RSRC2:SCRATCH_EN: 0
; COMPUTE_PGM_RSRC2:USER_SGPR: 6
; COMPUTE_PGM_RSRC2:TRAP_HANDLER: 0
; COMPUTE_PGM_RSRC2:TGID_X_EN: 1
; COMPUTE_PGM_RSRC2:TGID_Y_EN: 0
; COMPUTE_PGM_RSRC2:TGID_Z_EN: 0
; COMPUTE_PGM_RSRC2:TIDIG_COMP_CNT: 0
	.section	.text._ZN7rocprim17ROCPRIM_400000_NS6detail17trampoline_kernelINS0_14default_configENS1_21merge_config_selectorINS0_5tupleIJttEEENS0_10empty_typeEEEZNS1_10merge_implIS3_NS0_12zip_iteratorINS5_IJN6thrust23THRUST_200600_302600_NS6detail15normal_iteratorINSC_10device_ptrIKtEEEESI_EEEEESK_NSA_INS5_IJNSE_INSF_ItEEEESM_EEEEEPS7_SP_SP_NSC_11hip_rocprim7__merge17predicate_wrapperIttNSC_7greaterItEEEEEE10hipError_tPvRmT0_T1_T2_T3_T4_T5_mmT6_P12ihipStream_tbEUlT_E0_NS1_11comp_targetILNS1_3genE9ELNS1_11target_archE1100ELNS1_3gpuE3ELNS1_3repE0EEENS1_30default_config_static_selectorELNS0_4arch9wavefront6targetE0EEEvS10_,"axG",@progbits,_ZN7rocprim17ROCPRIM_400000_NS6detail17trampoline_kernelINS0_14default_configENS1_21merge_config_selectorINS0_5tupleIJttEEENS0_10empty_typeEEEZNS1_10merge_implIS3_NS0_12zip_iteratorINS5_IJN6thrust23THRUST_200600_302600_NS6detail15normal_iteratorINSC_10device_ptrIKtEEEESI_EEEEESK_NSA_INS5_IJNSE_INSF_ItEEEESM_EEEEEPS7_SP_SP_NSC_11hip_rocprim7__merge17predicate_wrapperIttNSC_7greaterItEEEEEE10hipError_tPvRmT0_T1_T2_T3_T4_T5_mmT6_P12ihipStream_tbEUlT_E0_NS1_11comp_targetILNS1_3genE9ELNS1_11target_archE1100ELNS1_3gpuE3ELNS1_3repE0EEENS1_30default_config_static_selectorELNS0_4arch9wavefront6targetE0EEEvS10_,comdat
	.protected	_ZN7rocprim17ROCPRIM_400000_NS6detail17trampoline_kernelINS0_14default_configENS1_21merge_config_selectorINS0_5tupleIJttEEENS0_10empty_typeEEEZNS1_10merge_implIS3_NS0_12zip_iteratorINS5_IJN6thrust23THRUST_200600_302600_NS6detail15normal_iteratorINSC_10device_ptrIKtEEEESI_EEEEESK_NSA_INS5_IJNSE_INSF_ItEEEESM_EEEEEPS7_SP_SP_NSC_11hip_rocprim7__merge17predicate_wrapperIttNSC_7greaterItEEEEEE10hipError_tPvRmT0_T1_T2_T3_T4_T5_mmT6_P12ihipStream_tbEUlT_E0_NS1_11comp_targetILNS1_3genE9ELNS1_11target_archE1100ELNS1_3gpuE3ELNS1_3repE0EEENS1_30default_config_static_selectorELNS0_4arch9wavefront6targetE0EEEvS10_ ; -- Begin function _ZN7rocprim17ROCPRIM_400000_NS6detail17trampoline_kernelINS0_14default_configENS1_21merge_config_selectorINS0_5tupleIJttEEENS0_10empty_typeEEEZNS1_10merge_implIS3_NS0_12zip_iteratorINS5_IJN6thrust23THRUST_200600_302600_NS6detail15normal_iteratorINSC_10device_ptrIKtEEEESI_EEEEESK_NSA_INS5_IJNSE_INSF_ItEEEESM_EEEEEPS7_SP_SP_NSC_11hip_rocprim7__merge17predicate_wrapperIttNSC_7greaterItEEEEEE10hipError_tPvRmT0_T1_T2_T3_T4_T5_mmT6_P12ihipStream_tbEUlT_E0_NS1_11comp_targetILNS1_3genE9ELNS1_11target_archE1100ELNS1_3gpuE3ELNS1_3repE0EEENS1_30default_config_static_selectorELNS0_4arch9wavefront6targetE0EEEvS10_
	.globl	_ZN7rocprim17ROCPRIM_400000_NS6detail17trampoline_kernelINS0_14default_configENS1_21merge_config_selectorINS0_5tupleIJttEEENS0_10empty_typeEEEZNS1_10merge_implIS3_NS0_12zip_iteratorINS5_IJN6thrust23THRUST_200600_302600_NS6detail15normal_iteratorINSC_10device_ptrIKtEEEESI_EEEEESK_NSA_INS5_IJNSE_INSF_ItEEEESM_EEEEEPS7_SP_SP_NSC_11hip_rocprim7__merge17predicate_wrapperIttNSC_7greaterItEEEEEE10hipError_tPvRmT0_T1_T2_T3_T4_T5_mmT6_P12ihipStream_tbEUlT_E0_NS1_11comp_targetILNS1_3genE9ELNS1_11target_archE1100ELNS1_3gpuE3ELNS1_3repE0EEENS1_30default_config_static_selectorELNS0_4arch9wavefront6targetE0EEEvS10_
	.p2align	8
	.type	_ZN7rocprim17ROCPRIM_400000_NS6detail17trampoline_kernelINS0_14default_configENS1_21merge_config_selectorINS0_5tupleIJttEEENS0_10empty_typeEEEZNS1_10merge_implIS3_NS0_12zip_iteratorINS5_IJN6thrust23THRUST_200600_302600_NS6detail15normal_iteratorINSC_10device_ptrIKtEEEESI_EEEEESK_NSA_INS5_IJNSE_INSF_ItEEEESM_EEEEEPS7_SP_SP_NSC_11hip_rocprim7__merge17predicate_wrapperIttNSC_7greaterItEEEEEE10hipError_tPvRmT0_T1_T2_T3_T4_T5_mmT6_P12ihipStream_tbEUlT_E0_NS1_11comp_targetILNS1_3genE9ELNS1_11target_archE1100ELNS1_3gpuE3ELNS1_3repE0EEENS1_30default_config_static_selectorELNS0_4arch9wavefront6targetE0EEEvS10_,@function
_ZN7rocprim17ROCPRIM_400000_NS6detail17trampoline_kernelINS0_14default_configENS1_21merge_config_selectorINS0_5tupleIJttEEENS0_10empty_typeEEEZNS1_10merge_implIS3_NS0_12zip_iteratorINS5_IJN6thrust23THRUST_200600_302600_NS6detail15normal_iteratorINSC_10device_ptrIKtEEEESI_EEEEESK_NSA_INS5_IJNSE_INSF_ItEEEESM_EEEEEPS7_SP_SP_NSC_11hip_rocprim7__merge17predicate_wrapperIttNSC_7greaterItEEEEEE10hipError_tPvRmT0_T1_T2_T3_T4_T5_mmT6_P12ihipStream_tbEUlT_E0_NS1_11comp_targetILNS1_3genE9ELNS1_11target_archE1100ELNS1_3gpuE3ELNS1_3repE0EEENS1_30default_config_static_selectorELNS0_4arch9wavefront6targetE0EEEvS10_: ; @_ZN7rocprim17ROCPRIM_400000_NS6detail17trampoline_kernelINS0_14default_configENS1_21merge_config_selectorINS0_5tupleIJttEEENS0_10empty_typeEEEZNS1_10merge_implIS3_NS0_12zip_iteratorINS5_IJN6thrust23THRUST_200600_302600_NS6detail15normal_iteratorINSC_10device_ptrIKtEEEESI_EEEEESK_NSA_INS5_IJNSE_INSF_ItEEEESM_EEEEEPS7_SP_SP_NSC_11hip_rocprim7__merge17predicate_wrapperIttNSC_7greaterItEEEEEE10hipError_tPvRmT0_T1_T2_T3_T4_T5_mmT6_P12ihipStream_tbEUlT_E0_NS1_11comp_targetILNS1_3genE9ELNS1_11target_archE1100ELNS1_3gpuE3ELNS1_3repE0EEENS1_30default_config_static_selectorELNS0_4arch9wavefront6targetE0EEEvS10_
; %bb.0:
	.section	.rodata,"a",@progbits
	.p2align	6, 0x0
	.amdhsa_kernel _ZN7rocprim17ROCPRIM_400000_NS6detail17trampoline_kernelINS0_14default_configENS1_21merge_config_selectorINS0_5tupleIJttEEENS0_10empty_typeEEEZNS1_10merge_implIS3_NS0_12zip_iteratorINS5_IJN6thrust23THRUST_200600_302600_NS6detail15normal_iteratorINSC_10device_ptrIKtEEEESI_EEEEESK_NSA_INS5_IJNSE_INSF_ItEEEESM_EEEEEPS7_SP_SP_NSC_11hip_rocprim7__merge17predicate_wrapperIttNSC_7greaterItEEEEEE10hipError_tPvRmT0_T1_T2_T3_T4_T5_mmT6_P12ihipStream_tbEUlT_E0_NS1_11comp_targetILNS1_3genE9ELNS1_11target_archE1100ELNS1_3gpuE3ELNS1_3repE0EEENS1_30default_config_static_selectorELNS0_4arch9wavefront6targetE0EEEvS10_
		.amdhsa_group_segment_fixed_size 0
		.amdhsa_private_segment_fixed_size 0
		.amdhsa_kernarg_size 112
		.amdhsa_user_sgpr_count 6
		.amdhsa_user_sgpr_private_segment_buffer 1
		.amdhsa_user_sgpr_dispatch_ptr 0
		.amdhsa_user_sgpr_queue_ptr 0
		.amdhsa_user_sgpr_kernarg_segment_ptr 1
		.amdhsa_user_sgpr_dispatch_id 0
		.amdhsa_user_sgpr_flat_scratch_init 0
		.amdhsa_user_sgpr_private_segment_size 0
		.amdhsa_wavefront_size32 1
		.amdhsa_uses_dynamic_stack 0
		.amdhsa_system_sgpr_private_segment_wavefront_offset 0
		.amdhsa_system_sgpr_workgroup_id_x 1
		.amdhsa_system_sgpr_workgroup_id_y 0
		.amdhsa_system_sgpr_workgroup_id_z 0
		.amdhsa_system_sgpr_workgroup_info 0
		.amdhsa_system_vgpr_workitem_id 0
		.amdhsa_next_free_vgpr 1
		.amdhsa_next_free_sgpr 1
		.amdhsa_reserve_vcc 0
		.amdhsa_reserve_flat_scratch 0
		.amdhsa_float_round_mode_32 0
		.amdhsa_float_round_mode_16_64 0
		.amdhsa_float_denorm_mode_32 3
		.amdhsa_float_denorm_mode_16_64 3
		.amdhsa_dx10_clamp 1
		.amdhsa_ieee_mode 1
		.amdhsa_fp16_overflow 0
		.amdhsa_workgroup_processor_mode 1
		.amdhsa_memory_ordered 1
		.amdhsa_forward_progress 1
		.amdhsa_shared_vgpr_count 0
		.amdhsa_exception_fp_ieee_invalid_op 0
		.amdhsa_exception_fp_denorm_src 0
		.amdhsa_exception_fp_ieee_div_zero 0
		.amdhsa_exception_fp_ieee_overflow 0
		.amdhsa_exception_fp_ieee_underflow 0
		.amdhsa_exception_fp_ieee_inexact 0
		.amdhsa_exception_int_div_zero 0
	.end_amdhsa_kernel
	.section	.text._ZN7rocprim17ROCPRIM_400000_NS6detail17trampoline_kernelINS0_14default_configENS1_21merge_config_selectorINS0_5tupleIJttEEENS0_10empty_typeEEEZNS1_10merge_implIS3_NS0_12zip_iteratorINS5_IJN6thrust23THRUST_200600_302600_NS6detail15normal_iteratorINSC_10device_ptrIKtEEEESI_EEEEESK_NSA_INS5_IJNSE_INSF_ItEEEESM_EEEEEPS7_SP_SP_NSC_11hip_rocprim7__merge17predicate_wrapperIttNSC_7greaterItEEEEEE10hipError_tPvRmT0_T1_T2_T3_T4_T5_mmT6_P12ihipStream_tbEUlT_E0_NS1_11comp_targetILNS1_3genE9ELNS1_11target_archE1100ELNS1_3gpuE3ELNS1_3repE0EEENS1_30default_config_static_selectorELNS0_4arch9wavefront6targetE0EEEvS10_,"axG",@progbits,_ZN7rocprim17ROCPRIM_400000_NS6detail17trampoline_kernelINS0_14default_configENS1_21merge_config_selectorINS0_5tupleIJttEEENS0_10empty_typeEEEZNS1_10merge_implIS3_NS0_12zip_iteratorINS5_IJN6thrust23THRUST_200600_302600_NS6detail15normal_iteratorINSC_10device_ptrIKtEEEESI_EEEEESK_NSA_INS5_IJNSE_INSF_ItEEEESM_EEEEEPS7_SP_SP_NSC_11hip_rocprim7__merge17predicate_wrapperIttNSC_7greaterItEEEEEE10hipError_tPvRmT0_T1_T2_T3_T4_T5_mmT6_P12ihipStream_tbEUlT_E0_NS1_11comp_targetILNS1_3genE9ELNS1_11target_archE1100ELNS1_3gpuE3ELNS1_3repE0EEENS1_30default_config_static_selectorELNS0_4arch9wavefront6targetE0EEEvS10_,comdat
.Lfunc_end405:
	.size	_ZN7rocprim17ROCPRIM_400000_NS6detail17trampoline_kernelINS0_14default_configENS1_21merge_config_selectorINS0_5tupleIJttEEENS0_10empty_typeEEEZNS1_10merge_implIS3_NS0_12zip_iteratorINS5_IJN6thrust23THRUST_200600_302600_NS6detail15normal_iteratorINSC_10device_ptrIKtEEEESI_EEEEESK_NSA_INS5_IJNSE_INSF_ItEEEESM_EEEEEPS7_SP_SP_NSC_11hip_rocprim7__merge17predicate_wrapperIttNSC_7greaterItEEEEEE10hipError_tPvRmT0_T1_T2_T3_T4_T5_mmT6_P12ihipStream_tbEUlT_E0_NS1_11comp_targetILNS1_3genE9ELNS1_11target_archE1100ELNS1_3gpuE3ELNS1_3repE0EEENS1_30default_config_static_selectorELNS0_4arch9wavefront6targetE0EEEvS10_, .Lfunc_end405-_ZN7rocprim17ROCPRIM_400000_NS6detail17trampoline_kernelINS0_14default_configENS1_21merge_config_selectorINS0_5tupleIJttEEENS0_10empty_typeEEEZNS1_10merge_implIS3_NS0_12zip_iteratorINS5_IJN6thrust23THRUST_200600_302600_NS6detail15normal_iteratorINSC_10device_ptrIKtEEEESI_EEEEESK_NSA_INS5_IJNSE_INSF_ItEEEESM_EEEEEPS7_SP_SP_NSC_11hip_rocprim7__merge17predicate_wrapperIttNSC_7greaterItEEEEEE10hipError_tPvRmT0_T1_T2_T3_T4_T5_mmT6_P12ihipStream_tbEUlT_E0_NS1_11comp_targetILNS1_3genE9ELNS1_11target_archE1100ELNS1_3gpuE3ELNS1_3repE0EEENS1_30default_config_static_selectorELNS0_4arch9wavefront6targetE0EEEvS10_
                                        ; -- End function
	.set _ZN7rocprim17ROCPRIM_400000_NS6detail17trampoline_kernelINS0_14default_configENS1_21merge_config_selectorINS0_5tupleIJttEEENS0_10empty_typeEEEZNS1_10merge_implIS3_NS0_12zip_iteratorINS5_IJN6thrust23THRUST_200600_302600_NS6detail15normal_iteratorINSC_10device_ptrIKtEEEESI_EEEEESK_NSA_INS5_IJNSE_INSF_ItEEEESM_EEEEEPS7_SP_SP_NSC_11hip_rocprim7__merge17predicate_wrapperIttNSC_7greaterItEEEEEE10hipError_tPvRmT0_T1_T2_T3_T4_T5_mmT6_P12ihipStream_tbEUlT_E0_NS1_11comp_targetILNS1_3genE9ELNS1_11target_archE1100ELNS1_3gpuE3ELNS1_3repE0EEENS1_30default_config_static_selectorELNS0_4arch9wavefront6targetE0EEEvS10_.num_vgpr, 0
	.set _ZN7rocprim17ROCPRIM_400000_NS6detail17trampoline_kernelINS0_14default_configENS1_21merge_config_selectorINS0_5tupleIJttEEENS0_10empty_typeEEEZNS1_10merge_implIS3_NS0_12zip_iteratorINS5_IJN6thrust23THRUST_200600_302600_NS6detail15normal_iteratorINSC_10device_ptrIKtEEEESI_EEEEESK_NSA_INS5_IJNSE_INSF_ItEEEESM_EEEEEPS7_SP_SP_NSC_11hip_rocprim7__merge17predicate_wrapperIttNSC_7greaterItEEEEEE10hipError_tPvRmT0_T1_T2_T3_T4_T5_mmT6_P12ihipStream_tbEUlT_E0_NS1_11comp_targetILNS1_3genE9ELNS1_11target_archE1100ELNS1_3gpuE3ELNS1_3repE0EEENS1_30default_config_static_selectorELNS0_4arch9wavefront6targetE0EEEvS10_.num_agpr, 0
	.set _ZN7rocprim17ROCPRIM_400000_NS6detail17trampoline_kernelINS0_14default_configENS1_21merge_config_selectorINS0_5tupleIJttEEENS0_10empty_typeEEEZNS1_10merge_implIS3_NS0_12zip_iteratorINS5_IJN6thrust23THRUST_200600_302600_NS6detail15normal_iteratorINSC_10device_ptrIKtEEEESI_EEEEESK_NSA_INS5_IJNSE_INSF_ItEEEESM_EEEEEPS7_SP_SP_NSC_11hip_rocprim7__merge17predicate_wrapperIttNSC_7greaterItEEEEEE10hipError_tPvRmT0_T1_T2_T3_T4_T5_mmT6_P12ihipStream_tbEUlT_E0_NS1_11comp_targetILNS1_3genE9ELNS1_11target_archE1100ELNS1_3gpuE3ELNS1_3repE0EEENS1_30default_config_static_selectorELNS0_4arch9wavefront6targetE0EEEvS10_.numbered_sgpr, 0
	.set _ZN7rocprim17ROCPRIM_400000_NS6detail17trampoline_kernelINS0_14default_configENS1_21merge_config_selectorINS0_5tupleIJttEEENS0_10empty_typeEEEZNS1_10merge_implIS3_NS0_12zip_iteratorINS5_IJN6thrust23THRUST_200600_302600_NS6detail15normal_iteratorINSC_10device_ptrIKtEEEESI_EEEEESK_NSA_INS5_IJNSE_INSF_ItEEEESM_EEEEEPS7_SP_SP_NSC_11hip_rocprim7__merge17predicate_wrapperIttNSC_7greaterItEEEEEE10hipError_tPvRmT0_T1_T2_T3_T4_T5_mmT6_P12ihipStream_tbEUlT_E0_NS1_11comp_targetILNS1_3genE9ELNS1_11target_archE1100ELNS1_3gpuE3ELNS1_3repE0EEENS1_30default_config_static_selectorELNS0_4arch9wavefront6targetE0EEEvS10_.num_named_barrier, 0
	.set _ZN7rocprim17ROCPRIM_400000_NS6detail17trampoline_kernelINS0_14default_configENS1_21merge_config_selectorINS0_5tupleIJttEEENS0_10empty_typeEEEZNS1_10merge_implIS3_NS0_12zip_iteratorINS5_IJN6thrust23THRUST_200600_302600_NS6detail15normal_iteratorINSC_10device_ptrIKtEEEESI_EEEEESK_NSA_INS5_IJNSE_INSF_ItEEEESM_EEEEEPS7_SP_SP_NSC_11hip_rocprim7__merge17predicate_wrapperIttNSC_7greaterItEEEEEE10hipError_tPvRmT0_T1_T2_T3_T4_T5_mmT6_P12ihipStream_tbEUlT_E0_NS1_11comp_targetILNS1_3genE9ELNS1_11target_archE1100ELNS1_3gpuE3ELNS1_3repE0EEENS1_30default_config_static_selectorELNS0_4arch9wavefront6targetE0EEEvS10_.private_seg_size, 0
	.set _ZN7rocprim17ROCPRIM_400000_NS6detail17trampoline_kernelINS0_14default_configENS1_21merge_config_selectorINS0_5tupleIJttEEENS0_10empty_typeEEEZNS1_10merge_implIS3_NS0_12zip_iteratorINS5_IJN6thrust23THRUST_200600_302600_NS6detail15normal_iteratorINSC_10device_ptrIKtEEEESI_EEEEESK_NSA_INS5_IJNSE_INSF_ItEEEESM_EEEEEPS7_SP_SP_NSC_11hip_rocprim7__merge17predicate_wrapperIttNSC_7greaterItEEEEEE10hipError_tPvRmT0_T1_T2_T3_T4_T5_mmT6_P12ihipStream_tbEUlT_E0_NS1_11comp_targetILNS1_3genE9ELNS1_11target_archE1100ELNS1_3gpuE3ELNS1_3repE0EEENS1_30default_config_static_selectorELNS0_4arch9wavefront6targetE0EEEvS10_.uses_vcc, 0
	.set _ZN7rocprim17ROCPRIM_400000_NS6detail17trampoline_kernelINS0_14default_configENS1_21merge_config_selectorINS0_5tupleIJttEEENS0_10empty_typeEEEZNS1_10merge_implIS3_NS0_12zip_iteratorINS5_IJN6thrust23THRUST_200600_302600_NS6detail15normal_iteratorINSC_10device_ptrIKtEEEESI_EEEEESK_NSA_INS5_IJNSE_INSF_ItEEEESM_EEEEEPS7_SP_SP_NSC_11hip_rocprim7__merge17predicate_wrapperIttNSC_7greaterItEEEEEE10hipError_tPvRmT0_T1_T2_T3_T4_T5_mmT6_P12ihipStream_tbEUlT_E0_NS1_11comp_targetILNS1_3genE9ELNS1_11target_archE1100ELNS1_3gpuE3ELNS1_3repE0EEENS1_30default_config_static_selectorELNS0_4arch9wavefront6targetE0EEEvS10_.uses_flat_scratch, 0
	.set _ZN7rocprim17ROCPRIM_400000_NS6detail17trampoline_kernelINS0_14default_configENS1_21merge_config_selectorINS0_5tupleIJttEEENS0_10empty_typeEEEZNS1_10merge_implIS3_NS0_12zip_iteratorINS5_IJN6thrust23THRUST_200600_302600_NS6detail15normal_iteratorINSC_10device_ptrIKtEEEESI_EEEEESK_NSA_INS5_IJNSE_INSF_ItEEEESM_EEEEEPS7_SP_SP_NSC_11hip_rocprim7__merge17predicate_wrapperIttNSC_7greaterItEEEEEE10hipError_tPvRmT0_T1_T2_T3_T4_T5_mmT6_P12ihipStream_tbEUlT_E0_NS1_11comp_targetILNS1_3genE9ELNS1_11target_archE1100ELNS1_3gpuE3ELNS1_3repE0EEENS1_30default_config_static_selectorELNS0_4arch9wavefront6targetE0EEEvS10_.has_dyn_sized_stack, 0
	.set _ZN7rocprim17ROCPRIM_400000_NS6detail17trampoline_kernelINS0_14default_configENS1_21merge_config_selectorINS0_5tupleIJttEEENS0_10empty_typeEEEZNS1_10merge_implIS3_NS0_12zip_iteratorINS5_IJN6thrust23THRUST_200600_302600_NS6detail15normal_iteratorINSC_10device_ptrIKtEEEESI_EEEEESK_NSA_INS5_IJNSE_INSF_ItEEEESM_EEEEEPS7_SP_SP_NSC_11hip_rocprim7__merge17predicate_wrapperIttNSC_7greaterItEEEEEE10hipError_tPvRmT0_T1_T2_T3_T4_T5_mmT6_P12ihipStream_tbEUlT_E0_NS1_11comp_targetILNS1_3genE9ELNS1_11target_archE1100ELNS1_3gpuE3ELNS1_3repE0EEENS1_30default_config_static_selectorELNS0_4arch9wavefront6targetE0EEEvS10_.has_recursion, 0
	.set _ZN7rocprim17ROCPRIM_400000_NS6detail17trampoline_kernelINS0_14default_configENS1_21merge_config_selectorINS0_5tupleIJttEEENS0_10empty_typeEEEZNS1_10merge_implIS3_NS0_12zip_iteratorINS5_IJN6thrust23THRUST_200600_302600_NS6detail15normal_iteratorINSC_10device_ptrIKtEEEESI_EEEEESK_NSA_INS5_IJNSE_INSF_ItEEEESM_EEEEEPS7_SP_SP_NSC_11hip_rocprim7__merge17predicate_wrapperIttNSC_7greaterItEEEEEE10hipError_tPvRmT0_T1_T2_T3_T4_T5_mmT6_P12ihipStream_tbEUlT_E0_NS1_11comp_targetILNS1_3genE9ELNS1_11target_archE1100ELNS1_3gpuE3ELNS1_3repE0EEENS1_30default_config_static_selectorELNS0_4arch9wavefront6targetE0EEEvS10_.has_indirect_call, 0
	.section	.AMDGPU.csdata,"",@progbits
; Kernel info:
; codeLenInByte = 0
; TotalNumSgprs: 0
; NumVgprs: 0
; ScratchSize: 0
; MemoryBound: 0
; FloatMode: 240
; IeeeMode: 1
; LDSByteSize: 0 bytes/workgroup (compile time only)
; SGPRBlocks: 0
; VGPRBlocks: 0
; NumSGPRsForWavesPerEU: 1
; NumVGPRsForWavesPerEU: 1
; Occupancy: 16
; WaveLimiterHint : 0
; COMPUTE_PGM_RSRC2:SCRATCH_EN: 0
; COMPUTE_PGM_RSRC2:USER_SGPR: 6
; COMPUTE_PGM_RSRC2:TRAP_HANDLER: 0
; COMPUTE_PGM_RSRC2:TGID_X_EN: 1
; COMPUTE_PGM_RSRC2:TGID_Y_EN: 0
; COMPUTE_PGM_RSRC2:TGID_Z_EN: 0
; COMPUTE_PGM_RSRC2:TIDIG_COMP_CNT: 0
	.section	.text._ZN7rocprim17ROCPRIM_400000_NS6detail17trampoline_kernelINS0_14default_configENS1_21merge_config_selectorINS0_5tupleIJttEEENS0_10empty_typeEEEZNS1_10merge_implIS3_NS0_12zip_iteratorINS5_IJN6thrust23THRUST_200600_302600_NS6detail15normal_iteratorINSC_10device_ptrIKtEEEESI_EEEEESK_NSA_INS5_IJNSE_INSF_ItEEEESM_EEEEEPS7_SP_SP_NSC_11hip_rocprim7__merge17predicate_wrapperIttNSC_7greaterItEEEEEE10hipError_tPvRmT0_T1_T2_T3_T4_T5_mmT6_P12ihipStream_tbEUlT_E0_NS1_11comp_targetILNS1_3genE8ELNS1_11target_archE1030ELNS1_3gpuE2ELNS1_3repE0EEENS1_30default_config_static_selectorELNS0_4arch9wavefront6targetE0EEEvS10_,"axG",@progbits,_ZN7rocprim17ROCPRIM_400000_NS6detail17trampoline_kernelINS0_14default_configENS1_21merge_config_selectorINS0_5tupleIJttEEENS0_10empty_typeEEEZNS1_10merge_implIS3_NS0_12zip_iteratorINS5_IJN6thrust23THRUST_200600_302600_NS6detail15normal_iteratorINSC_10device_ptrIKtEEEESI_EEEEESK_NSA_INS5_IJNSE_INSF_ItEEEESM_EEEEEPS7_SP_SP_NSC_11hip_rocprim7__merge17predicate_wrapperIttNSC_7greaterItEEEEEE10hipError_tPvRmT0_T1_T2_T3_T4_T5_mmT6_P12ihipStream_tbEUlT_E0_NS1_11comp_targetILNS1_3genE8ELNS1_11target_archE1030ELNS1_3gpuE2ELNS1_3repE0EEENS1_30default_config_static_selectorELNS0_4arch9wavefront6targetE0EEEvS10_,comdat
	.protected	_ZN7rocprim17ROCPRIM_400000_NS6detail17trampoline_kernelINS0_14default_configENS1_21merge_config_selectorINS0_5tupleIJttEEENS0_10empty_typeEEEZNS1_10merge_implIS3_NS0_12zip_iteratorINS5_IJN6thrust23THRUST_200600_302600_NS6detail15normal_iteratorINSC_10device_ptrIKtEEEESI_EEEEESK_NSA_INS5_IJNSE_INSF_ItEEEESM_EEEEEPS7_SP_SP_NSC_11hip_rocprim7__merge17predicate_wrapperIttNSC_7greaterItEEEEEE10hipError_tPvRmT0_T1_T2_T3_T4_T5_mmT6_P12ihipStream_tbEUlT_E0_NS1_11comp_targetILNS1_3genE8ELNS1_11target_archE1030ELNS1_3gpuE2ELNS1_3repE0EEENS1_30default_config_static_selectorELNS0_4arch9wavefront6targetE0EEEvS10_ ; -- Begin function _ZN7rocprim17ROCPRIM_400000_NS6detail17trampoline_kernelINS0_14default_configENS1_21merge_config_selectorINS0_5tupleIJttEEENS0_10empty_typeEEEZNS1_10merge_implIS3_NS0_12zip_iteratorINS5_IJN6thrust23THRUST_200600_302600_NS6detail15normal_iteratorINSC_10device_ptrIKtEEEESI_EEEEESK_NSA_INS5_IJNSE_INSF_ItEEEESM_EEEEEPS7_SP_SP_NSC_11hip_rocprim7__merge17predicate_wrapperIttNSC_7greaterItEEEEEE10hipError_tPvRmT0_T1_T2_T3_T4_T5_mmT6_P12ihipStream_tbEUlT_E0_NS1_11comp_targetILNS1_3genE8ELNS1_11target_archE1030ELNS1_3gpuE2ELNS1_3repE0EEENS1_30default_config_static_selectorELNS0_4arch9wavefront6targetE0EEEvS10_
	.globl	_ZN7rocprim17ROCPRIM_400000_NS6detail17trampoline_kernelINS0_14default_configENS1_21merge_config_selectorINS0_5tupleIJttEEENS0_10empty_typeEEEZNS1_10merge_implIS3_NS0_12zip_iteratorINS5_IJN6thrust23THRUST_200600_302600_NS6detail15normal_iteratorINSC_10device_ptrIKtEEEESI_EEEEESK_NSA_INS5_IJNSE_INSF_ItEEEESM_EEEEEPS7_SP_SP_NSC_11hip_rocprim7__merge17predicate_wrapperIttNSC_7greaterItEEEEEE10hipError_tPvRmT0_T1_T2_T3_T4_T5_mmT6_P12ihipStream_tbEUlT_E0_NS1_11comp_targetILNS1_3genE8ELNS1_11target_archE1030ELNS1_3gpuE2ELNS1_3repE0EEENS1_30default_config_static_selectorELNS0_4arch9wavefront6targetE0EEEvS10_
	.p2align	8
	.type	_ZN7rocprim17ROCPRIM_400000_NS6detail17trampoline_kernelINS0_14default_configENS1_21merge_config_selectorINS0_5tupleIJttEEENS0_10empty_typeEEEZNS1_10merge_implIS3_NS0_12zip_iteratorINS5_IJN6thrust23THRUST_200600_302600_NS6detail15normal_iteratorINSC_10device_ptrIKtEEEESI_EEEEESK_NSA_INS5_IJNSE_INSF_ItEEEESM_EEEEEPS7_SP_SP_NSC_11hip_rocprim7__merge17predicate_wrapperIttNSC_7greaterItEEEEEE10hipError_tPvRmT0_T1_T2_T3_T4_T5_mmT6_P12ihipStream_tbEUlT_E0_NS1_11comp_targetILNS1_3genE8ELNS1_11target_archE1030ELNS1_3gpuE2ELNS1_3repE0EEENS1_30default_config_static_selectorELNS0_4arch9wavefront6targetE0EEEvS10_,@function
_ZN7rocprim17ROCPRIM_400000_NS6detail17trampoline_kernelINS0_14default_configENS1_21merge_config_selectorINS0_5tupleIJttEEENS0_10empty_typeEEEZNS1_10merge_implIS3_NS0_12zip_iteratorINS5_IJN6thrust23THRUST_200600_302600_NS6detail15normal_iteratorINSC_10device_ptrIKtEEEESI_EEEEESK_NSA_INS5_IJNSE_INSF_ItEEEESM_EEEEEPS7_SP_SP_NSC_11hip_rocprim7__merge17predicate_wrapperIttNSC_7greaterItEEEEEE10hipError_tPvRmT0_T1_T2_T3_T4_T5_mmT6_P12ihipStream_tbEUlT_E0_NS1_11comp_targetILNS1_3genE8ELNS1_11target_archE1030ELNS1_3gpuE2ELNS1_3repE0EEENS1_30default_config_static_selectorELNS0_4arch9wavefront6targetE0EEEvS10_: ; @_ZN7rocprim17ROCPRIM_400000_NS6detail17trampoline_kernelINS0_14default_configENS1_21merge_config_selectorINS0_5tupleIJttEEENS0_10empty_typeEEEZNS1_10merge_implIS3_NS0_12zip_iteratorINS5_IJN6thrust23THRUST_200600_302600_NS6detail15normal_iteratorINSC_10device_ptrIKtEEEESI_EEEEESK_NSA_INS5_IJNSE_INSF_ItEEEESM_EEEEEPS7_SP_SP_NSC_11hip_rocprim7__merge17predicate_wrapperIttNSC_7greaterItEEEEEE10hipError_tPvRmT0_T1_T2_T3_T4_T5_mmT6_P12ihipStream_tbEUlT_E0_NS1_11comp_targetILNS1_3genE8ELNS1_11target_archE1030ELNS1_3gpuE2ELNS1_3repE0EEENS1_30default_config_static_selectorELNS0_4arch9wavefront6targetE0EEEvS10_
; %bb.0:
	s_clause 0x2
	s_load_dwordx4 s[0:3], s[4:5], 0x58
	s_load_dwordx8 s[8:15], s[4:5], 0x8
	s_load_dwordx4 s[16:19], s[4:5], 0x28
	s_mov_b32 s23, 0
	v_mov_b32_e32 v1, 0
	s_mov_b32 s25, s23
	s_waitcnt lgkmcnt(0)
	s_add_i32 s20, s2, s0
	s_add_i32 s0, s20, 0x1fff
	s_lshr_b32 s0, s0, 13
	s_min_u32 s1, s6, s0
	s_lshl_b32 s1, s1, 2
	s_load_dword s22, s[8:9], s1 offset:0x0
	s_add_i32 s1, s6, 1
	s_min_u32 s0, s1, s0
	s_lshl_b32 s0, s0, 2
	s_load_dword s9, s[8:9], s0 offset:0x0
	s_lshl_b32 s8, s6, 13
	s_add_i32 s0, s8, 0x2000
	s_min_u32 s21, s20, s0
	s_waitcnt lgkmcnt(0)
	s_lshl_b64 s[2:3], s[22:23], 1
	s_sub_i32 s24, s8, s22
	s_add_u32 s0, s10, s2
	s_addc_u32 s1, s11, s3
	s_add_u32 s2, s12, s2
	s_addc_u32 s3, s13, s3
	s_lshl_b64 s[10:11], s[24:25], 1
	s_add_u32 s6, s14, s10
	s_addc_u32 s7, s15, s11
	s_add_u32 s10, s16, s10
	s_addc_u32 s11, s17, s11
	s_add_i32 s12, s24, s9
	s_sub_i32 s9, s9, s22
	s_sub_i32 s14, s21, s12
	s_mov_b32 s15, exec_lo
	s_add_u32 s12, s14, s9
	s_addc_u32 s13, 0, 0
	v_cmpx_le_u32_e64 s9, v0
	s_xor_b32 s15, exec_lo, s15
	s_cbranch_execz .LBB406_4
; %bb.1:
	s_mov_b32 s16, exec_lo
	v_cmpx_gt_u64_e64 s[12:13], v[0:1]
	s_cbranch_execz .LBB406_3
; %bb.2:
	v_subrev_nc_u32_e32 v1, s9, v0
	v_lshlrev_b32_e32 v1, 1, v1
	s_clause 0x1
	global_load_ushort v2, v1, s[6:7]
	global_load_short_d16_hi v2, v1, s[10:11]
	v_lshlrev_b32_e32 v1, 2, v0
	s_waitcnt vmcnt(0)
	ds_write_b32 v1, v2
.LBB406_3:
	s_or_b32 exec_lo, exec_lo, s16
.LBB406_4:
	s_or_saveexec_b32 s15, s15
	v_lshlrev_b32_e32 v12, 1, v0
	v_lshlrev_b32_e32 v9, 2, v0
	s_xor_b32 exec_lo, exec_lo, s15
	s_cbranch_execz .LBB406_6
; %bb.5:
	s_clause 0x1
	global_load_ushort v1, v12, s[0:1]
	global_load_short_d16_hi v1, v12, s[2:3]
	s_waitcnt vmcnt(0)
	ds_write_b32 v9, v1
.LBB406_6:
	s_or_b32 exec_lo, exec_lo, s15
	v_or_b32_e32 v1, 0x400, v0
	v_mov_b32_e32 v2, 0
	s_mov_b32 s15, exec_lo
	v_cmpx_le_u32_e64 s9, v1
	s_xor_b32 s15, exec_lo, s15
	s_cbranch_execz .LBB406_10
; %bb.7:
	s_mov_b32 s16, exec_lo
	v_cmpx_gt_u64_e64 s[12:13], v[1:2]
	s_cbranch_execz .LBB406_9
; %bb.8:
	v_subrev_nc_u32_e32 v2, s9, v1
	v_lshlrev_b32_e32 v2, 1, v2
	s_clause 0x1
	global_load_ushort v3, v2, s[6:7]
	global_load_short_d16_hi v3, v2, s[10:11]
	s_waitcnt vmcnt(0)
	ds_write_b32 v9, v3 offset:4096
.LBB406_9:
	s_or_b32 exec_lo, exec_lo, s16
.LBB406_10:
	s_andn2_saveexec_b32 s15, s15
	s_cbranch_execz .LBB406_12
; %bb.11:
	v_lshlrev_b32_e32 v2, 1, v1
	s_clause 0x1
	global_load_ushort v3, v2, s[0:1]
	global_load_short_d16_hi v3, v2, s[2:3]
	s_waitcnt vmcnt(0)
	ds_write_b32 v9, v3 offset:4096
.LBB406_12:
	s_or_b32 exec_lo, exec_lo, s15
	v_or_b32_e32 v2, 0x800, v0
	v_mov_b32_e32 v3, 0
	s_mov_b32 s15, exec_lo
	v_cmpx_le_u32_e64 s9, v2
	s_xor_b32 s15, exec_lo, s15
	s_cbranch_execz .LBB406_16
; %bb.13:
	s_mov_b32 s16, exec_lo
	v_cmpx_gt_u64_e64 s[12:13], v[2:3]
	s_cbranch_execz .LBB406_15
; %bb.14:
	v_subrev_nc_u32_e32 v3, s9, v2
	v_lshlrev_b32_e32 v3, 1, v3
	s_clause 0x1
	global_load_ushort v4, v3, s[6:7]
	global_load_short_d16_hi v4, v3, s[10:11]
	s_waitcnt vmcnt(0)
	ds_write_b32 v9, v4 offset:8192
.LBB406_15:
	s_or_b32 exec_lo, exec_lo, s16
.LBB406_16:
	s_andn2_saveexec_b32 s15, s15
	s_cbranch_execz .LBB406_18
; %bb.17:
	v_lshlrev_b32_e32 v3, 1, v2
	s_clause 0x1
	global_load_ushort v4, v3, s[0:1]
	global_load_short_d16_hi v4, v3, s[2:3]
	s_waitcnt vmcnt(0)
	ds_write_b32 v9, v4 offset:8192
.LBB406_18:
	;; [unrolled: 32-line block ×6, first 2 shown]
	s_or_b32 exec_lo, exec_lo, s15
	v_or_b32_e32 v7, 0x1c00, v0
	v_mov_b32_e32 v8, 0
	s_mov_b32 s15, exec_lo
	v_cmpx_le_u32_e64 s9, v7
	s_xor_b32 s15, exec_lo, s15
	s_cbranch_execz .LBB406_46
; %bb.43:
	v_cmp_gt_u64_e32 vcc_lo, s[12:13], v[7:8]
	s_and_saveexec_b32 s12, vcc_lo
	s_cbranch_execz .LBB406_45
; %bb.44:
	v_subrev_nc_u32_e32 v8, s9, v7
	v_lshlrev_b32_e32 v8, 1, v8
	s_clause 0x1
	global_load_ushort v10, v8, s[6:7]
	global_load_short_d16_hi v10, v8, s[10:11]
	s_waitcnt vmcnt(0)
	ds_write_b32 v9, v10 offset:28672
.LBB406_45:
	s_or_b32 exec_lo, exec_lo, s12
.LBB406_46:
	s_or_saveexec_b32 s6, s15
	s_load_dwordx2 s[10:11], s[4:5], 0x38
	s_xor_b32 exec_lo, exec_lo, s6
	s_cbranch_execz .LBB406_48
; %bb.47:
	v_lshlrev_b32_e32 v8, 1, v7
	s_clause 0x1
	global_load_ushort v10, v8, s[0:1]
	global_load_short_d16_hi v10, v8, s[2:3]
	s_waitcnt vmcnt(0)
	ds_write_b32 v9, v10 offset:28672
.LBB406_48:
	s_or_b32 exec_lo, exec_lo, s6
	v_lshlrev_b32_e32 v8, 3, v0
	s_mov_b32 s0, exec_lo
	s_waitcnt lgkmcnt(0)
	s_barrier
	buffer_gl0_inv
	v_sub_nc_u32_e64 v15, v8, s14 clamp
	v_min_u32_e32 v10, s9, v8
	v_cmpx_lt_u32_e64 v15, v10
	s_cbranch_execz .LBB406_52
; %bb.49:
	v_lshlrev_b32_e32 v11, 2, v8
	s_mov_b32 s1, 0
	v_lshl_add_u32 v11, s9, 2, v11
	.p2align	6
.LBB406_50:                             ; =>This Inner Loop Header: Depth=1
	v_add_nc_u32_e32 v13, v10, v15
	v_lshrrev_b32_e32 v13, 1, v13
	v_not_b32_e32 v14, v13
	v_lshlrev_b32_e32 v16, 2, v13
	v_add_nc_u32_e32 v17, 1, v13
	v_lshl_add_u32 v14, v14, 2, v11
	ds_read_b32 v16, v16
	ds_read_b32 v14, v14
	s_waitcnt lgkmcnt(0)
	v_cmp_gt_u16_e32 vcc_lo, v14, v16
	v_cndmask_b32_e32 v10, v10, v13, vcc_lo
	v_cndmask_b32_e32 v15, v17, v15, vcc_lo
	v_cmp_ge_u32_e32 vcc_lo, v15, v10
	s_or_b32 s1, vcc_lo, s1
	s_andn2_b32 exec_lo, exec_lo, s1
	s_cbranch_execnz .LBB406_50
; %bb.51:
	s_or_b32 exec_lo, exec_lo, s1
.LBB406_52:
	s_or_b32 exec_lo, exec_lo, s0
	v_add_nc_u32_e32 v11, s9, v8
	s_add_i32 s14, s14, s9
	v_cmp_ge_u32_e32 vcc_lo, s9, v15
	v_mov_b32_e32 v10, 0
	v_mov_b32_e32 v13, 0
	v_sub_nc_u32_e32 v16, v11, v15
	v_mov_b32_e32 v11, 0
	v_mov_b32_e32 v18, 0
	;; [unrolled: 1-line block ×4, first 2 shown]
	v_cmp_ge_u32_e64 s0, s14, v16
	v_mov_b32_e32 v21, 0
	v_mov_b32_e32 v22, 0
	s_or_b32 s0, vcc_lo, s0
	s_and_saveexec_b32 s7, s0
	s_cbranch_execz .LBB406_58
; %bb.53:
	v_cmp_gt_u32_e32 vcc_lo, s9, v15
	v_mov_b32_e32 v10, 0
	v_mov_b32_e32 v13, 0
	;; [unrolled: 1-line block ×3, first 2 shown]
	s_and_saveexec_b32 s0, vcc_lo
	s_cbranch_execz .LBB406_55
; %bb.54:
	v_lshlrev_b32_e32 v11, 2, v15
	ds_read_b32 v13, v11
	s_waitcnt lgkmcnt(0)
	v_lshrrev_b32_e32 v11, 16, v13
.LBB406_55:
	s_or_b32 exec_lo, exec_lo, s0
	v_cmp_le_u32_e64 s0, s14, v16
	v_mov_b32_e32 v14, 0
	s_mov_b32 s2, exec_lo
	v_cmpx_gt_u32_e64 s14, v16
	s_cbranch_execz .LBB406_57
; %bb.56:
	v_lshlrev_b32_e32 v10, 2, v16
	ds_read_b32 v10, v10
	s_waitcnt lgkmcnt(0)
	v_lshrrev_b32_e32 v14, 16, v10
.LBB406_57:
	s_or_b32 exec_lo, exec_lo, s2
	v_cmp_le_u16_e64 s1, v10, v13
	v_mov_b32_e32 v17, s9
	v_lshlrev_b32_e32 v35, 16, v11
	v_lshlrev_b32_e32 v36, 16, v14
	s_and_b32 s1, vcc_lo, s1
	s_or_b32 vcc_lo, s0, s1
	v_cndmask_b32_e32 v18, v16, v15, vcc_lo
	v_cndmask_b32_e32 v19, s14, v17, vcc_lo
	v_add_nc_u32_e32 v18, 1, v18
	v_add_nc_u32_e32 v19, -1, v19
	v_cndmask_b32_e32 v15, v15, v18, vcc_lo
	v_min_u32_e32 v19, v18, v19
	v_cndmask_b32_e32 v16, v18, v16, vcc_lo
	v_cmp_gt_u32_e64 s0, s9, v15
	v_lshlrev_b32_e32 v19, 2, v19
	v_cmp_le_u32_e64 s2, s14, v16
	ds_read_b32 v19, v19
	s_waitcnt lgkmcnt(0)
	v_cndmask_b32_e32 v20, v19, v10, vcc_lo
	v_cndmask_b32_e32 v21, v13, v19, vcc_lo
	v_or_b32_sdwa v13, v35, v13 dst_sel:DWORD dst_unused:UNUSED_PAD src0_sel:DWORD src1_sel:WORD_0
	v_or_b32_sdwa v10, v36, v10 dst_sel:DWORD dst_unused:UNUSED_PAD src0_sel:DWORD src1_sel:WORD_0
	v_lshrrev_b32_e32 v19, 16, v19
	v_cmp_le_u16_e64 s1, v20, v21
	v_cndmask_b32_e32 v10, v10, v13, vcc_lo
	v_cndmask_b32_e32 v13, v19, v14, vcc_lo
	;; [unrolled: 1-line block ×3, first 2 shown]
	s_and_b32 s0, s0, s1
	s_or_b32 s0, s2, s0
	v_cndmask_b32_e64 v18, v16, v15, s0
	v_cndmask_b32_e64 v22, s14, v17, s0
	v_lshlrev_b32_e32 v19, 16, v11
	v_add_nc_u32_e32 v18, 1, v18
	v_add_nc_u32_e32 v22, -1, v22
	v_or_b32_sdwa v19, v19, v21 dst_sel:DWORD dst_unused:UNUSED_PAD src0_sel:DWORD src1_sel:WORD_0
	v_cndmask_b32_e64 v15, v15, v18, s0
	v_min_u32_e32 v22, v18, v22
	v_cndmask_b32_e64 v16, v18, v16, s0
	v_cmp_gt_u32_e64 s1, s9, v15
	v_lshlrev_b32_e32 v22, 2, v22
	v_cmp_le_u32_e64 s3, s14, v16
	ds_read_b32 v22, v22
	s_waitcnt lgkmcnt(0)
	v_cndmask_b32_e64 v23, v22, v20, s0
	v_cndmask_b32_e64 v24, v21, v22, s0
	v_cmp_le_u16_e64 s2, v23, v24
	s_and_b32 s1, s1, s2
	s_or_b32 s1, s3, s1
	v_cndmask_b32_e64 v18, v16, v15, s1
	v_cndmask_b32_e64 v25, s14, v17, s1
	v_add_nc_u32_e32 v18, 1, v18
	v_add_nc_u32_e32 v25, -1, v25
	v_cndmask_b32_e64 v15, v15, v18, s1
	v_min_u32_e32 v25, v18, v25
	v_cndmask_b32_e64 v16, v18, v16, s1
	v_cmp_gt_u32_e64 s2, s9, v15
	v_lshlrev_b32_e32 v25, 2, v25
	v_cmp_le_u32_e64 s4, s14, v16
	ds_read_b32 v25, v25
	s_waitcnt lgkmcnt(0)
	v_cndmask_b32_e64 v26, v25, v23, s1
	v_cndmask_b32_e64 v27, v24, v25, s1
	v_lshrrev_b32_e32 v25, 16, v25
	v_cmp_le_u16_e64 s3, v26, v27
	s_and_b32 s2, s2, s3
	s_or_b32 s2, s4, s2
	v_cndmask_b32_e64 v18, v16, v15, s2
	v_cndmask_b32_e64 v28, s14, v17, s2
	v_add_nc_u32_e32 v18, 1, v18
	v_add_nc_u32_e32 v28, -1, v28
	v_cndmask_b32_e64 v15, v15, v18, s2
	v_min_u32_e32 v28, v18, v28
	v_cndmask_b32_e64 v16, v18, v16, s2
	v_cmp_gt_u32_e64 s3, s9, v15
	v_lshlrev_b32_e32 v28, 2, v28
	v_cmp_le_u32_e64 s5, s14, v16
	ds_read_b32 v28, v28
	s_waitcnt lgkmcnt(0)
	v_cndmask_b32_e64 v29, v28, v26, s2
	v_cndmask_b32_e64 v30, v27, v28, s2
	v_cmp_le_u16_e64 s4, v29, v30
	s_and_b32 s3, s3, s4
	s_or_b32 s3, s5, s3
	v_cndmask_b32_e64 v18, v16, v15, s3
	v_cndmask_b32_e64 v31, s14, v17, s3
	v_add_nc_u32_e32 v18, 1, v18
	v_add_nc_u32_e32 v31, -1, v31
	v_cndmask_b32_e64 v15, v15, v18, s3
	v_min_u32_e32 v31, v18, v31
	v_cndmask_b32_e64 v16, v18, v16, s3
	v_cmp_gt_u32_e64 s4, s9, v15
	v_lshlrev_b32_e32 v31, 2, v31
	v_cmp_le_u32_e64 s6, s14, v16
	ds_read_b32 v31, v31
	s_waitcnt lgkmcnt(0)
	v_cndmask_b32_e64 v32, v31, v29, s3
	v_cndmask_b32_e64 v33, v30, v31, s3
	v_cmp_le_u16_e64 s5, v32, v33
	s_and_b32 s4, s4, s5
	s_or_b32 s4, s6, s4
	v_cndmask_b32_e64 v18, v16, v15, s4
	v_cndmask_b32_e64 v34, s14, v17, s4
	v_add_nc_u32_e32 v18, 1, v18
	v_add_nc_u32_e32 v34, -1, v34
	v_cndmask_b32_e64 v14, v15, v18, s4
	v_min_u32_e32 v34, v18, v34
	v_cndmask_b32_e64 v16, v18, v16, s4
	v_lshrrev_b32_e32 v18, 16, v22
	v_lshlrev_b32_e32 v22, 16, v13
	v_cmp_gt_u32_e32 vcc_lo, s9, v14
	v_lshlrev_b32_e32 v34, 2, v34
	v_cmp_le_u32_e64 s6, s14, v16
	v_cndmask_b32_e64 v13, v18, v13, s0
	v_cndmask_b32_e64 v18, v11, v18, s0
	v_or_b32_sdwa v20, v22, v20 dst_sel:DWORD dst_unused:UNUSED_PAD src0_sel:DWORD src1_sel:WORD_0
	ds_read_b32 v34, v34
	v_lshlrev_b32_e32 v22, 16, v13
	v_lshlrev_b32_e32 v21, 16, v18
	v_cndmask_b32_e64 v18, v18, v25, s1
	s_waitcnt lgkmcnt(0)
	v_cndmask_b32_e64 v15, v34, v32, s4
	v_cndmask_b32_e64 v35, v33, v34, s4
	v_cmp_le_u16_e64 s5, v15, v35
	s_and_b32 s5, vcc_lo, s5
	s_or_b32 vcc_lo, s6, s5
	v_cndmask_b32_e32 v11, v16, v14, vcc_lo
	v_cndmask_b32_e32 v17, s14, v17, vcc_lo
	v_add_nc_u32_e32 v36, 1, v11
	v_add_nc_u32_e32 v17, -1, v17
	v_cndmask_b32_e64 v11, v20, v19, s0
	v_or_b32_sdwa v19, v21, v24 dst_sel:DWORD dst_unused:UNUSED_PAD src0_sel:DWORD src1_sel:WORD_0
	v_or_b32_sdwa v20, v22, v23 dst_sel:DWORD dst_unused:UNUSED_PAD src0_sel:DWORD src1_sel:WORD_0
	v_cndmask_b32_e64 v21, v25, v13, s1
	v_min_u32_e32 v17, v36, v17
	v_lshrrev_b32_e32 v22, 16, v28
	v_cndmask_b32_e32 v14, v14, v36, vcc_lo
	v_cndmask_b32_e64 v13, v20, v19, s1
	v_lshlrev_b32_e32 v19, 16, v18
	v_lshlrev_b32_e32 v17, 2, v17
	;; [unrolled: 1-line block ×3, first 2 shown]
	v_cndmask_b32_e64 v21, v22, v21, s2
	v_cndmask_b32_e64 v18, v18, v22, s2
	v_lshrrev_b32_e32 v22, 16, v31
	ds_read_b32 v17, v17
	v_or_b32_sdwa v20, v20, v26 dst_sel:DWORD dst_unused:UNUSED_PAD src0_sel:DWORD src1_sel:WORD_0
	v_lshlrev_b32_e32 v24, 16, v21
	v_lshlrev_b32_e32 v23, 16, v18
	v_lshrrev_b32_e32 v26, 16, v34
	v_cndmask_b32_e64 v21, v22, v21, s3
	v_or_b32_sdwa v19, v19, v27 dst_sel:DWORD dst_unused:UNUSED_PAD src0_sel:DWORD src1_sel:WORD_0
	v_cndmask_b32_e64 v25, v18, v22, s3
	v_or_b32_sdwa v22, v23, v30 dst_sel:DWORD dst_unused:UNUSED_PAD src0_sel:DWORD src1_sel:WORD_0
	v_or_b32_sdwa v23, v24, v29 dst_sel:DWORD dst_unused:UNUSED_PAD src0_sel:DWORD src1_sel:WORD_0
	v_cndmask_b32_e64 v24, v26, v21, s4
	v_cndmask_b32_e64 v18, v20, v19, s2
	;; [unrolled: 1-line block ×3, first 2 shown]
	v_lshlrev_b32_e32 v25, 16, v25
	v_cndmask_b32_e64 v19, v23, v22, s3
	v_lshlrev_b32_e32 v23, 16, v24
	v_lshlrev_b32_e32 v21, 16, v21
	;; [unrolled: 1-line block ×3, first 2 shown]
	v_cndmask_b32_e32 v16, v36, v16, vcc_lo
	v_cmp_gt_u32_e64 s0, s9, v14
	s_waitcnt lgkmcnt(0)
	v_lshrrev_b32_e32 v26, 16, v17
	v_or_b32_sdwa v23, v23, v15 dst_sel:DWORD dst_unused:UNUSED_PAD src0_sel:DWORD src1_sel:WORD_0
	v_cndmask_b32_e32 v15, v17, v15, vcc_lo
	v_cndmask_b32_e32 v17, v35, v17, vcc_lo
	v_or_b32_sdwa v25, v25, v33 dst_sel:DWORD dst_unused:UNUSED_PAD src0_sel:DWORD src1_sel:WORD_0
	v_cndmask_b32_e32 v20, v20, v26, vcc_lo
	v_cndmask_b32_e32 v24, v26, v24, vcc_lo
	v_or_b32_sdwa v21, v21, v32 dst_sel:DWORD dst_unused:UNUSED_PAD src0_sel:DWORD src1_sel:WORD_0
	v_cmp_le_u16_e64 s1, v15, v17
	v_or_b32_sdwa v22, v22, v35 dst_sel:DWORD dst_unused:UNUSED_PAD src0_sel:DWORD src1_sel:WORD_0
	v_lshlrev_b32_e32 v20, 16, v20
	v_lshlrev_b32_e32 v24, 16, v24
	v_cmp_le_u32_e64 s2, s14, v16
	s_and_b32 s0, s0, s1
	v_or_b32_sdwa v14, v20, v17 dst_sel:DWORD dst_unused:UNUSED_PAD src0_sel:DWORD src1_sel:WORD_0
	v_or_b32_sdwa v15, v24, v15 dst_sel:DWORD dst_unused:UNUSED_PAD src0_sel:DWORD src1_sel:WORD_0
	v_cndmask_b32_e64 v20, v21, v25, s4
	v_cndmask_b32_e32 v21, v23, v22, vcc_lo
	s_or_b32 vcc_lo, s2, s0
	v_cndmask_b32_e32 v22, v15, v14, vcc_lo
.LBB406_58:
	s_or_b32 exec_lo, exec_lo, s7
	v_and_b32_e32 v14, 0x3fc, v0
	s_mov_b32 s9, 0
	s_sub_i32 s4, s20, s8
	s_lshl_b64 s[2:3], s[8:9], 1
	v_lshl_add_u32 v23, v8, 2, v14
	s_add_u32 s0, s18, s2
	s_addc_u32 s1, s19, s3
	s_barrier
	buffer_gl0_inv
	ds_write2_b32 v23, v10, v11 offset1:1
	v_lshrrev_b32_e32 v17, 3, v1
	v_lshrrev_b32_e32 v16, 3, v2
	;; [unrolled: 1-line block ×7, first 2 shown]
	s_add_u32 s2, s10, s2
	s_addc_u32 s3, s11, s3
	s_cmpk_gt_u32 s4, 0x1fff
	ds_write2_b32 v23, v13, v18 offset0:2 offset1:3
	ds_write2_b32 v23, v19, v20 offset0:4 offset1:5
	;; [unrolled: 1-line block ×3, first 2 shown]
	s_waitcnt lgkmcnt(0)
	s_cbranch_scc0 .LBB406_60
; %bb.59:
	v_lshrrev_b32_e32 v13, 3, v0
	v_and_b32_e32 v18, 0xfc, v17
	v_and_b32_e32 v19, 0x1fc, v16
	;; [unrolled: 1-line block ×6, first 2 shown]
	s_barrier
	buffer_gl0_inv
	v_and_b32_e32 v23, 0x3fc, v10
	v_add_nc_u32_e32 v13, v13, v9
	v_and_b32_e32 v24, 0x3fc, v8
	v_add_co_u32 v26, s5, s0, v12
	v_add_co_ci_u32_e64 v27, null, s1, 0, s5
	ds_read_b32 v25, v13
	v_add_nc_u32_e32 v13, v18, v9
	v_add_nc_u32_e32 v18, v19, v9
	;; [unrolled: 1-line block ×7, first 2 shown]
	ds_read_b32 v24, v13 offset:4096
	ds_read_b32 v30, v18 offset:8192
	;; [unrolled: 1-line block ×7, first 2 shown]
	v_add_co_u32 v28, s5, s2, v12
	v_add_co_ci_u32_e64 v29, null, s3, 0, s5
	v_add_co_u32 v18, vcc_lo, v26, 0x1000
	v_add_co_ci_u32_e64 v19, null, 0, v27, vcc_lo
	v_add_co_u32 v20, vcc_lo, v28, 0x1000
	v_add_co_ci_u32_e64 v21, null, 0, v29, vcc_lo
	;; [unrolled: 2-line block ×3, first 2 shown]
	s_waitcnt lgkmcnt(7)
	global_store_short v12, v25, s[0:1]
	global_store_short_d16_hi v12, v25, s[2:3]
	s_waitcnt lgkmcnt(6)
	global_store_short v[18:19], v24, off offset:-2048
	global_store_short_d16_hi v[20:21], v24, off offset:-2048
	s_waitcnt lgkmcnt(5)
	global_store_short v[18:19], v30, off
	global_store_short_d16_hi v[20:21], v30, off
	s_waitcnt lgkmcnt(4)
	global_store_short v[22:23], v31, off offset:-2048
	v_add_co_u32 v18, vcc_lo, v28, 0x2000
	v_add_co_ci_u32_e64 v19, null, 0, v29, vcc_lo
	v_add_co_u32 v20, vcc_lo, v26, 0x3000
	v_add_co_ci_u32_e64 v21, null, 0, v27, vcc_lo
	;; [unrolled: 2-line block ×3, first 2 shown]
	global_store_short_d16_hi v[18:19], v31, off offset:-2048
	s_waitcnt lgkmcnt(3)
	global_store_short v[22:23], v32, off
	global_store_short_d16_hi v[18:19], v32, off
	s_waitcnt lgkmcnt(2)
	global_store_short v[20:21], v33, off offset:-2048
	global_store_short_d16_hi v[24:25], v33, off offset:-2048
	s_waitcnt lgkmcnt(1)
	global_store_short v[20:21], v34, off
	s_mov_b32 s9, -1
	global_store_short_d16_hi v[24:25], v34, off
	s_cbranch_execz .LBB406_61
	s_branch .LBB406_70
.LBB406_60:
                                        ; implicit-def: $vgpr13
.LBB406_61:
	s_waitcnt lgkmcnt(0)
	v_and_b32_e32 v13, 0xfc, v17
	v_and_b32_e32 v16, 0x1fc, v16
	v_and_b32_e32 v15, 0x1fc, v15
	v_and_b32_e32 v14, 0x3fc, v14
	v_and_b32_e32 v11, 0x3fc, v11
	v_add_nc_u32_e32 v13, v13, v9
	v_and_b32_e32 v10, 0x3fc, v10
	v_and_b32_e32 v8, 0x3fc, v8
	v_add_nc_u32_e32 v16, v16, v9
	v_add_nc_u32_e32 v15, v15, v9
	;; [unrolled: 1-line block ×4, first 2 shown]
	s_barrier
	s_waitcnt_vscnt null, 0x0
	buffer_gl0_inv
	v_add_nc_u32_e32 v10, v10, v9
	v_add_nc_u32_e32 v8, v8, v9
	ds_read_b32 v19, v13 offset:4096
	ds_read_b32 v18, v16 offset:8192
	ds_read_b32 v17, v15 offset:12288
	ds_read_b32 v16, v14 offset:16384
	ds_read_b32 v15, v11 offset:20480
	ds_read_b32 v14, v10 offset:24576
	ds_read_b32 v13, v8 offset:28672
	v_add_co_u32 v10, s5, s0, v12
	v_add_co_ci_u32_e64 v11, null, s1, 0, s5
	v_add_co_u32 v8, s5, s2, v12
	v_add_co_ci_u32_e64 v9, null, s3, 0, s5
	s_mov_b32 s5, exec_lo
	v_cmpx_gt_u32_e64 s4, v0
	s_cbranch_execnz .LBB406_73
; %bb.62:
	s_or_b32 exec_lo, exec_lo, s5
	s_mov_b32 s5, exec_lo
	v_cmpx_gt_u32_e64 s4, v1
	s_cbranch_execnz .LBB406_74
.LBB406_63:
	s_or_b32 exec_lo, exec_lo, s5
	s_mov_b32 s5, exec_lo
	v_cmpx_gt_u32_e64 s4, v2
	s_cbranch_execnz .LBB406_75
.LBB406_64:
	s_or_b32 exec_lo, exec_lo, s5
	s_mov_b32 s5, exec_lo
	v_cmpx_gt_u32_e64 s4, v3
	s_cbranch_execnz .LBB406_76
.LBB406_65:
	s_or_b32 exec_lo, exec_lo, s5
	s_mov_b32 s5, exec_lo
	v_cmpx_gt_u32_e64 s4, v4
	s_cbranch_execnz .LBB406_77
.LBB406_66:
	s_or_b32 exec_lo, exec_lo, s5
	s_mov_b32 s5, exec_lo
	v_cmpx_gt_u32_e64 s4, v5
	s_cbranch_execnz .LBB406_78
.LBB406_67:
	s_or_b32 exec_lo, exec_lo, s5
	s_mov_b32 s5, exec_lo
	v_cmpx_gt_u32_e64 s4, v6
	s_cbranch_execz .LBB406_69
.LBB406_68:
	v_add_co_u32 v0, vcc_lo, 0x3000, v10
	v_add_co_ci_u32_e64 v1, null, 0, v11, vcc_lo
	v_add_co_u32 v2, vcc_lo, 0x3000, v8
	v_add_co_ci_u32_e64 v3, null, 0, v9, vcc_lo
	s_waitcnt lgkmcnt(1)
	global_store_short v[0:1], v14, off
	global_store_short_d16_hi v[2:3], v14, off
.LBB406_69:
	s_or_b32 exec_lo, exec_lo, s5
	v_cmp_gt_u32_e64 s9, s4, v7
.LBB406_70:
	s_and_saveexec_b32 s4, s9
	s_cbranch_execnz .LBB406_72
; %bb.71:
	s_endpgm
.LBB406_72:
	v_add_co_u32 v0, s0, s0, v12
	v_add_co_ci_u32_e64 v1, null, s1, 0, s0
	v_add_co_u32 v2, s0, s2, v12
	v_add_co_ci_u32_e64 v3, null, s3, 0, s0
	v_add_co_u32 v0, vcc_lo, 0x3800, v0
	v_add_co_ci_u32_e64 v1, null, 0, v1, vcc_lo
	v_add_co_u32 v2, vcc_lo, 0x3800, v2
	v_add_co_ci_u32_e64 v3, null, 0, v3, vcc_lo
	s_waitcnt lgkmcnt(0)
	global_store_short v[0:1], v13, off
	global_store_short_d16_hi v[2:3], v13, off
	s_endpgm
.LBB406_73:
	v_lshrrev_b32_e32 v20, 3, v0
	v_and_b32_e32 v20, 0x7c, v20
	v_lshl_add_u32 v0, v0, 2, v20
	ds_read_b32 v0, v0
	s_waitcnt lgkmcnt(0)
	global_store_short v[10:11], v0, off
	global_store_short_d16_hi v[8:9], v0, off
	s_or_b32 exec_lo, exec_lo, s5
	s_mov_b32 s5, exec_lo
	v_cmpx_gt_u32_e64 s4, v1
	s_cbranch_execz .LBB406_63
.LBB406_74:
	v_add_co_u32 v0, vcc_lo, 0x800, v10
	v_add_co_ci_u32_e64 v1, null, 0, v11, vcc_lo
	v_add_co_u32 v20, vcc_lo, 0x800, v8
	v_add_co_ci_u32_e64 v21, null, 0, v9, vcc_lo
	s_waitcnt lgkmcnt(6)
	global_store_short v[0:1], v19, off
	global_store_short_d16_hi v[20:21], v19, off
	s_or_b32 exec_lo, exec_lo, s5
	s_mov_b32 s5, exec_lo
	v_cmpx_gt_u32_e64 s4, v2
	s_cbranch_execz .LBB406_64
.LBB406_75:
	v_add_co_u32 v0, vcc_lo, 0x1000, v10
	v_add_co_ci_u32_e64 v1, null, 0, v11, vcc_lo
	s_waitcnt lgkmcnt(6)
	v_add_co_u32 v19, vcc_lo, 0x1000, v8
	v_add_co_ci_u32_e64 v20, null, 0, v9, vcc_lo
	s_waitcnt lgkmcnt(5)
	global_store_short v[0:1], v18, off
	global_store_short_d16_hi v[19:20], v18, off
	s_or_b32 exec_lo, exec_lo, s5
	s_mov_b32 s5, exec_lo
	v_cmpx_gt_u32_e64 s4, v3
	s_cbranch_execz .LBB406_65
.LBB406_76:
	v_add_co_u32 v0, vcc_lo, 0x1800, v10
	v_add_co_ci_u32_e64 v1, null, 0, v11, vcc_lo
	v_add_co_u32 v2, vcc_lo, 0x1800, v8
	v_add_co_ci_u32_e64 v3, null, 0, v9, vcc_lo
	s_waitcnt lgkmcnt(4)
	global_store_short v[0:1], v17, off
	global_store_short_d16_hi v[2:3], v17, off
	s_or_b32 exec_lo, exec_lo, s5
	s_mov_b32 s5, exec_lo
	v_cmpx_gt_u32_e64 s4, v4
	s_cbranch_execz .LBB406_66
.LBB406_77:
	v_add_co_u32 v0, vcc_lo, 0x2000, v10
	v_add_co_ci_u32_e64 v1, null, 0, v11, vcc_lo
	v_add_co_u32 v2, vcc_lo, 0x2000, v8
	v_add_co_ci_u32_e64 v3, null, 0, v9, vcc_lo
	s_waitcnt lgkmcnt(3)
	global_store_short v[0:1], v16, off
	global_store_short_d16_hi v[2:3], v16, off
	s_or_b32 exec_lo, exec_lo, s5
	s_mov_b32 s5, exec_lo
	v_cmpx_gt_u32_e64 s4, v5
	s_cbranch_execz .LBB406_67
.LBB406_78:
	v_add_co_u32 v0, vcc_lo, 0x2800, v10
	v_add_co_ci_u32_e64 v1, null, 0, v11, vcc_lo
	v_add_co_u32 v2, vcc_lo, 0x2800, v8
	v_add_co_ci_u32_e64 v3, null, 0, v9, vcc_lo
	s_waitcnt lgkmcnt(2)
	global_store_short v[0:1], v15, off
	global_store_short_d16_hi v[2:3], v15, off
	s_or_b32 exec_lo, exec_lo, s5
	s_mov_b32 s5, exec_lo
	v_cmpx_gt_u32_e64 s4, v6
	s_cbranch_execnz .LBB406_68
	s_branch .LBB406_69
	.section	.rodata,"a",@progbits
	.p2align	6, 0x0
	.amdhsa_kernel _ZN7rocprim17ROCPRIM_400000_NS6detail17trampoline_kernelINS0_14default_configENS1_21merge_config_selectorINS0_5tupleIJttEEENS0_10empty_typeEEEZNS1_10merge_implIS3_NS0_12zip_iteratorINS5_IJN6thrust23THRUST_200600_302600_NS6detail15normal_iteratorINSC_10device_ptrIKtEEEESI_EEEEESK_NSA_INS5_IJNSE_INSF_ItEEEESM_EEEEEPS7_SP_SP_NSC_11hip_rocprim7__merge17predicate_wrapperIttNSC_7greaterItEEEEEE10hipError_tPvRmT0_T1_T2_T3_T4_T5_mmT6_P12ihipStream_tbEUlT_E0_NS1_11comp_targetILNS1_3genE8ELNS1_11target_archE1030ELNS1_3gpuE2ELNS1_3repE0EEENS1_30default_config_static_selectorELNS0_4arch9wavefront6targetE0EEEvS10_
		.amdhsa_group_segment_fixed_size 33792
		.amdhsa_private_segment_fixed_size 0
		.amdhsa_kernarg_size 112
		.amdhsa_user_sgpr_count 6
		.amdhsa_user_sgpr_private_segment_buffer 1
		.amdhsa_user_sgpr_dispatch_ptr 0
		.amdhsa_user_sgpr_queue_ptr 0
		.amdhsa_user_sgpr_kernarg_segment_ptr 1
		.amdhsa_user_sgpr_dispatch_id 0
		.amdhsa_user_sgpr_flat_scratch_init 0
		.amdhsa_user_sgpr_private_segment_size 0
		.amdhsa_wavefront_size32 1
		.amdhsa_uses_dynamic_stack 0
		.amdhsa_system_sgpr_private_segment_wavefront_offset 0
		.amdhsa_system_sgpr_workgroup_id_x 1
		.amdhsa_system_sgpr_workgroup_id_y 0
		.amdhsa_system_sgpr_workgroup_id_z 0
		.amdhsa_system_sgpr_workgroup_info 0
		.amdhsa_system_vgpr_workitem_id 0
		.amdhsa_next_free_vgpr 37
		.amdhsa_next_free_sgpr 26
		.amdhsa_reserve_vcc 1
		.amdhsa_reserve_flat_scratch 0
		.amdhsa_float_round_mode_32 0
		.amdhsa_float_round_mode_16_64 0
		.amdhsa_float_denorm_mode_32 3
		.amdhsa_float_denorm_mode_16_64 3
		.amdhsa_dx10_clamp 1
		.amdhsa_ieee_mode 1
		.amdhsa_fp16_overflow 0
		.amdhsa_workgroup_processor_mode 1
		.amdhsa_memory_ordered 1
		.amdhsa_forward_progress 1
		.amdhsa_shared_vgpr_count 0
		.amdhsa_exception_fp_ieee_invalid_op 0
		.amdhsa_exception_fp_denorm_src 0
		.amdhsa_exception_fp_ieee_div_zero 0
		.amdhsa_exception_fp_ieee_overflow 0
		.amdhsa_exception_fp_ieee_underflow 0
		.amdhsa_exception_fp_ieee_inexact 0
		.amdhsa_exception_int_div_zero 0
	.end_amdhsa_kernel
	.section	.text._ZN7rocprim17ROCPRIM_400000_NS6detail17trampoline_kernelINS0_14default_configENS1_21merge_config_selectorINS0_5tupleIJttEEENS0_10empty_typeEEEZNS1_10merge_implIS3_NS0_12zip_iteratorINS5_IJN6thrust23THRUST_200600_302600_NS6detail15normal_iteratorINSC_10device_ptrIKtEEEESI_EEEEESK_NSA_INS5_IJNSE_INSF_ItEEEESM_EEEEEPS7_SP_SP_NSC_11hip_rocprim7__merge17predicate_wrapperIttNSC_7greaterItEEEEEE10hipError_tPvRmT0_T1_T2_T3_T4_T5_mmT6_P12ihipStream_tbEUlT_E0_NS1_11comp_targetILNS1_3genE8ELNS1_11target_archE1030ELNS1_3gpuE2ELNS1_3repE0EEENS1_30default_config_static_selectorELNS0_4arch9wavefront6targetE0EEEvS10_,"axG",@progbits,_ZN7rocprim17ROCPRIM_400000_NS6detail17trampoline_kernelINS0_14default_configENS1_21merge_config_selectorINS0_5tupleIJttEEENS0_10empty_typeEEEZNS1_10merge_implIS3_NS0_12zip_iteratorINS5_IJN6thrust23THRUST_200600_302600_NS6detail15normal_iteratorINSC_10device_ptrIKtEEEESI_EEEEESK_NSA_INS5_IJNSE_INSF_ItEEEESM_EEEEEPS7_SP_SP_NSC_11hip_rocprim7__merge17predicate_wrapperIttNSC_7greaterItEEEEEE10hipError_tPvRmT0_T1_T2_T3_T4_T5_mmT6_P12ihipStream_tbEUlT_E0_NS1_11comp_targetILNS1_3genE8ELNS1_11target_archE1030ELNS1_3gpuE2ELNS1_3repE0EEENS1_30default_config_static_selectorELNS0_4arch9wavefront6targetE0EEEvS10_,comdat
.Lfunc_end406:
	.size	_ZN7rocprim17ROCPRIM_400000_NS6detail17trampoline_kernelINS0_14default_configENS1_21merge_config_selectorINS0_5tupleIJttEEENS0_10empty_typeEEEZNS1_10merge_implIS3_NS0_12zip_iteratorINS5_IJN6thrust23THRUST_200600_302600_NS6detail15normal_iteratorINSC_10device_ptrIKtEEEESI_EEEEESK_NSA_INS5_IJNSE_INSF_ItEEEESM_EEEEEPS7_SP_SP_NSC_11hip_rocprim7__merge17predicate_wrapperIttNSC_7greaterItEEEEEE10hipError_tPvRmT0_T1_T2_T3_T4_T5_mmT6_P12ihipStream_tbEUlT_E0_NS1_11comp_targetILNS1_3genE8ELNS1_11target_archE1030ELNS1_3gpuE2ELNS1_3repE0EEENS1_30default_config_static_selectorELNS0_4arch9wavefront6targetE0EEEvS10_, .Lfunc_end406-_ZN7rocprim17ROCPRIM_400000_NS6detail17trampoline_kernelINS0_14default_configENS1_21merge_config_selectorINS0_5tupleIJttEEENS0_10empty_typeEEEZNS1_10merge_implIS3_NS0_12zip_iteratorINS5_IJN6thrust23THRUST_200600_302600_NS6detail15normal_iteratorINSC_10device_ptrIKtEEEESI_EEEEESK_NSA_INS5_IJNSE_INSF_ItEEEESM_EEEEEPS7_SP_SP_NSC_11hip_rocprim7__merge17predicate_wrapperIttNSC_7greaterItEEEEEE10hipError_tPvRmT0_T1_T2_T3_T4_T5_mmT6_P12ihipStream_tbEUlT_E0_NS1_11comp_targetILNS1_3genE8ELNS1_11target_archE1030ELNS1_3gpuE2ELNS1_3repE0EEENS1_30default_config_static_selectorELNS0_4arch9wavefront6targetE0EEEvS10_
                                        ; -- End function
	.set _ZN7rocprim17ROCPRIM_400000_NS6detail17trampoline_kernelINS0_14default_configENS1_21merge_config_selectorINS0_5tupleIJttEEENS0_10empty_typeEEEZNS1_10merge_implIS3_NS0_12zip_iteratorINS5_IJN6thrust23THRUST_200600_302600_NS6detail15normal_iteratorINSC_10device_ptrIKtEEEESI_EEEEESK_NSA_INS5_IJNSE_INSF_ItEEEESM_EEEEEPS7_SP_SP_NSC_11hip_rocprim7__merge17predicate_wrapperIttNSC_7greaterItEEEEEE10hipError_tPvRmT0_T1_T2_T3_T4_T5_mmT6_P12ihipStream_tbEUlT_E0_NS1_11comp_targetILNS1_3genE8ELNS1_11target_archE1030ELNS1_3gpuE2ELNS1_3repE0EEENS1_30default_config_static_selectorELNS0_4arch9wavefront6targetE0EEEvS10_.num_vgpr, 37
	.set _ZN7rocprim17ROCPRIM_400000_NS6detail17trampoline_kernelINS0_14default_configENS1_21merge_config_selectorINS0_5tupleIJttEEENS0_10empty_typeEEEZNS1_10merge_implIS3_NS0_12zip_iteratorINS5_IJN6thrust23THRUST_200600_302600_NS6detail15normal_iteratorINSC_10device_ptrIKtEEEESI_EEEEESK_NSA_INS5_IJNSE_INSF_ItEEEESM_EEEEEPS7_SP_SP_NSC_11hip_rocprim7__merge17predicate_wrapperIttNSC_7greaterItEEEEEE10hipError_tPvRmT0_T1_T2_T3_T4_T5_mmT6_P12ihipStream_tbEUlT_E0_NS1_11comp_targetILNS1_3genE8ELNS1_11target_archE1030ELNS1_3gpuE2ELNS1_3repE0EEENS1_30default_config_static_selectorELNS0_4arch9wavefront6targetE0EEEvS10_.num_agpr, 0
	.set _ZN7rocprim17ROCPRIM_400000_NS6detail17trampoline_kernelINS0_14default_configENS1_21merge_config_selectorINS0_5tupleIJttEEENS0_10empty_typeEEEZNS1_10merge_implIS3_NS0_12zip_iteratorINS5_IJN6thrust23THRUST_200600_302600_NS6detail15normal_iteratorINSC_10device_ptrIKtEEEESI_EEEEESK_NSA_INS5_IJNSE_INSF_ItEEEESM_EEEEEPS7_SP_SP_NSC_11hip_rocprim7__merge17predicate_wrapperIttNSC_7greaterItEEEEEE10hipError_tPvRmT0_T1_T2_T3_T4_T5_mmT6_P12ihipStream_tbEUlT_E0_NS1_11comp_targetILNS1_3genE8ELNS1_11target_archE1030ELNS1_3gpuE2ELNS1_3repE0EEENS1_30default_config_static_selectorELNS0_4arch9wavefront6targetE0EEEvS10_.numbered_sgpr, 26
	.set _ZN7rocprim17ROCPRIM_400000_NS6detail17trampoline_kernelINS0_14default_configENS1_21merge_config_selectorINS0_5tupleIJttEEENS0_10empty_typeEEEZNS1_10merge_implIS3_NS0_12zip_iteratorINS5_IJN6thrust23THRUST_200600_302600_NS6detail15normal_iteratorINSC_10device_ptrIKtEEEESI_EEEEESK_NSA_INS5_IJNSE_INSF_ItEEEESM_EEEEEPS7_SP_SP_NSC_11hip_rocprim7__merge17predicate_wrapperIttNSC_7greaterItEEEEEE10hipError_tPvRmT0_T1_T2_T3_T4_T5_mmT6_P12ihipStream_tbEUlT_E0_NS1_11comp_targetILNS1_3genE8ELNS1_11target_archE1030ELNS1_3gpuE2ELNS1_3repE0EEENS1_30default_config_static_selectorELNS0_4arch9wavefront6targetE0EEEvS10_.num_named_barrier, 0
	.set _ZN7rocprim17ROCPRIM_400000_NS6detail17trampoline_kernelINS0_14default_configENS1_21merge_config_selectorINS0_5tupleIJttEEENS0_10empty_typeEEEZNS1_10merge_implIS3_NS0_12zip_iteratorINS5_IJN6thrust23THRUST_200600_302600_NS6detail15normal_iteratorINSC_10device_ptrIKtEEEESI_EEEEESK_NSA_INS5_IJNSE_INSF_ItEEEESM_EEEEEPS7_SP_SP_NSC_11hip_rocprim7__merge17predicate_wrapperIttNSC_7greaterItEEEEEE10hipError_tPvRmT0_T1_T2_T3_T4_T5_mmT6_P12ihipStream_tbEUlT_E0_NS1_11comp_targetILNS1_3genE8ELNS1_11target_archE1030ELNS1_3gpuE2ELNS1_3repE0EEENS1_30default_config_static_selectorELNS0_4arch9wavefront6targetE0EEEvS10_.private_seg_size, 0
	.set _ZN7rocprim17ROCPRIM_400000_NS6detail17trampoline_kernelINS0_14default_configENS1_21merge_config_selectorINS0_5tupleIJttEEENS0_10empty_typeEEEZNS1_10merge_implIS3_NS0_12zip_iteratorINS5_IJN6thrust23THRUST_200600_302600_NS6detail15normal_iteratorINSC_10device_ptrIKtEEEESI_EEEEESK_NSA_INS5_IJNSE_INSF_ItEEEESM_EEEEEPS7_SP_SP_NSC_11hip_rocprim7__merge17predicate_wrapperIttNSC_7greaterItEEEEEE10hipError_tPvRmT0_T1_T2_T3_T4_T5_mmT6_P12ihipStream_tbEUlT_E0_NS1_11comp_targetILNS1_3genE8ELNS1_11target_archE1030ELNS1_3gpuE2ELNS1_3repE0EEENS1_30default_config_static_selectorELNS0_4arch9wavefront6targetE0EEEvS10_.uses_vcc, 1
	.set _ZN7rocprim17ROCPRIM_400000_NS6detail17trampoline_kernelINS0_14default_configENS1_21merge_config_selectorINS0_5tupleIJttEEENS0_10empty_typeEEEZNS1_10merge_implIS3_NS0_12zip_iteratorINS5_IJN6thrust23THRUST_200600_302600_NS6detail15normal_iteratorINSC_10device_ptrIKtEEEESI_EEEEESK_NSA_INS5_IJNSE_INSF_ItEEEESM_EEEEEPS7_SP_SP_NSC_11hip_rocprim7__merge17predicate_wrapperIttNSC_7greaterItEEEEEE10hipError_tPvRmT0_T1_T2_T3_T4_T5_mmT6_P12ihipStream_tbEUlT_E0_NS1_11comp_targetILNS1_3genE8ELNS1_11target_archE1030ELNS1_3gpuE2ELNS1_3repE0EEENS1_30default_config_static_selectorELNS0_4arch9wavefront6targetE0EEEvS10_.uses_flat_scratch, 0
	.set _ZN7rocprim17ROCPRIM_400000_NS6detail17trampoline_kernelINS0_14default_configENS1_21merge_config_selectorINS0_5tupleIJttEEENS0_10empty_typeEEEZNS1_10merge_implIS3_NS0_12zip_iteratorINS5_IJN6thrust23THRUST_200600_302600_NS6detail15normal_iteratorINSC_10device_ptrIKtEEEESI_EEEEESK_NSA_INS5_IJNSE_INSF_ItEEEESM_EEEEEPS7_SP_SP_NSC_11hip_rocprim7__merge17predicate_wrapperIttNSC_7greaterItEEEEEE10hipError_tPvRmT0_T1_T2_T3_T4_T5_mmT6_P12ihipStream_tbEUlT_E0_NS1_11comp_targetILNS1_3genE8ELNS1_11target_archE1030ELNS1_3gpuE2ELNS1_3repE0EEENS1_30default_config_static_selectorELNS0_4arch9wavefront6targetE0EEEvS10_.has_dyn_sized_stack, 0
	.set _ZN7rocprim17ROCPRIM_400000_NS6detail17trampoline_kernelINS0_14default_configENS1_21merge_config_selectorINS0_5tupleIJttEEENS0_10empty_typeEEEZNS1_10merge_implIS3_NS0_12zip_iteratorINS5_IJN6thrust23THRUST_200600_302600_NS6detail15normal_iteratorINSC_10device_ptrIKtEEEESI_EEEEESK_NSA_INS5_IJNSE_INSF_ItEEEESM_EEEEEPS7_SP_SP_NSC_11hip_rocprim7__merge17predicate_wrapperIttNSC_7greaterItEEEEEE10hipError_tPvRmT0_T1_T2_T3_T4_T5_mmT6_P12ihipStream_tbEUlT_E0_NS1_11comp_targetILNS1_3genE8ELNS1_11target_archE1030ELNS1_3gpuE2ELNS1_3repE0EEENS1_30default_config_static_selectorELNS0_4arch9wavefront6targetE0EEEvS10_.has_recursion, 0
	.set _ZN7rocprim17ROCPRIM_400000_NS6detail17trampoline_kernelINS0_14default_configENS1_21merge_config_selectorINS0_5tupleIJttEEENS0_10empty_typeEEEZNS1_10merge_implIS3_NS0_12zip_iteratorINS5_IJN6thrust23THRUST_200600_302600_NS6detail15normal_iteratorINSC_10device_ptrIKtEEEESI_EEEEESK_NSA_INS5_IJNSE_INSF_ItEEEESM_EEEEEPS7_SP_SP_NSC_11hip_rocprim7__merge17predicate_wrapperIttNSC_7greaterItEEEEEE10hipError_tPvRmT0_T1_T2_T3_T4_T5_mmT6_P12ihipStream_tbEUlT_E0_NS1_11comp_targetILNS1_3genE8ELNS1_11target_archE1030ELNS1_3gpuE2ELNS1_3repE0EEENS1_30default_config_static_selectorELNS0_4arch9wavefront6targetE0EEEvS10_.has_indirect_call, 0
	.section	.AMDGPU.csdata,"",@progbits
; Kernel info:
; codeLenInByte = 4348
; TotalNumSgprs: 28
; NumVgprs: 37
; ScratchSize: 0
; MemoryBound: 0
; FloatMode: 240
; IeeeMode: 1
; LDSByteSize: 33792 bytes/workgroup (compile time only)
; SGPRBlocks: 0
; VGPRBlocks: 4
; NumSGPRsForWavesPerEU: 28
; NumVGPRsForWavesPerEU: 37
; Occupancy: 16
; WaveLimiterHint : 1
; COMPUTE_PGM_RSRC2:SCRATCH_EN: 0
; COMPUTE_PGM_RSRC2:USER_SGPR: 6
; COMPUTE_PGM_RSRC2:TRAP_HANDLER: 0
; COMPUTE_PGM_RSRC2:TGID_X_EN: 1
; COMPUTE_PGM_RSRC2:TGID_Y_EN: 0
; COMPUTE_PGM_RSRC2:TGID_Z_EN: 0
; COMPUTE_PGM_RSRC2:TIDIG_COMP_CNT: 0
	.section	.text._ZN7rocprim17ROCPRIM_400000_NS6detail17trampoline_kernelINS0_14default_configENS1_21merge_config_selectorINS0_5tupleIJxxEEENS0_10empty_typeEEEZNS1_10merge_implIS3_NS0_12zip_iteratorINS5_IJN6thrust23THRUST_200600_302600_NS6detail15normal_iteratorINSC_10device_ptrIKxEEEESI_EEEEESK_NSA_INS5_IJNSE_INSF_IxEEEESM_EEEEEPS7_SP_SP_NSC_11hip_rocprim7__merge17predicate_wrapperIxxNSC_7greaterIxEEEEEE10hipError_tPvRmT0_T1_T2_T3_T4_T5_mmT6_P12ihipStream_tbEUlT_E_NS1_11comp_targetILNS1_3genE0ELNS1_11target_archE4294967295ELNS1_3gpuE0ELNS1_3repE0EEENS1_30default_config_static_selectorELNS0_4arch9wavefront6targetE0EEEvS10_,"axG",@progbits,_ZN7rocprim17ROCPRIM_400000_NS6detail17trampoline_kernelINS0_14default_configENS1_21merge_config_selectorINS0_5tupleIJxxEEENS0_10empty_typeEEEZNS1_10merge_implIS3_NS0_12zip_iteratorINS5_IJN6thrust23THRUST_200600_302600_NS6detail15normal_iteratorINSC_10device_ptrIKxEEEESI_EEEEESK_NSA_INS5_IJNSE_INSF_IxEEEESM_EEEEEPS7_SP_SP_NSC_11hip_rocprim7__merge17predicate_wrapperIxxNSC_7greaterIxEEEEEE10hipError_tPvRmT0_T1_T2_T3_T4_T5_mmT6_P12ihipStream_tbEUlT_E_NS1_11comp_targetILNS1_3genE0ELNS1_11target_archE4294967295ELNS1_3gpuE0ELNS1_3repE0EEENS1_30default_config_static_selectorELNS0_4arch9wavefront6targetE0EEEvS10_,comdat
	.protected	_ZN7rocprim17ROCPRIM_400000_NS6detail17trampoline_kernelINS0_14default_configENS1_21merge_config_selectorINS0_5tupleIJxxEEENS0_10empty_typeEEEZNS1_10merge_implIS3_NS0_12zip_iteratorINS5_IJN6thrust23THRUST_200600_302600_NS6detail15normal_iteratorINSC_10device_ptrIKxEEEESI_EEEEESK_NSA_INS5_IJNSE_INSF_IxEEEESM_EEEEEPS7_SP_SP_NSC_11hip_rocprim7__merge17predicate_wrapperIxxNSC_7greaterIxEEEEEE10hipError_tPvRmT0_T1_T2_T3_T4_T5_mmT6_P12ihipStream_tbEUlT_E_NS1_11comp_targetILNS1_3genE0ELNS1_11target_archE4294967295ELNS1_3gpuE0ELNS1_3repE0EEENS1_30default_config_static_selectorELNS0_4arch9wavefront6targetE0EEEvS10_ ; -- Begin function _ZN7rocprim17ROCPRIM_400000_NS6detail17trampoline_kernelINS0_14default_configENS1_21merge_config_selectorINS0_5tupleIJxxEEENS0_10empty_typeEEEZNS1_10merge_implIS3_NS0_12zip_iteratorINS5_IJN6thrust23THRUST_200600_302600_NS6detail15normal_iteratorINSC_10device_ptrIKxEEEESI_EEEEESK_NSA_INS5_IJNSE_INSF_IxEEEESM_EEEEEPS7_SP_SP_NSC_11hip_rocprim7__merge17predicate_wrapperIxxNSC_7greaterIxEEEEEE10hipError_tPvRmT0_T1_T2_T3_T4_T5_mmT6_P12ihipStream_tbEUlT_E_NS1_11comp_targetILNS1_3genE0ELNS1_11target_archE4294967295ELNS1_3gpuE0ELNS1_3repE0EEENS1_30default_config_static_selectorELNS0_4arch9wavefront6targetE0EEEvS10_
	.globl	_ZN7rocprim17ROCPRIM_400000_NS6detail17trampoline_kernelINS0_14default_configENS1_21merge_config_selectorINS0_5tupleIJxxEEENS0_10empty_typeEEEZNS1_10merge_implIS3_NS0_12zip_iteratorINS5_IJN6thrust23THRUST_200600_302600_NS6detail15normal_iteratorINSC_10device_ptrIKxEEEESI_EEEEESK_NSA_INS5_IJNSE_INSF_IxEEEESM_EEEEEPS7_SP_SP_NSC_11hip_rocprim7__merge17predicate_wrapperIxxNSC_7greaterIxEEEEEE10hipError_tPvRmT0_T1_T2_T3_T4_T5_mmT6_P12ihipStream_tbEUlT_E_NS1_11comp_targetILNS1_3genE0ELNS1_11target_archE4294967295ELNS1_3gpuE0ELNS1_3repE0EEENS1_30default_config_static_selectorELNS0_4arch9wavefront6targetE0EEEvS10_
	.p2align	8
	.type	_ZN7rocprim17ROCPRIM_400000_NS6detail17trampoline_kernelINS0_14default_configENS1_21merge_config_selectorINS0_5tupleIJxxEEENS0_10empty_typeEEEZNS1_10merge_implIS3_NS0_12zip_iteratorINS5_IJN6thrust23THRUST_200600_302600_NS6detail15normal_iteratorINSC_10device_ptrIKxEEEESI_EEEEESK_NSA_INS5_IJNSE_INSF_IxEEEESM_EEEEEPS7_SP_SP_NSC_11hip_rocprim7__merge17predicate_wrapperIxxNSC_7greaterIxEEEEEE10hipError_tPvRmT0_T1_T2_T3_T4_T5_mmT6_P12ihipStream_tbEUlT_E_NS1_11comp_targetILNS1_3genE0ELNS1_11target_archE4294967295ELNS1_3gpuE0ELNS1_3repE0EEENS1_30default_config_static_selectorELNS0_4arch9wavefront6targetE0EEEvS10_,@function
_ZN7rocprim17ROCPRIM_400000_NS6detail17trampoline_kernelINS0_14default_configENS1_21merge_config_selectorINS0_5tupleIJxxEEENS0_10empty_typeEEEZNS1_10merge_implIS3_NS0_12zip_iteratorINS5_IJN6thrust23THRUST_200600_302600_NS6detail15normal_iteratorINSC_10device_ptrIKxEEEESI_EEEEESK_NSA_INS5_IJNSE_INSF_IxEEEESM_EEEEEPS7_SP_SP_NSC_11hip_rocprim7__merge17predicate_wrapperIxxNSC_7greaterIxEEEEEE10hipError_tPvRmT0_T1_T2_T3_T4_T5_mmT6_P12ihipStream_tbEUlT_E_NS1_11comp_targetILNS1_3genE0ELNS1_11target_archE4294967295ELNS1_3gpuE0ELNS1_3repE0EEENS1_30default_config_static_selectorELNS0_4arch9wavefront6targetE0EEEvS10_: ; @_ZN7rocprim17ROCPRIM_400000_NS6detail17trampoline_kernelINS0_14default_configENS1_21merge_config_selectorINS0_5tupleIJxxEEENS0_10empty_typeEEEZNS1_10merge_implIS3_NS0_12zip_iteratorINS5_IJN6thrust23THRUST_200600_302600_NS6detail15normal_iteratorINSC_10device_ptrIKxEEEESI_EEEEESK_NSA_INS5_IJNSE_INSF_IxEEEESM_EEEEEPS7_SP_SP_NSC_11hip_rocprim7__merge17predicate_wrapperIxxNSC_7greaterIxEEEEEE10hipError_tPvRmT0_T1_T2_T3_T4_T5_mmT6_P12ihipStream_tbEUlT_E_NS1_11comp_targetILNS1_3genE0ELNS1_11target_archE4294967295ELNS1_3gpuE0ELNS1_3repE0EEENS1_30default_config_static_selectorELNS0_4arch9wavefront6targetE0EEEvS10_
; %bb.0:
	.section	.rodata,"a",@progbits
	.p2align	6, 0x0
	.amdhsa_kernel _ZN7rocprim17ROCPRIM_400000_NS6detail17trampoline_kernelINS0_14default_configENS1_21merge_config_selectorINS0_5tupleIJxxEEENS0_10empty_typeEEEZNS1_10merge_implIS3_NS0_12zip_iteratorINS5_IJN6thrust23THRUST_200600_302600_NS6detail15normal_iteratorINSC_10device_ptrIKxEEEESI_EEEEESK_NSA_INS5_IJNSE_INSF_IxEEEESM_EEEEEPS7_SP_SP_NSC_11hip_rocprim7__merge17predicate_wrapperIxxNSC_7greaterIxEEEEEE10hipError_tPvRmT0_T1_T2_T3_T4_T5_mmT6_P12ihipStream_tbEUlT_E_NS1_11comp_targetILNS1_3genE0ELNS1_11target_archE4294967295ELNS1_3gpuE0ELNS1_3repE0EEENS1_30default_config_static_selectorELNS0_4arch9wavefront6targetE0EEEvS10_
		.amdhsa_group_segment_fixed_size 0
		.amdhsa_private_segment_fixed_size 0
		.amdhsa_kernarg_size 64
		.amdhsa_user_sgpr_count 6
		.amdhsa_user_sgpr_private_segment_buffer 1
		.amdhsa_user_sgpr_dispatch_ptr 0
		.amdhsa_user_sgpr_queue_ptr 0
		.amdhsa_user_sgpr_kernarg_segment_ptr 1
		.amdhsa_user_sgpr_dispatch_id 0
		.amdhsa_user_sgpr_flat_scratch_init 0
		.amdhsa_user_sgpr_private_segment_size 0
		.amdhsa_wavefront_size32 1
		.amdhsa_uses_dynamic_stack 0
		.amdhsa_system_sgpr_private_segment_wavefront_offset 0
		.amdhsa_system_sgpr_workgroup_id_x 1
		.amdhsa_system_sgpr_workgroup_id_y 0
		.amdhsa_system_sgpr_workgroup_id_z 0
		.amdhsa_system_sgpr_workgroup_info 0
		.amdhsa_system_vgpr_workitem_id 0
		.amdhsa_next_free_vgpr 1
		.amdhsa_next_free_sgpr 1
		.amdhsa_reserve_vcc 0
		.amdhsa_reserve_flat_scratch 0
		.amdhsa_float_round_mode_32 0
		.amdhsa_float_round_mode_16_64 0
		.amdhsa_float_denorm_mode_32 3
		.amdhsa_float_denorm_mode_16_64 3
		.amdhsa_dx10_clamp 1
		.amdhsa_ieee_mode 1
		.amdhsa_fp16_overflow 0
		.amdhsa_workgroup_processor_mode 1
		.amdhsa_memory_ordered 1
		.amdhsa_forward_progress 1
		.amdhsa_shared_vgpr_count 0
		.amdhsa_exception_fp_ieee_invalid_op 0
		.amdhsa_exception_fp_denorm_src 0
		.amdhsa_exception_fp_ieee_div_zero 0
		.amdhsa_exception_fp_ieee_overflow 0
		.amdhsa_exception_fp_ieee_underflow 0
		.amdhsa_exception_fp_ieee_inexact 0
		.amdhsa_exception_int_div_zero 0
	.end_amdhsa_kernel
	.section	.text._ZN7rocprim17ROCPRIM_400000_NS6detail17trampoline_kernelINS0_14default_configENS1_21merge_config_selectorINS0_5tupleIJxxEEENS0_10empty_typeEEEZNS1_10merge_implIS3_NS0_12zip_iteratorINS5_IJN6thrust23THRUST_200600_302600_NS6detail15normal_iteratorINSC_10device_ptrIKxEEEESI_EEEEESK_NSA_INS5_IJNSE_INSF_IxEEEESM_EEEEEPS7_SP_SP_NSC_11hip_rocprim7__merge17predicate_wrapperIxxNSC_7greaterIxEEEEEE10hipError_tPvRmT0_T1_T2_T3_T4_T5_mmT6_P12ihipStream_tbEUlT_E_NS1_11comp_targetILNS1_3genE0ELNS1_11target_archE4294967295ELNS1_3gpuE0ELNS1_3repE0EEENS1_30default_config_static_selectorELNS0_4arch9wavefront6targetE0EEEvS10_,"axG",@progbits,_ZN7rocprim17ROCPRIM_400000_NS6detail17trampoline_kernelINS0_14default_configENS1_21merge_config_selectorINS0_5tupleIJxxEEENS0_10empty_typeEEEZNS1_10merge_implIS3_NS0_12zip_iteratorINS5_IJN6thrust23THRUST_200600_302600_NS6detail15normal_iteratorINSC_10device_ptrIKxEEEESI_EEEEESK_NSA_INS5_IJNSE_INSF_IxEEEESM_EEEEEPS7_SP_SP_NSC_11hip_rocprim7__merge17predicate_wrapperIxxNSC_7greaterIxEEEEEE10hipError_tPvRmT0_T1_T2_T3_T4_T5_mmT6_P12ihipStream_tbEUlT_E_NS1_11comp_targetILNS1_3genE0ELNS1_11target_archE4294967295ELNS1_3gpuE0ELNS1_3repE0EEENS1_30default_config_static_selectorELNS0_4arch9wavefront6targetE0EEEvS10_,comdat
.Lfunc_end407:
	.size	_ZN7rocprim17ROCPRIM_400000_NS6detail17trampoline_kernelINS0_14default_configENS1_21merge_config_selectorINS0_5tupleIJxxEEENS0_10empty_typeEEEZNS1_10merge_implIS3_NS0_12zip_iteratorINS5_IJN6thrust23THRUST_200600_302600_NS6detail15normal_iteratorINSC_10device_ptrIKxEEEESI_EEEEESK_NSA_INS5_IJNSE_INSF_IxEEEESM_EEEEEPS7_SP_SP_NSC_11hip_rocprim7__merge17predicate_wrapperIxxNSC_7greaterIxEEEEEE10hipError_tPvRmT0_T1_T2_T3_T4_T5_mmT6_P12ihipStream_tbEUlT_E_NS1_11comp_targetILNS1_3genE0ELNS1_11target_archE4294967295ELNS1_3gpuE0ELNS1_3repE0EEENS1_30default_config_static_selectorELNS0_4arch9wavefront6targetE0EEEvS10_, .Lfunc_end407-_ZN7rocprim17ROCPRIM_400000_NS6detail17trampoline_kernelINS0_14default_configENS1_21merge_config_selectorINS0_5tupleIJxxEEENS0_10empty_typeEEEZNS1_10merge_implIS3_NS0_12zip_iteratorINS5_IJN6thrust23THRUST_200600_302600_NS6detail15normal_iteratorINSC_10device_ptrIKxEEEESI_EEEEESK_NSA_INS5_IJNSE_INSF_IxEEEESM_EEEEEPS7_SP_SP_NSC_11hip_rocprim7__merge17predicate_wrapperIxxNSC_7greaterIxEEEEEE10hipError_tPvRmT0_T1_T2_T3_T4_T5_mmT6_P12ihipStream_tbEUlT_E_NS1_11comp_targetILNS1_3genE0ELNS1_11target_archE4294967295ELNS1_3gpuE0ELNS1_3repE0EEENS1_30default_config_static_selectorELNS0_4arch9wavefront6targetE0EEEvS10_
                                        ; -- End function
	.set _ZN7rocprim17ROCPRIM_400000_NS6detail17trampoline_kernelINS0_14default_configENS1_21merge_config_selectorINS0_5tupleIJxxEEENS0_10empty_typeEEEZNS1_10merge_implIS3_NS0_12zip_iteratorINS5_IJN6thrust23THRUST_200600_302600_NS6detail15normal_iteratorINSC_10device_ptrIKxEEEESI_EEEEESK_NSA_INS5_IJNSE_INSF_IxEEEESM_EEEEEPS7_SP_SP_NSC_11hip_rocprim7__merge17predicate_wrapperIxxNSC_7greaterIxEEEEEE10hipError_tPvRmT0_T1_T2_T3_T4_T5_mmT6_P12ihipStream_tbEUlT_E_NS1_11comp_targetILNS1_3genE0ELNS1_11target_archE4294967295ELNS1_3gpuE0ELNS1_3repE0EEENS1_30default_config_static_selectorELNS0_4arch9wavefront6targetE0EEEvS10_.num_vgpr, 0
	.set _ZN7rocprim17ROCPRIM_400000_NS6detail17trampoline_kernelINS0_14default_configENS1_21merge_config_selectorINS0_5tupleIJxxEEENS0_10empty_typeEEEZNS1_10merge_implIS3_NS0_12zip_iteratorINS5_IJN6thrust23THRUST_200600_302600_NS6detail15normal_iteratorINSC_10device_ptrIKxEEEESI_EEEEESK_NSA_INS5_IJNSE_INSF_IxEEEESM_EEEEEPS7_SP_SP_NSC_11hip_rocprim7__merge17predicate_wrapperIxxNSC_7greaterIxEEEEEE10hipError_tPvRmT0_T1_T2_T3_T4_T5_mmT6_P12ihipStream_tbEUlT_E_NS1_11comp_targetILNS1_3genE0ELNS1_11target_archE4294967295ELNS1_3gpuE0ELNS1_3repE0EEENS1_30default_config_static_selectorELNS0_4arch9wavefront6targetE0EEEvS10_.num_agpr, 0
	.set _ZN7rocprim17ROCPRIM_400000_NS6detail17trampoline_kernelINS0_14default_configENS1_21merge_config_selectorINS0_5tupleIJxxEEENS0_10empty_typeEEEZNS1_10merge_implIS3_NS0_12zip_iteratorINS5_IJN6thrust23THRUST_200600_302600_NS6detail15normal_iteratorINSC_10device_ptrIKxEEEESI_EEEEESK_NSA_INS5_IJNSE_INSF_IxEEEESM_EEEEEPS7_SP_SP_NSC_11hip_rocprim7__merge17predicate_wrapperIxxNSC_7greaterIxEEEEEE10hipError_tPvRmT0_T1_T2_T3_T4_T5_mmT6_P12ihipStream_tbEUlT_E_NS1_11comp_targetILNS1_3genE0ELNS1_11target_archE4294967295ELNS1_3gpuE0ELNS1_3repE0EEENS1_30default_config_static_selectorELNS0_4arch9wavefront6targetE0EEEvS10_.numbered_sgpr, 0
	.set _ZN7rocprim17ROCPRIM_400000_NS6detail17trampoline_kernelINS0_14default_configENS1_21merge_config_selectorINS0_5tupleIJxxEEENS0_10empty_typeEEEZNS1_10merge_implIS3_NS0_12zip_iteratorINS5_IJN6thrust23THRUST_200600_302600_NS6detail15normal_iteratorINSC_10device_ptrIKxEEEESI_EEEEESK_NSA_INS5_IJNSE_INSF_IxEEEESM_EEEEEPS7_SP_SP_NSC_11hip_rocprim7__merge17predicate_wrapperIxxNSC_7greaterIxEEEEEE10hipError_tPvRmT0_T1_T2_T3_T4_T5_mmT6_P12ihipStream_tbEUlT_E_NS1_11comp_targetILNS1_3genE0ELNS1_11target_archE4294967295ELNS1_3gpuE0ELNS1_3repE0EEENS1_30default_config_static_selectorELNS0_4arch9wavefront6targetE0EEEvS10_.num_named_barrier, 0
	.set _ZN7rocprim17ROCPRIM_400000_NS6detail17trampoline_kernelINS0_14default_configENS1_21merge_config_selectorINS0_5tupleIJxxEEENS0_10empty_typeEEEZNS1_10merge_implIS3_NS0_12zip_iteratorINS5_IJN6thrust23THRUST_200600_302600_NS6detail15normal_iteratorINSC_10device_ptrIKxEEEESI_EEEEESK_NSA_INS5_IJNSE_INSF_IxEEEESM_EEEEEPS7_SP_SP_NSC_11hip_rocprim7__merge17predicate_wrapperIxxNSC_7greaterIxEEEEEE10hipError_tPvRmT0_T1_T2_T3_T4_T5_mmT6_P12ihipStream_tbEUlT_E_NS1_11comp_targetILNS1_3genE0ELNS1_11target_archE4294967295ELNS1_3gpuE0ELNS1_3repE0EEENS1_30default_config_static_selectorELNS0_4arch9wavefront6targetE0EEEvS10_.private_seg_size, 0
	.set _ZN7rocprim17ROCPRIM_400000_NS6detail17trampoline_kernelINS0_14default_configENS1_21merge_config_selectorINS0_5tupleIJxxEEENS0_10empty_typeEEEZNS1_10merge_implIS3_NS0_12zip_iteratorINS5_IJN6thrust23THRUST_200600_302600_NS6detail15normal_iteratorINSC_10device_ptrIKxEEEESI_EEEEESK_NSA_INS5_IJNSE_INSF_IxEEEESM_EEEEEPS7_SP_SP_NSC_11hip_rocprim7__merge17predicate_wrapperIxxNSC_7greaterIxEEEEEE10hipError_tPvRmT0_T1_T2_T3_T4_T5_mmT6_P12ihipStream_tbEUlT_E_NS1_11comp_targetILNS1_3genE0ELNS1_11target_archE4294967295ELNS1_3gpuE0ELNS1_3repE0EEENS1_30default_config_static_selectorELNS0_4arch9wavefront6targetE0EEEvS10_.uses_vcc, 0
	.set _ZN7rocprim17ROCPRIM_400000_NS6detail17trampoline_kernelINS0_14default_configENS1_21merge_config_selectorINS0_5tupleIJxxEEENS0_10empty_typeEEEZNS1_10merge_implIS3_NS0_12zip_iteratorINS5_IJN6thrust23THRUST_200600_302600_NS6detail15normal_iteratorINSC_10device_ptrIKxEEEESI_EEEEESK_NSA_INS5_IJNSE_INSF_IxEEEESM_EEEEEPS7_SP_SP_NSC_11hip_rocprim7__merge17predicate_wrapperIxxNSC_7greaterIxEEEEEE10hipError_tPvRmT0_T1_T2_T3_T4_T5_mmT6_P12ihipStream_tbEUlT_E_NS1_11comp_targetILNS1_3genE0ELNS1_11target_archE4294967295ELNS1_3gpuE0ELNS1_3repE0EEENS1_30default_config_static_selectorELNS0_4arch9wavefront6targetE0EEEvS10_.uses_flat_scratch, 0
	.set _ZN7rocprim17ROCPRIM_400000_NS6detail17trampoline_kernelINS0_14default_configENS1_21merge_config_selectorINS0_5tupleIJxxEEENS0_10empty_typeEEEZNS1_10merge_implIS3_NS0_12zip_iteratorINS5_IJN6thrust23THRUST_200600_302600_NS6detail15normal_iteratorINSC_10device_ptrIKxEEEESI_EEEEESK_NSA_INS5_IJNSE_INSF_IxEEEESM_EEEEEPS7_SP_SP_NSC_11hip_rocprim7__merge17predicate_wrapperIxxNSC_7greaterIxEEEEEE10hipError_tPvRmT0_T1_T2_T3_T4_T5_mmT6_P12ihipStream_tbEUlT_E_NS1_11comp_targetILNS1_3genE0ELNS1_11target_archE4294967295ELNS1_3gpuE0ELNS1_3repE0EEENS1_30default_config_static_selectorELNS0_4arch9wavefront6targetE0EEEvS10_.has_dyn_sized_stack, 0
	.set _ZN7rocprim17ROCPRIM_400000_NS6detail17trampoline_kernelINS0_14default_configENS1_21merge_config_selectorINS0_5tupleIJxxEEENS0_10empty_typeEEEZNS1_10merge_implIS3_NS0_12zip_iteratorINS5_IJN6thrust23THRUST_200600_302600_NS6detail15normal_iteratorINSC_10device_ptrIKxEEEESI_EEEEESK_NSA_INS5_IJNSE_INSF_IxEEEESM_EEEEEPS7_SP_SP_NSC_11hip_rocprim7__merge17predicate_wrapperIxxNSC_7greaterIxEEEEEE10hipError_tPvRmT0_T1_T2_T3_T4_T5_mmT6_P12ihipStream_tbEUlT_E_NS1_11comp_targetILNS1_3genE0ELNS1_11target_archE4294967295ELNS1_3gpuE0ELNS1_3repE0EEENS1_30default_config_static_selectorELNS0_4arch9wavefront6targetE0EEEvS10_.has_recursion, 0
	.set _ZN7rocprim17ROCPRIM_400000_NS6detail17trampoline_kernelINS0_14default_configENS1_21merge_config_selectorINS0_5tupleIJxxEEENS0_10empty_typeEEEZNS1_10merge_implIS3_NS0_12zip_iteratorINS5_IJN6thrust23THRUST_200600_302600_NS6detail15normal_iteratorINSC_10device_ptrIKxEEEESI_EEEEESK_NSA_INS5_IJNSE_INSF_IxEEEESM_EEEEEPS7_SP_SP_NSC_11hip_rocprim7__merge17predicate_wrapperIxxNSC_7greaterIxEEEEEE10hipError_tPvRmT0_T1_T2_T3_T4_T5_mmT6_P12ihipStream_tbEUlT_E_NS1_11comp_targetILNS1_3genE0ELNS1_11target_archE4294967295ELNS1_3gpuE0ELNS1_3repE0EEENS1_30default_config_static_selectorELNS0_4arch9wavefront6targetE0EEEvS10_.has_indirect_call, 0
	.section	.AMDGPU.csdata,"",@progbits
; Kernel info:
; codeLenInByte = 0
; TotalNumSgprs: 0
; NumVgprs: 0
; ScratchSize: 0
; MemoryBound: 0
; FloatMode: 240
; IeeeMode: 1
; LDSByteSize: 0 bytes/workgroup (compile time only)
; SGPRBlocks: 0
; VGPRBlocks: 0
; NumSGPRsForWavesPerEU: 1
; NumVGPRsForWavesPerEU: 1
; Occupancy: 16
; WaveLimiterHint : 0
; COMPUTE_PGM_RSRC2:SCRATCH_EN: 0
; COMPUTE_PGM_RSRC2:USER_SGPR: 6
; COMPUTE_PGM_RSRC2:TRAP_HANDLER: 0
; COMPUTE_PGM_RSRC2:TGID_X_EN: 1
; COMPUTE_PGM_RSRC2:TGID_Y_EN: 0
; COMPUTE_PGM_RSRC2:TGID_Z_EN: 0
; COMPUTE_PGM_RSRC2:TIDIG_COMP_CNT: 0
	.section	.text._ZN7rocprim17ROCPRIM_400000_NS6detail17trampoline_kernelINS0_14default_configENS1_21merge_config_selectorINS0_5tupleIJxxEEENS0_10empty_typeEEEZNS1_10merge_implIS3_NS0_12zip_iteratorINS5_IJN6thrust23THRUST_200600_302600_NS6detail15normal_iteratorINSC_10device_ptrIKxEEEESI_EEEEESK_NSA_INS5_IJNSE_INSF_IxEEEESM_EEEEEPS7_SP_SP_NSC_11hip_rocprim7__merge17predicate_wrapperIxxNSC_7greaterIxEEEEEE10hipError_tPvRmT0_T1_T2_T3_T4_T5_mmT6_P12ihipStream_tbEUlT_E_NS1_11comp_targetILNS1_3genE5ELNS1_11target_archE942ELNS1_3gpuE9ELNS1_3repE0EEENS1_30default_config_static_selectorELNS0_4arch9wavefront6targetE0EEEvS10_,"axG",@progbits,_ZN7rocprim17ROCPRIM_400000_NS6detail17trampoline_kernelINS0_14default_configENS1_21merge_config_selectorINS0_5tupleIJxxEEENS0_10empty_typeEEEZNS1_10merge_implIS3_NS0_12zip_iteratorINS5_IJN6thrust23THRUST_200600_302600_NS6detail15normal_iteratorINSC_10device_ptrIKxEEEESI_EEEEESK_NSA_INS5_IJNSE_INSF_IxEEEESM_EEEEEPS7_SP_SP_NSC_11hip_rocprim7__merge17predicate_wrapperIxxNSC_7greaterIxEEEEEE10hipError_tPvRmT0_T1_T2_T3_T4_T5_mmT6_P12ihipStream_tbEUlT_E_NS1_11comp_targetILNS1_3genE5ELNS1_11target_archE942ELNS1_3gpuE9ELNS1_3repE0EEENS1_30default_config_static_selectorELNS0_4arch9wavefront6targetE0EEEvS10_,comdat
	.protected	_ZN7rocprim17ROCPRIM_400000_NS6detail17trampoline_kernelINS0_14default_configENS1_21merge_config_selectorINS0_5tupleIJxxEEENS0_10empty_typeEEEZNS1_10merge_implIS3_NS0_12zip_iteratorINS5_IJN6thrust23THRUST_200600_302600_NS6detail15normal_iteratorINSC_10device_ptrIKxEEEESI_EEEEESK_NSA_INS5_IJNSE_INSF_IxEEEESM_EEEEEPS7_SP_SP_NSC_11hip_rocprim7__merge17predicate_wrapperIxxNSC_7greaterIxEEEEEE10hipError_tPvRmT0_T1_T2_T3_T4_T5_mmT6_P12ihipStream_tbEUlT_E_NS1_11comp_targetILNS1_3genE5ELNS1_11target_archE942ELNS1_3gpuE9ELNS1_3repE0EEENS1_30default_config_static_selectorELNS0_4arch9wavefront6targetE0EEEvS10_ ; -- Begin function _ZN7rocprim17ROCPRIM_400000_NS6detail17trampoline_kernelINS0_14default_configENS1_21merge_config_selectorINS0_5tupleIJxxEEENS0_10empty_typeEEEZNS1_10merge_implIS3_NS0_12zip_iteratorINS5_IJN6thrust23THRUST_200600_302600_NS6detail15normal_iteratorINSC_10device_ptrIKxEEEESI_EEEEESK_NSA_INS5_IJNSE_INSF_IxEEEESM_EEEEEPS7_SP_SP_NSC_11hip_rocprim7__merge17predicate_wrapperIxxNSC_7greaterIxEEEEEE10hipError_tPvRmT0_T1_T2_T3_T4_T5_mmT6_P12ihipStream_tbEUlT_E_NS1_11comp_targetILNS1_3genE5ELNS1_11target_archE942ELNS1_3gpuE9ELNS1_3repE0EEENS1_30default_config_static_selectorELNS0_4arch9wavefront6targetE0EEEvS10_
	.globl	_ZN7rocprim17ROCPRIM_400000_NS6detail17trampoline_kernelINS0_14default_configENS1_21merge_config_selectorINS0_5tupleIJxxEEENS0_10empty_typeEEEZNS1_10merge_implIS3_NS0_12zip_iteratorINS5_IJN6thrust23THRUST_200600_302600_NS6detail15normal_iteratorINSC_10device_ptrIKxEEEESI_EEEEESK_NSA_INS5_IJNSE_INSF_IxEEEESM_EEEEEPS7_SP_SP_NSC_11hip_rocprim7__merge17predicate_wrapperIxxNSC_7greaterIxEEEEEE10hipError_tPvRmT0_T1_T2_T3_T4_T5_mmT6_P12ihipStream_tbEUlT_E_NS1_11comp_targetILNS1_3genE5ELNS1_11target_archE942ELNS1_3gpuE9ELNS1_3repE0EEENS1_30default_config_static_selectorELNS0_4arch9wavefront6targetE0EEEvS10_
	.p2align	8
	.type	_ZN7rocprim17ROCPRIM_400000_NS6detail17trampoline_kernelINS0_14default_configENS1_21merge_config_selectorINS0_5tupleIJxxEEENS0_10empty_typeEEEZNS1_10merge_implIS3_NS0_12zip_iteratorINS5_IJN6thrust23THRUST_200600_302600_NS6detail15normal_iteratorINSC_10device_ptrIKxEEEESI_EEEEESK_NSA_INS5_IJNSE_INSF_IxEEEESM_EEEEEPS7_SP_SP_NSC_11hip_rocprim7__merge17predicate_wrapperIxxNSC_7greaterIxEEEEEE10hipError_tPvRmT0_T1_T2_T3_T4_T5_mmT6_P12ihipStream_tbEUlT_E_NS1_11comp_targetILNS1_3genE5ELNS1_11target_archE942ELNS1_3gpuE9ELNS1_3repE0EEENS1_30default_config_static_selectorELNS0_4arch9wavefront6targetE0EEEvS10_,@function
_ZN7rocprim17ROCPRIM_400000_NS6detail17trampoline_kernelINS0_14default_configENS1_21merge_config_selectorINS0_5tupleIJxxEEENS0_10empty_typeEEEZNS1_10merge_implIS3_NS0_12zip_iteratorINS5_IJN6thrust23THRUST_200600_302600_NS6detail15normal_iteratorINSC_10device_ptrIKxEEEESI_EEEEESK_NSA_INS5_IJNSE_INSF_IxEEEESM_EEEEEPS7_SP_SP_NSC_11hip_rocprim7__merge17predicate_wrapperIxxNSC_7greaterIxEEEEEE10hipError_tPvRmT0_T1_T2_T3_T4_T5_mmT6_P12ihipStream_tbEUlT_E_NS1_11comp_targetILNS1_3genE5ELNS1_11target_archE942ELNS1_3gpuE9ELNS1_3repE0EEENS1_30default_config_static_selectorELNS0_4arch9wavefront6targetE0EEEvS10_: ; @_ZN7rocprim17ROCPRIM_400000_NS6detail17trampoline_kernelINS0_14default_configENS1_21merge_config_selectorINS0_5tupleIJxxEEENS0_10empty_typeEEEZNS1_10merge_implIS3_NS0_12zip_iteratorINS5_IJN6thrust23THRUST_200600_302600_NS6detail15normal_iteratorINSC_10device_ptrIKxEEEESI_EEEEESK_NSA_INS5_IJNSE_INSF_IxEEEESM_EEEEEPS7_SP_SP_NSC_11hip_rocprim7__merge17predicate_wrapperIxxNSC_7greaterIxEEEEEE10hipError_tPvRmT0_T1_T2_T3_T4_T5_mmT6_P12ihipStream_tbEUlT_E_NS1_11comp_targetILNS1_3genE5ELNS1_11target_archE942ELNS1_3gpuE9ELNS1_3repE0EEENS1_30default_config_static_selectorELNS0_4arch9wavefront6targetE0EEEvS10_
; %bb.0:
	.section	.rodata,"a",@progbits
	.p2align	6, 0x0
	.amdhsa_kernel _ZN7rocprim17ROCPRIM_400000_NS6detail17trampoline_kernelINS0_14default_configENS1_21merge_config_selectorINS0_5tupleIJxxEEENS0_10empty_typeEEEZNS1_10merge_implIS3_NS0_12zip_iteratorINS5_IJN6thrust23THRUST_200600_302600_NS6detail15normal_iteratorINSC_10device_ptrIKxEEEESI_EEEEESK_NSA_INS5_IJNSE_INSF_IxEEEESM_EEEEEPS7_SP_SP_NSC_11hip_rocprim7__merge17predicate_wrapperIxxNSC_7greaterIxEEEEEE10hipError_tPvRmT0_T1_T2_T3_T4_T5_mmT6_P12ihipStream_tbEUlT_E_NS1_11comp_targetILNS1_3genE5ELNS1_11target_archE942ELNS1_3gpuE9ELNS1_3repE0EEENS1_30default_config_static_selectorELNS0_4arch9wavefront6targetE0EEEvS10_
		.amdhsa_group_segment_fixed_size 0
		.amdhsa_private_segment_fixed_size 0
		.amdhsa_kernarg_size 64
		.amdhsa_user_sgpr_count 6
		.amdhsa_user_sgpr_private_segment_buffer 1
		.amdhsa_user_sgpr_dispatch_ptr 0
		.amdhsa_user_sgpr_queue_ptr 0
		.amdhsa_user_sgpr_kernarg_segment_ptr 1
		.amdhsa_user_sgpr_dispatch_id 0
		.amdhsa_user_sgpr_flat_scratch_init 0
		.amdhsa_user_sgpr_private_segment_size 0
		.amdhsa_wavefront_size32 1
		.amdhsa_uses_dynamic_stack 0
		.amdhsa_system_sgpr_private_segment_wavefront_offset 0
		.amdhsa_system_sgpr_workgroup_id_x 1
		.amdhsa_system_sgpr_workgroup_id_y 0
		.amdhsa_system_sgpr_workgroup_id_z 0
		.amdhsa_system_sgpr_workgroup_info 0
		.amdhsa_system_vgpr_workitem_id 0
		.amdhsa_next_free_vgpr 1
		.amdhsa_next_free_sgpr 1
		.amdhsa_reserve_vcc 0
		.amdhsa_reserve_flat_scratch 0
		.amdhsa_float_round_mode_32 0
		.amdhsa_float_round_mode_16_64 0
		.amdhsa_float_denorm_mode_32 3
		.amdhsa_float_denorm_mode_16_64 3
		.amdhsa_dx10_clamp 1
		.amdhsa_ieee_mode 1
		.amdhsa_fp16_overflow 0
		.amdhsa_workgroup_processor_mode 1
		.amdhsa_memory_ordered 1
		.amdhsa_forward_progress 1
		.amdhsa_shared_vgpr_count 0
		.amdhsa_exception_fp_ieee_invalid_op 0
		.amdhsa_exception_fp_denorm_src 0
		.amdhsa_exception_fp_ieee_div_zero 0
		.amdhsa_exception_fp_ieee_overflow 0
		.amdhsa_exception_fp_ieee_underflow 0
		.amdhsa_exception_fp_ieee_inexact 0
		.amdhsa_exception_int_div_zero 0
	.end_amdhsa_kernel
	.section	.text._ZN7rocprim17ROCPRIM_400000_NS6detail17trampoline_kernelINS0_14default_configENS1_21merge_config_selectorINS0_5tupleIJxxEEENS0_10empty_typeEEEZNS1_10merge_implIS3_NS0_12zip_iteratorINS5_IJN6thrust23THRUST_200600_302600_NS6detail15normal_iteratorINSC_10device_ptrIKxEEEESI_EEEEESK_NSA_INS5_IJNSE_INSF_IxEEEESM_EEEEEPS7_SP_SP_NSC_11hip_rocprim7__merge17predicate_wrapperIxxNSC_7greaterIxEEEEEE10hipError_tPvRmT0_T1_T2_T3_T4_T5_mmT6_P12ihipStream_tbEUlT_E_NS1_11comp_targetILNS1_3genE5ELNS1_11target_archE942ELNS1_3gpuE9ELNS1_3repE0EEENS1_30default_config_static_selectorELNS0_4arch9wavefront6targetE0EEEvS10_,"axG",@progbits,_ZN7rocprim17ROCPRIM_400000_NS6detail17trampoline_kernelINS0_14default_configENS1_21merge_config_selectorINS0_5tupleIJxxEEENS0_10empty_typeEEEZNS1_10merge_implIS3_NS0_12zip_iteratorINS5_IJN6thrust23THRUST_200600_302600_NS6detail15normal_iteratorINSC_10device_ptrIKxEEEESI_EEEEESK_NSA_INS5_IJNSE_INSF_IxEEEESM_EEEEEPS7_SP_SP_NSC_11hip_rocprim7__merge17predicate_wrapperIxxNSC_7greaterIxEEEEEE10hipError_tPvRmT0_T1_T2_T3_T4_T5_mmT6_P12ihipStream_tbEUlT_E_NS1_11comp_targetILNS1_3genE5ELNS1_11target_archE942ELNS1_3gpuE9ELNS1_3repE0EEENS1_30default_config_static_selectorELNS0_4arch9wavefront6targetE0EEEvS10_,comdat
.Lfunc_end408:
	.size	_ZN7rocprim17ROCPRIM_400000_NS6detail17trampoline_kernelINS0_14default_configENS1_21merge_config_selectorINS0_5tupleIJxxEEENS0_10empty_typeEEEZNS1_10merge_implIS3_NS0_12zip_iteratorINS5_IJN6thrust23THRUST_200600_302600_NS6detail15normal_iteratorINSC_10device_ptrIKxEEEESI_EEEEESK_NSA_INS5_IJNSE_INSF_IxEEEESM_EEEEEPS7_SP_SP_NSC_11hip_rocprim7__merge17predicate_wrapperIxxNSC_7greaterIxEEEEEE10hipError_tPvRmT0_T1_T2_T3_T4_T5_mmT6_P12ihipStream_tbEUlT_E_NS1_11comp_targetILNS1_3genE5ELNS1_11target_archE942ELNS1_3gpuE9ELNS1_3repE0EEENS1_30default_config_static_selectorELNS0_4arch9wavefront6targetE0EEEvS10_, .Lfunc_end408-_ZN7rocprim17ROCPRIM_400000_NS6detail17trampoline_kernelINS0_14default_configENS1_21merge_config_selectorINS0_5tupleIJxxEEENS0_10empty_typeEEEZNS1_10merge_implIS3_NS0_12zip_iteratorINS5_IJN6thrust23THRUST_200600_302600_NS6detail15normal_iteratorINSC_10device_ptrIKxEEEESI_EEEEESK_NSA_INS5_IJNSE_INSF_IxEEEESM_EEEEEPS7_SP_SP_NSC_11hip_rocprim7__merge17predicate_wrapperIxxNSC_7greaterIxEEEEEE10hipError_tPvRmT0_T1_T2_T3_T4_T5_mmT6_P12ihipStream_tbEUlT_E_NS1_11comp_targetILNS1_3genE5ELNS1_11target_archE942ELNS1_3gpuE9ELNS1_3repE0EEENS1_30default_config_static_selectorELNS0_4arch9wavefront6targetE0EEEvS10_
                                        ; -- End function
	.set _ZN7rocprim17ROCPRIM_400000_NS6detail17trampoline_kernelINS0_14default_configENS1_21merge_config_selectorINS0_5tupleIJxxEEENS0_10empty_typeEEEZNS1_10merge_implIS3_NS0_12zip_iteratorINS5_IJN6thrust23THRUST_200600_302600_NS6detail15normal_iteratorINSC_10device_ptrIKxEEEESI_EEEEESK_NSA_INS5_IJNSE_INSF_IxEEEESM_EEEEEPS7_SP_SP_NSC_11hip_rocprim7__merge17predicate_wrapperIxxNSC_7greaterIxEEEEEE10hipError_tPvRmT0_T1_T2_T3_T4_T5_mmT6_P12ihipStream_tbEUlT_E_NS1_11comp_targetILNS1_3genE5ELNS1_11target_archE942ELNS1_3gpuE9ELNS1_3repE0EEENS1_30default_config_static_selectorELNS0_4arch9wavefront6targetE0EEEvS10_.num_vgpr, 0
	.set _ZN7rocprim17ROCPRIM_400000_NS6detail17trampoline_kernelINS0_14default_configENS1_21merge_config_selectorINS0_5tupleIJxxEEENS0_10empty_typeEEEZNS1_10merge_implIS3_NS0_12zip_iteratorINS5_IJN6thrust23THRUST_200600_302600_NS6detail15normal_iteratorINSC_10device_ptrIKxEEEESI_EEEEESK_NSA_INS5_IJNSE_INSF_IxEEEESM_EEEEEPS7_SP_SP_NSC_11hip_rocprim7__merge17predicate_wrapperIxxNSC_7greaterIxEEEEEE10hipError_tPvRmT0_T1_T2_T3_T4_T5_mmT6_P12ihipStream_tbEUlT_E_NS1_11comp_targetILNS1_3genE5ELNS1_11target_archE942ELNS1_3gpuE9ELNS1_3repE0EEENS1_30default_config_static_selectorELNS0_4arch9wavefront6targetE0EEEvS10_.num_agpr, 0
	.set _ZN7rocprim17ROCPRIM_400000_NS6detail17trampoline_kernelINS0_14default_configENS1_21merge_config_selectorINS0_5tupleIJxxEEENS0_10empty_typeEEEZNS1_10merge_implIS3_NS0_12zip_iteratorINS5_IJN6thrust23THRUST_200600_302600_NS6detail15normal_iteratorINSC_10device_ptrIKxEEEESI_EEEEESK_NSA_INS5_IJNSE_INSF_IxEEEESM_EEEEEPS7_SP_SP_NSC_11hip_rocprim7__merge17predicate_wrapperIxxNSC_7greaterIxEEEEEE10hipError_tPvRmT0_T1_T2_T3_T4_T5_mmT6_P12ihipStream_tbEUlT_E_NS1_11comp_targetILNS1_3genE5ELNS1_11target_archE942ELNS1_3gpuE9ELNS1_3repE0EEENS1_30default_config_static_selectorELNS0_4arch9wavefront6targetE0EEEvS10_.numbered_sgpr, 0
	.set _ZN7rocprim17ROCPRIM_400000_NS6detail17trampoline_kernelINS0_14default_configENS1_21merge_config_selectorINS0_5tupleIJxxEEENS0_10empty_typeEEEZNS1_10merge_implIS3_NS0_12zip_iteratorINS5_IJN6thrust23THRUST_200600_302600_NS6detail15normal_iteratorINSC_10device_ptrIKxEEEESI_EEEEESK_NSA_INS5_IJNSE_INSF_IxEEEESM_EEEEEPS7_SP_SP_NSC_11hip_rocprim7__merge17predicate_wrapperIxxNSC_7greaterIxEEEEEE10hipError_tPvRmT0_T1_T2_T3_T4_T5_mmT6_P12ihipStream_tbEUlT_E_NS1_11comp_targetILNS1_3genE5ELNS1_11target_archE942ELNS1_3gpuE9ELNS1_3repE0EEENS1_30default_config_static_selectorELNS0_4arch9wavefront6targetE0EEEvS10_.num_named_barrier, 0
	.set _ZN7rocprim17ROCPRIM_400000_NS6detail17trampoline_kernelINS0_14default_configENS1_21merge_config_selectorINS0_5tupleIJxxEEENS0_10empty_typeEEEZNS1_10merge_implIS3_NS0_12zip_iteratorINS5_IJN6thrust23THRUST_200600_302600_NS6detail15normal_iteratorINSC_10device_ptrIKxEEEESI_EEEEESK_NSA_INS5_IJNSE_INSF_IxEEEESM_EEEEEPS7_SP_SP_NSC_11hip_rocprim7__merge17predicate_wrapperIxxNSC_7greaterIxEEEEEE10hipError_tPvRmT0_T1_T2_T3_T4_T5_mmT6_P12ihipStream_tbEUlT_E_NS1_11comp_targetILNS1_3genE5ELNS1_11target_archE942ELNS1_3gpuE9ELNS1_3repE0EEENS1_30default_config_static_selectorELNS0_4arch9wavefront6targetE0EEEvS10_.private_seg_size, 0
	.set _ZN7rocprim17ROCPRIM_400000_NS6detail17trampoline_kernelINS0_14default_configENS1_21merge_config_selectorINS0_5tupleIJxxEEENS0_10empty_typeEEEZNS1_10merge_implIS3_NS0_12zip_iteratorINS5_IJN6thrust23THRUST_200600_302600_NS6detail15normal_iteratorINSC_10device_ptrIKxEEEESI_EEEEESK_NSA_INS5_IJNSE_INSF_IxEEEESM_EEEEEPS7_SP_SP_NSC_11hip_rocprim7__merge17predicate_wrapperIxxNSC_7greaterIxEEEEEE10hipError_tPvRmT0_T1_T2_T3_T4_T5_mmT6_P12ihipStream_tbEUlT_E_NS1_11comp_targetILNS1_3genE5ELNS1_11target_archE942ELNS1_3gpuE9ELNS1_3repE0EEENS1_30default_config_static_selectorELNS0_4arch9wavefront6targetE0EEEvS10_.uses_vcc, 0
	.set _ZN7rocprim17ROCPRIM_400000_NS6detail17trampoline_kernelINS0_14default_configENS1_21merge_config_selectorINS0_5tupleIJxxEEENS0_10empty_typeEEEZNS1_10merge_implIS3_NS0_12zip_iteratorINS5_IJN6thrust23THRUST_200600_302600_NS6detail15normal_iteratorINSC_10device_ptrIKxEEEESI_EEEEESK_NSA_INS5_IJNSE_INSF_IxEEEESM_EEEEEPS7_SP_SP_NSC_11hip_rocprim7__merge17predicate_wrapperIxxNSC_7greaterIxEEEEEE10hipError_tPvRmT0_T1_T2_T3_T4_T5_mmT6_P12ihipStream_tbEUlT_E_NS1_11comp_targetILNS1_3genE5ELNS1_11target_archE942ELNS1_3gpuE9ELNS1_3repE0EEENS1_30default_config_static_selectorELNS0_4arch9wavefront6targetE0EEEvS10_.uses_flat_scratch, 0
	.set _ZN7rocprim17ROCPRIM_400000_NS6detail17trampoline_kernelINS0_14default_configENS1_21merge_config_selectorINS0_5tupleIJxxEEENS0_10empty_typeEEEZNS1_10merge_implIS3_NS0_12zip_iteratorINS5_IJN6thrust23THRUST_200600_302600_NS6detail15normal_iteratorINSC_10device_ptrIKxEEEESI_EEEEESK_NSA_INS5_IJNSE_INSF_IxEEEESM_EEEEEPS7_SP_SP_NSC_11hip_rocprim7__merge17predicate_wrapperIxxNSC_7greaterIxEEEEEE10hipError_tPvRmT0_T1_T2_T3_T4_T5_mmT6_P12ihipStream_tbEUlT_E_NS1_11comp_targetILNS1_3genE5ELNS1_11target_archE942ELNS1_3gpuE9ELNS1_3repE0EEENS1_30default_config_static_selectorELNS0_4arch9wavefront6targetE0EEEvS10_.has_dyn_sized_stack, 0
	.set _ZN7rocprim17ROCPRIM_400000_NS6detail17trampoline_kernelINS0_14default_configENS1_21merge_config_selectorINS0_5tupleIJxxEEENS0_10empty_typeEEEZNS1_10merge_implIS3_NS0_12zip_iteratorINS5_IJN6thrust23THRUST_200600_302600_NS6detail15normal_iteratorINSC_10device_ptrIKxEEEESI_EEEEESK_NSA_INS5_IJNSE_INSF_IxEEEESM_EEEEEPS7_SP_SP_NSC_11hip_rocprim7__merge17predicate_wrapperIxxNSC_7greaterIxEEEEEE10hipError_tPvRmT0_T1_T2_T3_T4_T5_mmT6_P12ihipStream_tbEUlT_E_NS1_11comp_targetILNS1_3genE5ELNS1_11target_archE942ELNS1_3gpuE9ELNS1_3repE0EEENS1_30default_config_static_selectorELNS0_4arch9wavefront6targetE0EEEvS10_.has_recursion, 0
	.set _ZN7rocprim17ROCPRIM_400000_NS6detail17trampoline_kernelINS0_14default_configENS1_21merge_config_selectorINS0_5tupleIJxxEEENS0_10empty_typeEEEZNS1_10merge_implIS3_NS0_12zip_iteratorINS5_IJN6thrust23THRUST_200600_302600_NS6detail15normal_iteratorINSC_10device_ptrIKxEEEESI_EEEEESK_NSA_INS5_IJNSE_INSF_IxEEEESM_EEEEEPS7_SP_SP_NSC_11hip_rocprim7__merge17predicate_wrapperIxxNSC_7greaterIxEEEEEE10hipError_tPvRmT0_T1_T2_T3_T4_T5_mmT6_P12ihipStream_tbEUlT_E_NS1_11comp_targetILNS1_3genE5ELNS1_11target_archE942ELNS1_3gpuE9ELNS1_3repE0EEENS1_30default_config_static_selectorELNS0_4arch9wavefront6targetE0EEEvS10_.has_indirect_call, 0
	.section	.AMDGPU.csdata,"",@progbits
; Kernel info:
; codeLenInByte = 0
; TotalNumSgprs: 0
; NumVgprs: 0
; ScratchSize: 0
; MemoryBound: 0
; FloatMode: 240
; IeeeMode: 1
; LDSByteSize: 0 bytes/workgroup (compile time only)
; SGPRBlocks: 0
; VGPRBlocks: 0
; NumSGPRsForWavesPerEU: 1
; NumVGPRsForWavesPerEU: 1
; Occupancy: 16
; WaveLimiterHint : 0
; COMPUTE_PGM_RSRC2:SCRATCH_EN: 0
; COMPUTE_PGM_RSRC2:USER_SGPR: 6
; COMPUTE_PGM_RSRC2:TRAP_HANDLER: 0
; COMPUTE_PGM_RSRC2:TGID_X_EN: 1
; COMPUTE_PGM_RSRC2:TGID_Y_EN: 0
; COMPUTE_PGM_RSRC2:TGID_Z_EN: 0
; COMPUTE_PGM_RSRC2:TIDIG_COMP_CNT: 0
	.section	.text._ZN7rocprim17ROCPRIM_400000_NS6detail17trampoline_kernelINS0_14default_configENS1_21merge_config_selectorINS0_5tupleIJxxEEENS0_10empty_typeEEEZNS1_10merge_implIS3_NS0_12zip_iteratorINS5_IJN6thrust23THRUST_200600_302600_NS6detail15normal_iteratorINSC_10device_ptrIKxEEEESI_EEEEESK_NSA_INS5_IJNSE_INSF_IxEEEESM_EEEEEPS7_SP_SP_NSC_11hip_rocprim7__merge17predicate_wrapperIxxNSC_7greaterIxEEEEEE10hipError_tPvRmT0_T1_T2_T3_T4_T5_mmT6_P12ihipStream_tbEUlT_E_NS1_11comp_targetILNS1_3genE4ELNS1_11target_archE910ELNS1_3gpuE8ELNS1_3repE0EEENS1_30default_config_static_selectorELNS0_4arch9wavefront6targetE0EEEvS10_,"axG",@progbits,_ZN7rocprim17ROCPRIM_400000_NS6detail17trampoline_kernelINS0_14default_configENS1_21merge_config_selectorINS0_5tupleIJxxEEENS0_10empty_typeEEEZNS1_10merge_implIS3_NS0_12zip_iteratorINS5_IJN6thrust23THRUST_200600_302600_NS6detail15normal_iteratorINSC_10device_ptrIKxEEEESI_EEEEESK_NSA_INS5_IJNSE_INSF_IxEEEESM_EEEEEPS7_SP_SP_NSC_11hip_rocprim7__merge17predicate_wrapperIxxNSC_7greaterIxEEEEEE10hipError_tPvRmT0_T1_T2_T3_T4_T5_mmT6_P12ihipStream_tbEUlT_E_NS1_11comp_targetILNS1_3genE4ELNS1_11target_archE910ELNS1_3gpuE8ELNS1_3repE0EEENS1_30default_config_static_selectorELNS0_4arch9wavefront6targetE0EEEvS10_,comdat
	.protected	_ZN7rocprim17ROCPRIM_400000_NS6detail17trampoline_kernelINS0_14default_configENS1_21merge_config_selectorINS0_5tupleIJxxEEENS0_10empty_typeEEEZNS1_10merge_implIS3_NS0_12zip_iteratorINS5_IJN6thrust23THRUST_200600_302600_NS6detail15normal_iteratorINSC_10device_ptrIKxEEEESI_EEEEESK_NSA_INS5_IJNSE_INSF_IxEEEESM_EEEEEPS7_SP_SP_NSC_11hip_rocprim7__merge17predicate_wrapperIxxNSC_7greaterIxEEEEEE10hipError_tPvRmT0_T1_T2_T3_T4_T5_mmT6_P12ihipStream_tbEUlT_E_NS1_11comp_targetILNS1_3genE4ELNS1_11target_archE910ELNS1_3gpuE8ELNS1_3repE0EEENS1_30default_config_static_selectorELNS0_4arch9wavefront6targetE0EEEvS10_ ; -- Begin function _ZN7rocprim17ROCPRIM_400000_NS6detail17trampoline_kernelINS0_14default_configENS1_21merge_config_selectorINS0_5tupleIJxxEEENS0_10empty_typeEEEZNS1_10merge_implIS3_NS0_12zip_iteratorINS5_IJN6thrust23THRUST_200600_302600_NS6detail15normal_iteratorINSC_10device_ptrIKxEEEESI_EEEEESK_NSA_INS5_IJNSE_INSF_IxEEEESM_EEEEEPS7_SP_SP_NSC_11hip_rocprim7__merge17predicate_wrapperIxxNSC_7greaterIxEEEEEE10hipError_tPvRmT0_T1_T2_T3_T4_T5_mmT6_P12ihipStream_tbEUlT_E_NS1_11comp_targetILNS1_3genE4ELNS1_11target_archE910ELNS1_3gpuE8ELNS1_3repE0EEENS1_30default_config_static_selectorELNS0_4arch9wavefront6targetE0EEEvS10_
	.globl	_ZN7rocprim17ROCPRIM_400000_NS6detail17trampoline_kernelINS0_14default_configENS1_21merge_config_selectorINS0_5tupleIJxxEEENS0_10empty_typeEEEZNS1_10merge_implIS3_NS0_12zip_iteratorINS5_IJN6thrust23THRUST_200600_302600_NS6detail15normal_iteratorINSC_10device_ptrIKxEEEESI_EEEEESK_NSA_INS5_IJNSE_INSF_IxEEEESM_EEEEEPS7_SP_SP_NSC_11hip_rocprim7__merge17predicate_wrapperIxxNSC_7greaterIxEEEEEE10hipError_tPvRmT0_T1_T2_T3_T4_T5_mmT6_P12ihipStream_tbEUlT_E_NS1_11comp_targetILNS1_3genE4ELNS1_11target_archE910ELNS1_3gpuE8ELNS1_3repE0EEENS1_30default_config_static_selectorELNS0_4arch9wavefront6targetE0EEEvS10_
	.p2align	8
	.type	_ZN7rocprim17ROCPRIM_400000_NS6detail17trampoline_kernelINS0_14default_configENS1_21merge_config_selectorINS0_5tupleIJxxEEENS0_10empty_typeEEEZNS1_10merge_implIS3_NS0_12zip_iteratorINS5_IJN6thrust23THRUST_200600_302600_NS6detail15normal_iteratorINSC_10device_ptrIKxEEEESI_EEEEESK_NSA_INS5_IJNSE_INSF_IxEEEESM_EEEEEPS7_SP_SP_NSC_11hip_rocprim7__merge17predicate_wrapperIxxNSC_7greaterIxEEEEEE10hipError_tPvRmT0_T1_T2_T3_T4_T5_mmT6_P12ihipStream_tbEUlT_E_NS1_11comp_targetILNS1_3genE4ELNS1_11target_archE910ELNS1_3gpuE8ELNS1_3repE0EEENS1_30default_config_static_selectorELNS0_4arch9wavefront6targetE0EEEvS10_,@function
_ZN7rocprim17ROCPRIM_400000_NS6detail17trampoline_kernelINS0_14default_configENS1_21merge_config_selectorINS0_5tupleIJxxEEENS0_10empty_typeEEEZNS1_10merge_implIS3_NS0_12zip_iteratorINS5_IJN6thrust23THRUST_200600_302600_NS6detail15normal_iteratorINSC_10device_ptrIKxEEEESI_EEEEESK_NSA_INS5_IJNSE_INSF_IxEEEESM_EEEEEPS7_SP_SP_NSC_11hip_rocprim7__merge17predicate_wrapperIxxNSC_7greaterIxEEEEEE10hipError_tPvRmT0_T1_T2_T3_T4_T5_mmT6_P12ihipStream_tbEUlT_E_NS1_11comp_targetILNS1_3genE4ELNS1_11target_archE910ELNS1_3gpuE8ELNS1_3repE0EEENS1_30default_config_static_selectorELNS0_4arch9wavefront6targetE0EEEvS10_: ; @_ZN7rocprim17ROCPRIM_400000_NS6detail17trampoline_kernelINS0_14default_configENS1_21merge_config_selectorINS0_5tupleIJxxEEENS0_10empty_typeEEEZNS1_10merge_implIS3_NS0_12zip_iteratorINS5_IJN6thrust23THRUST_200600_302600_NS6detail15normal_iteratorINSC_10device_ptrIKxEEEESI_EEEEESK_NSA_INS5_IJNSE_INSF_IxEEEESM_EEEEEPS7_SP_SP_NSC_11hip_rocprim7__merge17predicate_wrapperIxxNSC_7greaterIxEEEEEE10hipError_tPvRmT0_T1_T2_T3_T4_T5_mmT6_P12ihipStream_tbEUlT_E_NS1_11comp_targetILNS1_3genE4ELNS1_11target_archE910ELNS1_3gpuE8ELNS1_3repE0EEENS1_30default_config_static_selectorELNS0_4arch9wavefront6targetE0EEEvS10_
; %bb.0:
	.section	.rodata,"a",@progbits
	.p2align	6, 0x0
	.amdhsa_kernel _ZN7rocprim17ROCPRIM_400000_NS6detail17trampoline_kernelINS0_14default_configENS1_21merge_config_selectorINS0_5tupleIJxxEEENS0_10empty_typeEEEZNS1_10merge_implIS3_NS0_12zip_iteratorINS5_IJN6thrust23THRUST_200600_302600_NS6detail15normal_iteratorINSC_10device_ptrIKxEEEESI_EEEEESK_NSA_INS5_IJNSE_INSF_IxEEEESM_EEEEEPS7_SP_SP_NSC_11hip_rocprim7__merge17predicate_wrapperIxxNSC_7greaterIxEEEEEE10hipError_tPvRmT0_T1_T2_T3_T4_T5_mmT6_P12ihipStream_tbEUlT_E_NS1_11comp_targetILNS1_3genE4ELNS1_11target_archE910ELNS1_3gpuE8ELNS1_3repE0EEENS1_30default_config_static_selectorELNS0_4arch9wavefront6targetE0EEEvS10_
		.amdhsa_group_segment_fixed_size 0
		.amdhsa_private_segment_fixed_size 0
		.amdhsa_kernarg_size 64
		.amdhsa_user_sgpr_count 6
		.amdhsa_user_sgpr_private_segment_buffer 1
		.amdhsa_user_sgpr_dispatch_ptr 0
		.amdhsa_user_sgpr_queue_ptr 0
		.amdhsa_user_sgpr_kernarg_segment_ptr 1
		.amdhsa_user_sgpr_dispatch_id 0
		.amdhsa_user_sgpr_flat_scratch_init 0
		.amdhsa_user_sgpr_private_segment_size 0
		.amdhsa_wavefront_size32 1
		.amdhsa_uses_dynamic_stack 0
		.amdhsa_system_sgpr_private_segment_wavefront_offset 0
		.amdhsa_system_sgpr_workgroup_id_x 1
		.amdhsa_system_sgpr_workgroup_id_y 0
		.amdhsa_system_sgpr_workgroup_id_z 0
		.amdhsa_system_sgpr_workgroup_info 0
		.amdhsa_system_vgpr_workitem_id 0
		.amdhsa_next_free_vgpr 1
		.amdhsa_next_free_sgpr 1
		.amdhsa_reserve_vcc 0
		.amdhsa_reserve_flat_scratch 0
		.amdhsa_float_round_mode_32 0
		.amdhsa_float_round_mode_16_64 0
		.amdhsa_float_denorm_mode_32 3
		.amdhsa_float_denorm_mode_16_64 3
		.amdhsa_dx10_clamp 1
		.amdhsa_ieee_mode 1
		.amdhsa_fp16_overflow 0
		.amdhsa_workgroup_processor_mode 1
		.amdhsa_memory_ordered 1
		.amdhsa_forward_progress 1
		.amdhsa_shared_vgpr_count 0
		.amdhsa_exception_fp_ieee_invalid_op 0
		.amdhsa_exception_fp_denorm_src 0
		.amdhsa_exception_fp_ieee_div_zero 0
		.amdhsa_exception_fp_ieee_overflow 0
		.amdhsa_exception_fp_ieee_underflow 0
		.amdhsa_exception_fp_ieee_inexact 0
		.amdhsa_exception_int_div_zero 0
	.end_amdhsa_kernel
	.section	.text._ZN7rocprim17ROCPRIM_400000_NS6detail17trampoline_kernelINS0_14default_configENS1_21merge_config_selectorINS0_5tupleIJxxEEENS0_10empty_typeEEEZNS1_10merge_implIS3_NS0_12zip_iteratorINS5_IJN6thrust23THRUST_200600_302600_NS6detail15normal_iteratorINSC_10device_ptrIKxEEEESI_EEEEESK_NSA_INS5_IJNSE_INSF_IxEEEESM_EEEEEPS7_SP_SP_NSC_11hip_rocprim7__merge17predicate_wrapperIxxNSC_7greaterIxEEEEEE10hipError_tPvRmT0_T1_T2_T3_T4_T5_mmT6_P12ihipStream_tbEUlT_E_NS1_11comp_targetILNS1_3genE4ELNS1_11target_archE910ELNS1_3gpuE8ELNS1_3repE0EEENS1_30default_config_static_selectorELNS0_4arch9wavefront6targetE0EEEvS10_,"axG",@progbits,_ZN7rocprim17ROCPRIM_400000_NS6detail17trampoline_kernelINS0_14default_configENS1_21merge_config_selectorINS0_5tupleIJxxEEENS0_10empty_typeEEEZNS1_10merge_implIS3_NS0_12zip_iteratorINS5_IJN6thrust23THRUST_200600_302600_NS6detail15normal_iteratorINSC_10device_ptrIKxEEEESI_EEEEESK_NSA_INS5_IJNSE_INSF_IxEEEESM_EEEEEPS7_SP_SP_NSC_11hip_rocprim7__merge17predicate_wrapperIxxNSC_7greaterIxEEEEEE10hipError_tPvRmT0_T1_T2_T3_T4_T5_mmT6_P12ihipStream_tbEUlT_E_NS1_11comp_targetILNS1_3genE4ELNS1_11target_archE910ELNS1_3gpuE8ELNS1_3repE0EEENS1_30default_config_static_selectorELNS0_4arch9wavefront6targetE0EEEvS10_,comdat
.Lfunc_end409:
	.size	_ZN7rocprim17ROCPRIM_400000_NS6detail17trampoline_kernelINS0_14default_configENS1_21merge_config_selectorINS0_5tupleIJxxEEENS0_10empty_typeEEEZNS1_10merge_implIS3_NS0_12zip_iteratorINS5_IJN6thrust23THRUST_200600_302600_NS6detail15normal_iteratorINSC_10device_ptrIKxEEEESI_EEEEESK_NSA_INS5_IJNSE_INSF_IxEEEESM_EEEEEPS7_SP_SP_NSC_11hip_rocprim7__merge17predicate_wrapperIxxNSC_7greaterIxEEEEEE10hipError_tPvRmT0_T1_T2_T3_T4_T5_mmT6_P12ihipStream_tbEUlT_E_NS1_11comp_targetILNS1_3genE4ELNS1_11target_archE910ELNS1_3gpuE8ELNS1_3repE0EEENS1_30default_config_static_selectorELNS0_4arch9wavefront6targetE0EEEvS10_, .Lfunc_end409-_ZN7rocprim17ROCPRIM_400000_NS6detail17trampoline_kernelINS0_14default_configENS1_21merge_config_selectorINS0_5tupleIJxxEEENS0_10empty_typeEEEZNS1_10merge_implIS3_NS0_12zip_iteratorINS5_IJN6thrust23THRUST_200600_302600_NS6detail15normal_iteratorINSC_10device_ptrIKxEEEESI_EEEEESK_NSA_INS5_IJNSE_INSF_IxEEEESM_EEEEEPS7_SP_SP_NSC_11hip_rocprim7__merge17predicate_wrapperIxxNSC_7greaterIxEEEEEE10hipError_tPvRmT0_T1_T2_T3_T4_T5_mmT6_P12ihipStream_tbEUlT_E_NS1_11comp_targetILNS1_3genE4ELNS1_11target_archE910ELNS1_3gpuE8ELNS1_3repE0EEENS1_30default_config_static_selectorELNS0_4arch9wavefront6targetE0EEEvS10_
                                        ; -- End function
	.set _ZN7rocprim17ROCPRIM_400000_NS6detail17trampoline_kernelINS0_14default_configENS1_21merge_config_selectorINS0_5tupleIJxxEEENS0_10empty_typeEEEZNS1_10merge_implIS3_NS0_12zip_iteratorINS5_IJN6thrust23THRUST_200600_302600_NS6detail15normal_iteratorINSC_10device_ptrIKxEEEESI_EEEEESK_NSA_INS5_IJNSE_INSF_IxEEEESM_EEEEEPS7_SP_SP_NSC_11hip_rocprim7__merge17predicate_wrapperIxxNSC_7greaterIxEEEEEE10hipError_tPvRmT0_T1_T2_T3_T4_T5_mmT6_P12ihipStream_tbEUlT_E_NS1_11comp_targetILNS1_3genE4ELNS1_11target_archE910ELNS1_3gpuE8ELNS1_3repE0EEENS1_30default_config_static_selectorELNS0_4arch9wavefront6targetE0EEEvS10_.num_vgpr, 0
	.set _ZN7rocprim17ROCPRIM_400000_NS6detail17trampoline_kernelINS0_14default_configENS1_21merge_config_selectorINS0_5tupleIJxxEEENS0_10empty_typeEEEZNS1_10merge_implIS3_NS0_12zip_iteratorINS5_IJN6thrust23THRUST_200600_302600_NS6detail15normal_iteratorINSC_10device_ptrIKxEEEESI_EEEEESK_NSA_INS5_IJNSE_INSF_IxEEEESM_EEEEEPS7_SP_SP_NSC_11hip_rocprim7__merge17predicate_wrapperIxxNSC_7greaterIxEEEEEE10hipError_tPvRmT0_T1_T2_T3_T4_T5_mmT6_P12ihipStream_tbEUlT_E_NS1_11comp_targetILNS1_3genE4ELNS1_11target_archE910ELNS1_3gpuE8ELNS1_3repE0EEENS1_30default_config_static_selectorELNS0_4arch9wavefront6targetE0EEEvS10_.num_agpr, 0
	.set _ZN7rocprim17ROCPRIM_400000_NS6detail17trampoline_kernelINS0_14default_configENS1_21merge_config_selectorINS0_5tupleIJxxEEENS0_10empty_typeEEEZNS1_10merge_implIS3_NS0_12zip_iteratorINS5_IJN6thrust23THRUST_200600_302600_NS6detail15normal_iteratorINSC_10device_ptrIKxEEEESI_EEEEESK_NSA_INS5_IJNSE_INSF_IxEEEESM_EEEEEPS7_SP_SP_NSC_11hip_rocprim7__merge17predicate_wrapperIxxNSC_7greaterIxEEEEEE10hipError_tPvRmT0_T1_T2_T3_T4_T5_mmT6_P12ihipStream_tbEUlT_E_NS1_11comp_targetILNS1_3genE4ELNS1_11target_archE910ELNS1_3gpuE8ELNS1_3repE0EEENS1_30default_config_static_selectorELNS0_4arch9wavefront6targetE0EEEvS10_.numbered_sgpr, 0
	.set _ZN7rocprim17ROCPRIM_400000_NS6detail17trampoline_kernelINS0_14default_configENS1_21merge_config_selectorINS0_5tupleIJxxEEENS0_10empty_typeEEEZNS1_10merge_implIS3_NS0_12zip_iteratorINS5_IJN6thrust23THRUST_200600_302600_NS6detail15normal_iteratorINSC_10device_ptrIKxEEEESI_EEEEESK_NSA_INS5_IJNSE_INSF_IxEEEESM_EEEEEPS7_SP_SP_NSC_11hip_rocprim7__merge17predicate_wrapperIxxNSC_7greaterIxEEEEEE10hipError_tPvRmT0_T1_T2_T3_T4_T5_mmT6_P12ihipStream_tbEUlT_E_NS1_11comp_targetILNS1_3genE4ELNS1_11target_archE910ELNS1_3gpuE8ELNS1_3repE0EEENS1_30default_config_static_selectorELNS0_4arch9wavefront6targetE0EEEvS10_.num_named_barrier, 0
	.set _ZN7rocprim17ROCPRIM_400000_NS6detail17trampoline_kernelINS0_14default_configENS1_21merge_config_selectorINS0_5tupleIJxxEEENS0_10empty_typeEEEZNS1_10merge_implIS3_NS0_12zip_iteratorINS5_IJN6thrust23THRUST_200600_302600_NS6detail15normal_iteratorINSC_10device_ptrIKxEEEESI_EEEEESK_NSA_INS5_IJNSE_INSF_IxEEEESM_EEEEEPS7_SP_SP_NSC_11hip_rocprim7__merge17predicate_wrapperIxxNSC_7greaterIxEEEEEE10hipError_tPvRmT0_T1_T2_T3_T4_T5_mmT6_P12ihipStream_tbEUlT_E_NS1_11comp_targetILNS1_3genE4ELNS1_11target_archE910ELNS1_3gpuE8ELNS1_3repE0EEENS1_30default_config_static_selectorELNS0_4arch9wavefront6targetE0EEEvS10_.private_seg_size, 0
	.set _ZN7rocprim17ROCPRIM_400000_NS6detail17trampoline_kernelINS0_14default_configENS1_21merge_config_selectorINS0_5tupleIJxxEEENS0_10empty_typeEEEZNS1_10merge_implIS3_NS0_12zip_iteratorINS5_IJN6thrust23THRUST_200600_302600_NS6detail15normal_iteratorINSC_10device_ptrIKxEEEESI_EEEEESK_NSA_INS5_IJNSE_INSF_IxEEEESM_EEEEEPS7_SP_SP_NSC_11hip_rocprim7__merge17predicate_wrapperIxxNSC_7greaterIxEEEEEE10hipError_tPvRmT0_T1_T2_T3_T4_T5_mmT6_P12ihipStream_tbEUlT_E_NS1_11comp_targetILNS1_3genE4ELNS1_11target_archE910ELNS1_3gpuE8ELNS1_3repE0EEENS1_30default_config_static_selectorELNS0_4arch9wavefront6targetE0EEEvS10_.uses_vcc, 0
	.set _ZN7rocprim17ROCPRIM_400000_NS6detail17trampoline_kernelINS0_14default_configENS1_21merge_config_selectorINS0_5tupleIJxxEEENS0_10empty_typeEEEZNS1_10merge_implIS3_NS0_12zip_iteratorINS5_IJN6thrust23THRUST_200600_302600_NS6detail15normal_iteratorINSC_10device_ptrIKxEEEESI_EEEEESK_NSA_INS5_IJNSE_INSF_IxEEEESM_EEEEEPS7_SP_SP_NSC_11hip_rocprim7__merge17predicate_wrapperIxxNSC_7greaterIxEEEEEE10hipError_tPvRmT0_T1_T2_T3_T4_T5_mmT6_P12ihipStream_tbEUlT_E_NS1_11comp_targetILNS1_3genE4ELNS1_11target_archE910ELNS1_3gpuE8ELNS1_3repE0EEENS1_30default_config_static_selectorELNS0_4arch9wavefront6targetE0EEEvS10_.uses_flat_scratch, 0
	.set _ZN7rocprim17ROCPRIM_400000_NS6detail17trampoline_kernelINS0_14default_configENS1_21merge_config_selectorINS0_5tupleIJxxEEENS0_10empty_typeEEEZNS1_10merge_implIS3_NS0_12zip_iteratorINS5_IJN6thrust23THRUST_200600_302600_NS6detail15normal_iteratorINSC_10device_ptrIKxEEEESI_EEEEESK_NSA_INS5_IJNSE_INSF_IxEEEESM_EEEEEPS7_SP_SP_NSC_11hip_rocprim7__merge17predicate_wrapperIxxNSC_7greaterIxEEEEEE10hipError_tPvRmT0_T1_T2_T3_T4_T5_mmT6_P12ihipStream_tbEUlT_E_NS1_11comp_targetILNS1_3genE4ELNS1_11target_archE910ELNS1_3gpuE8ELNS1_3repE0EEENS1_30default_config_static_selectorELNS0_4arch9wavefront6targetE0EEEvS10_.has_dyn_sized_stack, 0
	.set _ZN7rocprim17ROCPRIM_400000_NS6detail17trampoline_kernelINS0_14default_configENS1_21merge_config_selectorINS0_5tupleIJxxEEENS0_10empty_typeEEEZNS1_10merge_implIS3_NS0_12zip_iteratorINS5_IJN6thrust23THRUST_200600_302600_NS6detail15normal_iteratorINSC_10device_ptrIKxEEEESI_EEEEESK_NSA_INS5_IJNSE_INSF_IxEEEESM_EEEEEPS7_SP_SP_NSC_11hip_rocprim7__merge17predicate_wrapperIxxNSC_7greaterIxEEEEEE10hipError_tPvRmT0_T1_T2_T3_T4_T5_mmT6_P12ihipStream_tbEUlT_E_NS1_11comp_targetILNS1_3genE4ELNS1_11target_archE910ELNS1_3gpuE8ELNS1_3repE0EEENS1_30default_config_static_selectorELNS0_4arch9wavefront6targetE0EEEvS10_.has_recursion, 0
	.set _ZN7rocprim17ROCPRIM_400000_NS6detail17trampoline_kernelINS0_14default_configENS1_21merge_config_selectorINS0_5tupleIJxxEEENS0_10empty_typeEEEZNS1_10merge_implIS3_NS0_12zip_iteratorINS5_IJN6thrust23THRUST_200600_302600_NS6detail15normal_iteratorINSC_10device_ptrIKxEEEESI_EEEEESK_NSA_INS5_IJNSE_INSF_IxEEEESM_EEEEEPS7_SP_SP_NSC_11hip_rocprim7__merge17predicate_wrapperIxxNSC_7greaterIxEEEEEE10hipError_tPvRmT0_T1_T2_T3_T4_T5_mmT6_P12ihipStream_tbEUlT_E_NS1_11comp_targetILNS1_3genE4ELNS1_11target_archE910ELNS1_3gpuE8ELNS1_3repE0EEENS1_30default_config_static_selectorELNS0_4arch9wavefront6targetE0EEEvS10_.has_indirect_call, 0
	.section	.AMDGPU.csdata,"",@progbits
; Kernel info:
; codeLenInByte = 0
; TotalNumSgprs: 0
; NumVgprs: 0
; ScratchSize: 0
; MemoryBound: 0
; FloatMode: 240
; IeeeMode: 1
; LDSByteSize: 0 bytes/workgroup (compile time only)
; SGPRBlocks: 0
; VGPRBlocks: 0
; NumSGPRsForWavesPerEU: 1
; NumVGPRsForWavesPerEU: 1
; Occupancy: 16
; WaveLimiterHint : 0
; COMPUTE_PGM_RSRC2:SCRATCH_EN: 0
; COMPUTE_PGM_RSRC2:USER_SGPR: 6
; COMPUTE_PGM_RSRC2:TRAP_HANDLER: 0
; COMPUTE_PGM_RSRC2:TGID_X_EN: 1
; COMPUTE_PGM_RSRC2:TGID_Y_EN: 0
; COMPUTE_PGM_RSRC2:TGID_Z_EN: 0
; COMPUTE_PGM_RSRC2:TIDIG_COMP_CNT: 0
	.section	.text._ZN7rocprim17ROCPRIM_400000_NS6detail17trampoline_kernelINS0_14default_configENS1_21merge_config_selectorINS0_5tupleIJxxEEENS0_10empty_typeEEEZNS1_10merge_implIS3_NS0_12zip_iteratorINS5_IJN6thrust23THRUST_200600_302600_NS6detail15normal_iteratorINSC_10device_ptrIKxEEEESI_EEEEESK_NSA_INS5_IJNSE_INSF_IxEEEESM_EEEEEPS7_SP_SP_NSC_11hip_rocprim7__merge17predicate_wrapperIxxNSC_7greaterIxEEEEEE10hipError_tPvRmT0_T1_T2_T3_T4_T5_mmT6_P12ihipStream_tbEUlT_E_NS1_11comp_targetILNS1_3genE3ELNS1_11target_archE908ELNS1_3gpuE7ELNS1_3repE0EEENS1_30default_config_static_selectorELNS0_4arch9wavefront6targetE0EEEvS10_,"axG",@progbits,_ZN7rocprim17ROCPRIM_400000_NS6detail17trampoline_kernelINS0_14default_configENS1_21merge_config_selectorINS0_5tupleIJxxEEENS0_10empty_typeEEEZNS1_10merge_implIS3_NS0_12zip_iteratorINS5_IJN6thrust23THRUST_200600_302600_NS6detail15normal_iteratorINSC_10device_ptrIKxEEEESI_EEEEESK_NSA_INS5_IJNSE_INSF_IxEEEESM_EEEEEPS7_SP_SP_NSC_11hip_rocprim7__merge17predicate_wrapperIxxNSC_7greaterIxEEEEEE10hipError_tPvRmT0_T1_T2_T3_T4_T5_mmT6_P12ihipStream_tbEUlT_E_NS1_11comp_targetILNS1_3genE3ELNS1_11target_archE908ELNS1_3gpuE7ELNS1_3repE0EEENS1_30default_config_static_selectorELNS0_4arch9wavefront6targetE0EEEvS10_,comdat
	.protected	_ZN7rocprim17ROCPRIM_400000_NS6detail17trampoline_kernelINS0_14default_configENS1_21merge_config_selectorINS0_5tupleIJxxEEENS0_10empty_typeEEEZNS1_10merge_implIS3_NS0_12zip_iteratorINS5_IJN6thrust23THRUST_200600_302600_NS6detail15normal_iteratorINSC_10device_ptrIKxEEEESI_EEEEESK_NSA_INS5_IJNSE_INSF_IxEEEESM_EEEEEPS7_SP_SP_NSC_11hip_rocprim7__merge17predicate_wrapperIxxNSC_7greaterIxEEEEEE10hipError_tPvRmT0_T1_T2_T3_T4_T5_mmT6_P12ihipStream_tbEUlT_E_NS1_11comp_targetILNS1_3genE3ELNS1_11target_archE908ELNS1_3gpuE7ELNS1_3repE0EEENS1_30default_config_static_selectorELNS0_4arch9wavefront6targetE0EEEvS10_ ; -- Begin function _ZN7rocprim17ROCPRIM_400000_NS6detail17trampoline_kernelINS0_14default_configENS1_21merge_config_selectorINS0_5tupleIJxxEEENS0_10empty_typeEEEZNS1_10merge_implIS3_NS0_12zip_iteratorINS5_IJN6thrust23THRUST_200600_302600_NS6detail15normal_iteratorINSC_10device_ptrIKxEEEESI_EEEEESK_NSA_INS5_IJNSE_INSF_IxEEEESM_EEEEEPS7_SP_SP_NSC_11hip_rocprim7__merge17predicate_wrapperIxxNSC_7greaterIxEEEEEE10hipError_tPvRmT0_T1_T2_T3_T4_T5_mmT6_P12ihipStream_tbEUlT_E_NS1_11comp_targetILNS1_3genE3ELNS1_11target_archE908ELNS1_3gpuE7ELNS1_3repE0EEENS1_30default_config_static_selectorELNS0_4arch9wavefront6targetE0EEEvS10_
	.globl	_ZN7rocprim17ROCPRIM_400000_NS6detail17trampoline_kernelINS0_14default_configENS1_21merge_config_selectorINS0_5tupleIJxxEEENS0_10empty_typeEEEZNS1_10merge_implIS3_NS0_12zip_iteratorINS5_IJN6thrust23THRUST_200600_302600_NS6detail15normal_iteratorINSC_10device_ptrIKxEEEESI_EEEEESK_NSA_INS5_IJNSE_INSF_IxEEEESM_EEEEEPS7_SP_SP_NSC_11hip_rocprim7__merge17predicate_wrapperIxxNSC_7greaterIxEEEEEE10hipError_tPvRmT0_T1_T2_T3_T4_T5_mmT6_P12ihipStream_tbEUlT_E_NS1_11comp_targetILNS1_3genE3ELNS1_11target_archE908ELNS1_3gpuE7ELNS1_3repE0EEENS1_30default_config_static_selectorELNS0_4arch9wavefront6targetE0EEEvS10_
	.p2align	8
	.type	_ZN7rocprim17ROCPRIM_400000_NS6detail17trampoline_kernelINS0_14default_configENS1_21merge_config_selectorINS0_5tupleIJxxEEENS0_10empty_typeEEEZNS1_10merge_implIS3_NS0_12zip_iteratorINS5_IJN6thrust23THRUST_200600_302600_NS6detail15normal_iteratorINSC_10device_ptrIKxEEEESI_EEEEESK_NSA_INS5_IJNSE_INSF_IxEEEESM_EEEEEPS7_SP_SP_NSC_11hip_rocprim7__merge17predicate_wrapperIxxNSC_7greaterIxEEEEEE10hipError_tPvRmT0_T1_T2_T3_T4_T5_mmT6_P12ihipStream_tbEUlT_E_NS1_11comp_targetILNS1_3genE3ELNS1_11target_archE908ELNS1_3gpuE7ELNS1_3repE0EEENS1_30default_config_static_selectorELNS0_4arch9wavefront6targetE0EEEvS10_,@function
_ZN7rocprim17ROCPRIM_400000_NS6detail17trampoline_kernelINS0_14default_configENS1_21merge_config_selectorINS0_5tupleIJxxEEENS0_10empty_typeEEEZNS1_10merge_implIS3_NS0_12zip_iteratorINS5_IJN6thrust23THRUST_200600_302600_NS6detail15normal_iteratorINSC_10device_ptrIKxEEEESI_EEEEESK_NSA_INS5_IJNSE_INSF_IxEEEESM_EEEEEPS7_SP_SP_NSC_11hip_rocprim7__merge17predicate_wrapperIxxNSC_7greaterIxEEEEEE10hipError_tPvRmT0_T1_T2_T3_T4_T5_mmT6_P12ihipStream_tbEUlT_E_NS1_11comp_targetILNS1_3genE3ELNS1_11target_archE908ELNS1_3gpuE7ELNS1_3repE0EEENS1_30default_config_static_selectorELNS0_4arch9wavefront6targetE0EEEvS10_: ; @_ZN7rocprim17ROCPRIM_400000_NS6detail17trampoline_kernelINS0_14default_configENS1_21merge_config_selectorINS0_5tupleIJxxEEENS0_10empty_typeEEEZNS1_10merge_implIS3_NS0_12zip_iteratorINS5_IJN6thrust23THRUST_200600_302600_NS6detail15normal_iteratorINSC_10device_ptrIKxEEEESI_EEEEESK_NSA_INS5_IJNSE_INSF_IxEEEESM_EEEEEPS7_SP_SP_NSC_11hip_rocprim7__merge17predicate_wrapperIxxNSC_7greaterIxEEEEEE10hipError_tPvRmT0_T1_T2_T3_T4_T5_mmT6_P12ihipStream_tbEUlT_E_NS1_11comp_targetILNS1_3genE3ELNS1_11target_archE908ELNS1_3gpuE7ELNS1_3repE0EEENS1_30default_config_static_selectorELNS0_4arch9wavefront6targetE0EEEvS10_
; %bb.0:
	.section	.rodata,"a",@progbits
	.p2align	6, 0x0
	.amdhsa_kernel _ZN7rocprim17ROCPRIM_400000_NS6detail17trampoline_kernelINS0_14default_configENS1_21merge_config_selectorINS0_5tupleIJxxEEENS0_10empty_typeEEEZNS1_10merge_implIS3_NS0_12zip_iteratorINS5_IJN6thrust23THRUST_200600_302600_NS6detail15normal_iteratorINSC_10device_ptrIKxEEEESI_EEEEESK_NSA_INS5_IJNSE_INSF_IxEEEESM_EEEEEPS7_SP_SP_NSC_11hip_rocprim7__merge17predicate_wrapperIxxNSC_7greaterIxEEEEEE10hipError_tPvRmT0_T1_T2_T3_T4_T5_mmT6_P12ihipStream_tbEUlT_E_NS1_11comp_targetILNS1_3genE3ELNS1_11target_archE908ELNS1_3gpuE7ELNS1_3repE0EEENS1_30default_config_static_selectorELNS0_4arch9wavefront6targetE0EEEvS10_
		.amdhsa_group_segment_fixed_size 0
		.amdhsa_private_segment_fixed_size 0
		.amdhsa_kernarg_size 64
		.amdhsa_user_sgpr_count 6
		.amdhsa_user_sgpr_private_segment_buffer 1
		.amdhsa_user_sgpr_dispatch_ptr 0
		.amdhsa_user_sgpr_queue_ptr 0
		.amdhsa_user_sgpr_kernarg_segment_ptr 1
		.amdhsa_user_sgpr_dispatch_id 0
		.amdhsa_user_sgpr_flat_scratch_init 0
		.amdhsa_user_sgpr_private_segment_size 0
		.amdhsa_wavefront_size32 1
		.amdhsa_uses_dynamic_stack 0
		.amdhsa_system_sgpr_private_segment_wavefront_offset 0
		.amdhsa_system_sgpr_workgroup_id_x 1
		.amdhsa_system_sgpr_workgroup_id_y 0
		.amdhsa_system_sgpr_workgroup_id_z 0
		.amdhsa_system_sgpr_workgroup_info 0
		.amdhsa_system_vgpr_workitem_id 0
		.amdhsa_next_free_vgpr 1
		.amdhsa_next_free_sgpr 1
		.amdhsa_reserve_vcc 0
		.amdhsa_reserve_flat_scratch 0
		.amdhsa_float_round_mode_32 0
		.amdhsa_float_round_mode_16_64 0
		.amdhsa_float_denorm_mode_32 3
		.amdhsa_float_denorm_mode_16_64 3
		.amdhsa_dx10_clamp 1
		.amdhsa_ieee_mode 1
		.amdhsa_fp16_overflow 0
		.amdhsa_workgroup_processor_mode 1
		.amdhsa_memory_ordered 1
		.amdhsa_forward_progress 1
		.amdhsa_shared_vgpr_count 0
		.amdhsa_exception_fp_ieee_invalid_op 0
		.amdhsa_exception_fp_denorm_src 0
		.amdhsa_exception_fp_ieee_div_zero 0
		.amdhsa_exception_fp_ieee_overflow 0
		.amdhsa_exception_fp_ieee_underflow 0
		.amdhsa_exception_fp_ieee_inexact 0
		.amdhsa_exception_int_div_zero 0
	.end_amdhsa_kernel
	.section	.text._ZN7rocprim17ROCPRIM_400000_NS6detail17trampoline_kernelINS0_14default_configENS1_21merge_config_selectorINS0_5tupleIJxxEEENS0_10empty_typeEEEZNS1_10merge_implIS3_NS0_12zip_iteratorINS5_IJN6thrust23THRUST_200600_302600_NS6detail15normal_iteratorINSC_10device_ptrIKxEEEESI_EEEEESK_NSA_INS5_IJNSE_INSF_IxEEEESM_EEEEEPS7_SP_SP_NSC_11hip_rocprim7__merge17predicate_wrapperIxxNSC_7greaterIxEEEEEE10hipError_tPvRmT0_T1_T2_T3_T4_T5_mmT6_P12ihipStream_tbEUlT_E_NS1_11comp_targetILNS1_3genE3ELNS1_11target_archE908ELNS1_3gpuE7ELNS1_3repE0EEENS1_30default_config_static_selectorELNS0_4arch9wavefront6targetE0EEEvS10_,"axG",@progbits,_ZN7rocprim17ROCPRIM_400000_NS6detail17trampoline_kernelINS0_14default_configENS1_21merge_config_selectorINS0_5tupleIJxxEEENS0_10empty_typeEEEZNS1_10merge_implIS3_NS0_12zip_iteratorINS5_IJN6thrust23THRUST_200600_302600_NS6detail15normal_iteratorINSC_10device_ptrIKxEEEESI_EEEEESK_NSA_INS5_IJNSE_INSF_IxEEEESM_EEEEEPS7_SP_SP_NSC_11hip_rocprim7__merge17predicate_wrapperIxxNSC_7greaterIxEEEEEE10hipError_tPvRmT0_T1_T2_T3_T4_T5_mmT6_P12ihipStream_tbEUlT_E_NS1_11comp_targetILNS1_3genE3ELNS1_11target_archE908ELNS1_3gpuE7ELNS1_3repE0EEENS1_30default_config_static_selectorELNS0_4arch9wavefront6targetE0EEEvS10_,comdat
.Lfunc_end410:
	.size	_ZN7rocprim17ROCPRIM_400000_NS6detail17trampoline_kernelINS0_14default_configENS1_21merge_config_selectorINS0_5tupleIJxxEEENS0_10empty_typeEEEZNS1_10merge_implIS3_NS0_12zip_iteratorINS5_IJN6thrust23THRUST_200600_302600_NS6detail15normal_iteratorINSC_10device_ptrIKxEEEESI_EEEEESK_NSA_INS5_IJNSE_INSF_IxEEEESM_EEEEEPS7_SP_SP_NSC_11hip_rocprim7__merge17predicate_wrapperIxxNSC_7greaterIxEEEEEE10hipError_tPvRmT0_T1_T2_T3_T4_T5_mmT6_P12ihipStream_tbEUlT_E_NS1_11comp_targetILNS1_3genE3ELNS1_11target_archE908ELNS1_3gpuE7ELNS1_3repE0EEENS1_30default_config_static_selectorELNS0_4arch9wavefront6targetE0EEEvS10_, .Lfunc_end410-_ZN7rocprim17ROCPRIM_400000_NS6detail17trampoline_kernelINS0_14default_configENS1_21merge_config_selectorINS0_5tupleIJxxEEENS0_10empty_typeEEEZNS1_10merge_implIS3_NS0_12zip_iteratorINS5_IJN6thrust23THRUST_200600_302600_NS6detail15normal_iteratorINSC_10device_ptrIKxEEEESI_EEEEESK_NSA_INS5_IJNSE_INSF_IxEEEESM_EEEEEPS7_SP_SP_NSC_11hip_rocprim7__merge17predicate_wrapperIxxNSC_7greaterIxEEEEEE10hipError_tPvRmT0_T1_T2_T3_T4_T5_mmT6_P12ihipStream_tbEUlT_E_NS1_11comp_targetILNS1_3genE3ELNS1_11target_archE908ELNS1_3gpuE7ELNS1_3repE0EEENS1_30default_config_static_selectorELNS0_4arch9wavefront6targetE0EEEvS10_
                                        ; -- End function
	.set _ZN7rocprim17ROCPRIM_400000_NS6detail17trampoline_kernelINS0_14default_configENS1_21merge_config_selectorINS0_5tupleIJxxEEENS0_10empty_typeEEEZNS1_10merge_implIS3_NS0_12zip_iteratorINS5_IJN6thrust23THRUST_200600_302600_NS6detail15normal_iteratorINSC_10device_ptrIKxEEEESI_EEEEESK_NSA_INS5_IJNSE_INSF_IxEEEESM_EEEEEPS7_SP_SP_NSC_11hip_rocprim7__merge17predicate_wrapperIxxNSC_7greaterIxEEEEEE10hipError_tPvRmT0_T1_T2_T3_T4_T5_mmT6_P12ihipStream_tbEUlT_E_NS1_11comp_targetILNS1_3genE3ELNS1_11target_archE908ELNS1_3gpuE7ELNS1_3repE0EEENS1_30default_config_static_selectorELNS0_4arch9wavefront6targetE0EEEvS10_.num_vgpr, 0
	.set _ZN7rocprim17ROCPRIM_400000_NS6detail17trampoline_kernelINS0_14default_configENS1_21merge_config_selectorINS0_5tupleIJxxEEENS0_10empty_typeEEEZNS1_10merge_implIS3_NS0_12zip_iteratorINS5_IJN6thrust23THRUST_200600_302600_NS6detail15normal_iteratorINSC_10device_ptrIKxEEEESI_EEEEESK_NSA_INS5_IJNSE_INSF_IxEEEESM_EEEEEPS7_SP_SP_NSC_11hip_rocprim7__merge17predicate_wrapperIxxNSC_7greaterIxEEEEEE10hipError_tPvRmT0_T1_T2_T3_T4_T5_mmT6_P12ihipStream_tbEUlT_E_NS1_11comp_targetILNS1_3genE3ELNS1_11target_archE908ELNS1_3gpuE7ELNS1_3repE0EEENS1_30default_config_static_selectorELNS0_4arch9wavefront6targetE0EEEvS10_.num_agpr, 0
	.set _ZN7rocprim17ROCPRIM_400000_NS6detail17trampoline_kernelINS0_14default_configENS1_21merge_config_selectorINS0_5tupleIJxxEEENS0_10empty_typeEEEZNS1_10merge_implIS3_NS0_12zip_iteratorINS5_IJN6thrust23THRUST_200600_302600_NS6detail15normal_iteratorINSC_10device_ptrIKxEEEESI_EEEEESK_NSA_INS5_IJNSE_INSF_IxEEEESM_EEEEEPS7_SP_SP_NSC_11hip_rocprim7__merge17predicate_wrapperIxxNSC_7greaterIxEEEEEE10hipError_tPvRmT0_T1_T2_T3_T4_T5_mmT6_P12ihipStream_tbEUlT_E_NS1_11comp_targetILNS1_3genE3ELNS1_11target_archE908ELNS1_3gpuE7ELNS1_3repE0EEENS1_30default_config_static_selectorELNS0_4arch9wavefront6targetE0EEEvS10_.numbered_sgpr, 0
	.set _ZN7rocprim17ROCPRIM_400000_NS6detail17trampoline_kernelINS0_14default_configENS1_21merge_config_selectorINS0_5tupleIJxxEEENS0_10empty_typeEEEZNS1_10merge_implIS3_NS0_12zip_iteratorINS5_IJN6thrust23THRUST_200600_302600_NS6detail15normal_iteratorINSC_10device_ptrIKxEEEESI_EEEEESK_NSA_INS5_IJNSE_INSF_IxEEEESM_EEEEEPS7_SP_SP_NSC_11hip_rocprim7__merge17predicate_wrapperIxxNSC_7greaterIxEEEEEE10hipError_tPvRmT0_T1_T2_T3_T4_T5_mmT6_P12ihipStream_tbEUlT_E_NS1_11comp_targetILNS1_3genE3ELNS1_11target_archE908ELNS1_3gpuE7ELNS1_3repE0EEENS1_30default_config_static_selectorELNS0_4arch9wavefront6targetE0EEEvS10_.num_named_barrier, 0
	.set _ZN7rocprim17ROCPRIM_400000_NS6detail17trampoline_kernelINS0_14default_configENS1_21merge_config_selectorINS0_5tupleIJxxEEENS0_10empty_typeEEEZNS1_10merge_implIS3_NS0_12zip_iteratorINS5_IJN6thrust23THRUST_200600_302600_NS6detail15normal_iteratorINSC_10device_ptrIKxEEEESI_EEEEESK_NSA_INS5_IJNSE_INSF_IxEEEESM_EEEEEPS7_SP_SP_NSC_11hip_rocprim7__merge17predicate_wrapperIxxNSC_7greaterIxEEEEEE10hipError_tPvRmT0_T1_T2_T3_T4_T5_mmT6_P12ihipStream_tbEUlT_E_NS1_11comp_targetILNS1_3genE3ELNS1_11target_archE908ELNS1_3gpuE7ELNS1_3repE0EEENS1_30default_config_static_selectorELNS0_4arch9wavefront6targetE0EEEvS10_.private_seg_size, 0
	.set _ZN7rocprim17ROCPRIM_400000_NS6detail17trampoline_kernelINS0_14default_configENS1_21merge_config_selectorINS0_5tupleIJxxEEENS0_10empty_typeEEEZNS1_10merge_implIS3_NS0_12zip_iteratorINS5_IJN6thrust23THRUST_200600_302600_NS6detail15normal_iteratorINSC_10device_ptrIKxEEEESI_EEEEESK_NSA_INS5_IJNSE_INSF_IxEEEESM_EEEEEPS7_SP_SP_NSC_11hip_rocprim7__merge17predicate_wrapperIxxNSC_7greaterIxEEEEEE10hipError_tPvRmT0_T1_T2_T3_T4_T5_mmT6_P12ihipStream_tbEUlT_E_NS1_11comp_targetILNS1_3genE3ELNS1_11target_archE908ELNS1_3gpuE7ELNS1_3repE0EEENS1_30default_config_static_selectorELNS0_4arch9wavefront6targetE0EEEvS10_.uses_vcc, 0
	.set _ZN7rocprim17ROCPRIM_400000_NS6detail17trampoline_kernelINS0_14default_configENS1_21merge_config_selectorINS0_5tupleIJxxEEENS0_10empty_typeEEEZNS1_10merge_implIS3_NS0_12zip_iteratorINS5_IJN6thrust23THRUST_200600_302600_NS6detail15normal_iteratorINSC_10device_ptrIKxEEEESI_EEEEESK_NSA_INS5_IJNSE_INSF_IxEEEESM_EEEEEPS7_SP_SP_NSC_11hip_rocprim7__merge17predicate_wrapperIxxNSC_7greaterIxEEEEEE10hipError_tPvRmT0_T1_T2_T3_T4_T5_mmT6_P12ihipStream_tbEUlT_E_NS1_11comp_targetILNS1_3genE3ELNS1_11target_archE908ELNS1_3gpuE7ELNS1_3repE0EEENS1_30default_config_static_selectorELNS0_4arch9wavefront6targetE0EEEvS10_.uses_flat_scratch, 0
	.set _ZN7rocprim17ROCPRIM_400000_NS6detail17trampoline_kernelINS0_14default_configENS1_21merge_config_selectorINS0_5tupleIJxxEEENS0_10empty_typeEEEZNS1_10merge_implIS3_NS0_12zip_iteratorINS5_IJN6thrust23THRUST_200600_302600_NS6detail15normal_iteratorINSC_10device_ptrIKxEEEESI_EEEEESK_NSA_INS5_IJNSE_INSF_IxEEEESM_EEEEEPS7_SP_SP_NSC_11hip_rocprim7__merge17predicate_wrapperIxxNSC_7greaterIxEEEEEE10hipError_tPvRmT0_T1_T2_T3_T4_T5_mmT6_P12ihipStream_tbEUlT_E_NS1_11comp_targetILNS1_3genE3ELNS1_11target_archE908ELNS1_3gpuE7ELNS1_3repE0EEENS1_30default_config_static_selectorELNS0_4arch9wavefront6targetE0EEEvS10_.has_dyn_sized_stack, 0
	.set _ZN7rocprim17ROCPRIM_400000_NS6detail17trampoline_kernelINS0_14default_configENS1_21merge_config_selectorINS0_5tupleIJxxEEENS0_10empty_typeEEEZNS1_10merge_implIS3_NS0_12zip_iteratorINS5_IJN6thrust23THRUST_200600_302600_NS6detail15normal_iteratorINSC_10device_ptrIKxEEEESI_EEEEESK_NSA_INS5_IJNSE_INSF_IxEEEESM_EEEEEPS7_SP_SP_NSC_11hip_rocprim7__merge17predicate_wrapperIxxNSC_7greaterIxEEEEEE10hipError_tPvRmT0_T1_T2_T3_T4_T5_mmT6_P12ihipStream_tbEUlT_E_NS1_11comp_targetILNS1_3genE3ELNS1_11target_archE908ELNS1_3gpuE7ELNS1_3repE0EEENS1_30default_config_static_selectorELNS0_4arch9wavefront6targetE0EEEvS10_.has_recursion, 0
	.set _ZN7rocprim17ROCPRIM_400000_NS6detail17trampoline_kernelINS0_14default_configENS1_21merge_config_selectorINS0_5tupleIJxxEEENS0_10empty_typeEEEZNS1_10merge_implIS3_NS0_12zip_iteratorINS5_IJN6thrust23THRUST_200600_302600_NS6detail15normal_iteratorINSC_10device_ptrIKxEEEESI_EEEEESK_NSA_INS5_IJNSE_INSF_IxEEEESM_EEEEEPS7_SP_SP_NSC_11hip_rocprim7__merge17predicate_wrapperIxxNSC_7greaterIxEEEEEE10hipError_tPvRmT0_T1_T2_T3_T4_T5_mmT6_P12ihipStream_tbEUlT_E_NS1_11comp_targetILNS1_3genE3ELNS1_11target_archE908ELNS1_3gpuE7ELNS1_3repE0EEENS1_30default_config_static_selectorELNS0_4arch9wavefront6targetE0EEEvS10_.has_indirect_call, 0
	.section	.AMDGPU.csdata,"",@progbits
; Kernel info:
; codeLenInByte = 0
; TotalNumSgprs: 0
; NumVgprs: 0
; ScratchSize: 0
; MemoryBound: 0
; FloatMode: 240
; IeeeMode: 1
; LDSByteSize: 0 bytes/workgroup (compile time only)
; SGPRBlocks: 0
; VGPRBlocks: 0
; NumSGPRsForWavesPerEU: 1
; NumVGPRsForWavesPerEU: 1
; Occupancy: 16
; WaveLimiterHint : 0
; COMPUTE_PGM_RSRC2:SCRATCH_EN: 0
; COMPUTE_PGM_RSRC2:USER_SGPR: 6
; COMPUTE_PGM_RSRC2:TRAP_HANDLER: 0
; COMPUTE_PGM_RSRC2:TGID_X_EN: 1
; COMPUTE_PGM_RSRC2:TGID_Y_EN: 0
; COMPUTE_PGM_RSRC2:TGID_Z_EN: 0
; COMPUTE_PGM_RSRC2:TIDIG_COMP_CNT: 0
	.section	.text._ZN7rocprim17ROCPRIM_400000_NS6detail17trampoline_kernelINS0_14default_configENS1_21merge_config_selectorINS0_5tupleIJxxEEENS0_10empty_typeEEEZNS1_10merge_implIS3_NS0_12zip_iteratorINS5_IJN6thrust23THRUST_200600_302600_NS6detail15normal_iteratorINSC_10device_ptrIKxEEEESI_EEEEESK_NSA_INS5_IJNSE_INSF_IxEEEESM_EEEEEPS7_SP_SP_NSC_11hip_rocprim7__merge17predicate_wrapperIxxNSC_7greaterIxEEEEEE10hipError_tPvRmT0_T1_T2_T3_T4_T5_mmT6_P12ihipStream_tbEUlT_E_NS1_11comp_targetILNS1_3genE2ELNS1_11target_archE906ELNS1_3gpuE6ELNS1_3repE0EEENS1_30default_config_static_selectorELNS0_4arch9wavefront6targetE0EEEvS10_,"axG",@progbits,_ZN7rocprim17ROCPRIM_400000_NS6detail17trampoline_kernelINS0_14default_configENS1_21merge_config_selectorINS0_5tupleIJxxEEENS0_10empty_typeEEEZNS1_10merge_implIS3_NS0_12zip_iteratorINS5_IJN6thrust23THRUST_200600_302600_NS6detail15normal_iteratorINSC_10device_ptrIKxEEEESI_EEEEESK_NSA_INS5_IJNSE_INSF_IxEEEESM_EEEEEPS7_SP_SP_NSC_11hip_rocprim7__merge17predicate_wrapperIxxNSC_7greaterIxEEEEEE10hipError_tPvRmT0_T1_T2_T3_T4_T5_mmT6_P12ihipStream_tbEUlT_E_NS1_11comp_targetILNS1_3genE2ELNS1_11target_archE906ELNS1_3gpuE6ELNS1_3repE0EEENS1_30default_config_static_selectorELNS0_4arch9wavefront6targetE0EEEvS10_,comdat
	.protected	_ZN7rocprim17ROCPRIM_400000_NS6detail17trampoline_kernelINS0_14default_configENS1_21merge_config_selectorINS0_5tupleIJxxEEENS0_10empty_typeEEEZNS1_10merge_implIS3_NS0_12zip_iteratorINS5_IJN6thrust23THRUST_200600_302600_NS6detail15normal_iteratorINSC_10device_ptrIKxEEEESI_EEEEESK_NSA_INS5_IJNSE_INSF_IxEEEESM_EEEEEPS7_SP_SP_NSC_11hip_rocprim7__merge17predicate_wrapperIxxNSC_7greaterIxEEEEEE10hipError_tPvRmT0_T1_T2_T3_T4_T5_mmT6_P12ihipStream_tbEUlT_E_NS1_11comp_targetILNS1_3genE2ELNS1_11target_archE906ELNS1_3gpuE6ELNS1_3repE0EEENS1_30default_config_static_selectorELNS0_4arch9wavefront6targetE0EEEvS10_ ; -- Begin function _ZN7rocprim17ROCPRIM_400000_NS6detail17trampoline_kernelINS0_14default_configENS1_21merge_config_selectorINS0_5tupleIJxxEEENS0_10empty_typeEEEZNS1_10merge_implIS3_NS0_12zip_iteratorINS5_IJN6thrust23THRUST_200600_302600_NS6detail15normal_iteratorINSC_10device_ptrIKxEEEESI_EEEEESK_NSA_INS5_IJNSE_INSF_IxEEEESM_EEEEEPS7_SP_SP_NSC_11hip_rocprim7__merge17predicate_wrapperIxxNSC_7greaterIxEEEEEE10hipError_tPvRmT0_T1_T2_T3_T4_T5_mmT6_P12ihipStream_tbEUlT_E_NS1_11comp_targetILNS1_3genE2ELNS1_11target_archE906ELNS1_3gpuE6ELNS1_3repE0EEENS1_30default_config_static_selectorELNS0_4arch9wavefront6targetE0EEEvS10_
	.globl	_ZN7rocprim17ROCPRIM_400000_NS6detail17trampoline_kernelINS0_14default_configENS1_21merge_config_selectorINS0_5tupleIJxxEEENS0_10empty_typeEEEZNS1_10merge_implIS3_NS0_12zip_iteratorINS5_IJN6thrust23THRUST_200600_302600_NS6detail15normal_iteratorINSC_10device_ptrIKxEEEESI_EEEEESK_NSA_INS5_IJNSE_INSF_IxEEEESM_EEEEEPS7_SP_SP_NSC_11hip_rocprim7__merge17predicate_wrapperIxxNSC_7greaterIxEEEEEE10hipError_tPvRmT0_T1_T2_T3_T4_T5_mmT6_P12ihipStream_tbEUlT_E_NS1_11comp_targetILNS1_3genE2ELNS1_11target_archE906ELNS1_3gpuE6ELNS1_3repE0EEENS1_30default_config_static_selectorELNS0_4arch9wavefront6targetE0EEEvS10_
	.p2align	8
	.type	_ZN7rocprim17ROCPRIM_400000_NS6detail17trampoline_kernelINS0_14default_configENS1_21merge_config_selectorINS0_5tupleIJxxEEENS0_10empty_typeEEEZNS1_10merge_implIS3_NS0_12zip_iteratorINS5_IJN6thrust23THRUST_200600_302600_NS6detail15normal_iteratorINSC_10device_ptrIKxEEEESI_EEEEESK_NSA_INS5_IJNSE_INSF_IxEEEESM_EEEEEPS7_SP_SP_NSC_11hip_rocprim7__merge17predicate_wrapperIxxNSC_7greaterIxEEEEEE10hipError_tPvRmT0_T1_T2_T3_T4_T5_mmT6_P12ihipStream_tbEUlT_E_NS1_11comp_targetILNS1_3genE2ELNS1_11target_archE906ELNS1_3gpuE6ELNS1_3repE0EEENS1_30default_config_static_selectorELNS0_4arch9wavefront6targetE0EEEvS10_,@function
_ZN7rocprim17ROCPRIM_400000_NS6detail17trampoline_kernelINS0_14default_configENS1_21merge_config_selectorINS0_5tupleIJxxEEENS0_10empty_typeEEEZNS1_10merge_implIS3_NS0_12zip_iteratorINS5_IJN6thrust23THRUST_200600_302600_NS6detail15normal_iteratorINSC_10device_ptrIKxEEEESI_EEEEESK_NSA_INS5_IJNSE_INSF_IxEEEESM_EEEEEPS7_SP_SP_NSC_11hip_rocprim7__merge17predicate_wrapperIxxNSC_7greaterIxEEEEEE10hipError_tPvRmT0_T1_T2_T3_T4_T5_mmT6_P12ihipStream_tbEUlT_E_NS1_11comp_targetILNS1_3genE2ELNS1_11target_archE906ELNS1_3gpuE6ELNS1_3repE0EEENS1_30default_config_static_selectorELNS0_4arch9wavefront6targetE0EEEvS10_: ; @_ZN7rocprim17ROCPRIM_400000_NS6detail17trampoline_kernelINS0_14default_configENS1_21merge_config_selectorINS0_5tupleIJxxEEENS0_10empty_typeEEEZNS1_10merge_implIS3_NS0_12zip_iteratorINS5_IJN6thrust23THRUST_200600_302600_NS6detail15normal_iteratorINSC_10device_ptrIKxEEEESI_EEEEESK_NSA_INS5_IJNSE_INSF_IxEEEESM_EEEEEPS7_SP_SP_NSC_11hip_rocprim7__merge17predicate_wrapperIxxNSC_7greaterIxEEEEEE10hipError_tPvRmT0_T1_T2_T3_T4_T5_mmT6_P12ihipStream_tbEUlT_E_NS1_11comp_targetILNS1_3genE2ELNS1_11target_archE906ELNS1_3gpuE6ELNS1_3repE0EEENS1_30default_config_static_selectorELNS0_4arch9wavefront6targetE0EEEvS10_
; %bb.0:
	.section	.rodata,"a",@progbits
	.p2align	6, 0x0
	.amdhsa_kernel _ZN7rocprim17ROCPRIM_400000_NS6detail17trampoline_kernelINS0_14default_configENS1_21merge_config_selectorINS0_5tupleIJxxEEENS0_10empty_typeEEEZNS1_10merge_implIS3_NS0_12zip_iteratorINS5_IJN6thrust23THRUST_200600_302600_NS6detail15normal_iteratorINSC_10device_ptrIKxEEEESI_EEEEESK_NSA_INS5_IJNSE_INSF_IxEEEESM_EEEEEPS7_SP_SP_NSC_11hip_rocprim7__merge17predicate_wrapperIxxNSC_7greaterIxEEEEEE10hipError_tPvRmT0_T1_T2_T3_T4_T5_mmT6_P12ihipStream_tbEUlT_E_NS1_11comp_targetILNS1_3genE2ELNS1_11target_archE906ELNS1_3gpuE6ELNS1_3repE0EEENS1_30default_config_static_selectorELNS0_4arch9wavefront6targetE0EEEvS10_
		.amdhsa_group_segment_fixed_size 0
		.amdhsa_private_segment_fixed_size 0
		.amdhsa_kernarg_size 64
		.amdhsa_user_sgpr_count 6
		.amdhsa_user_sgpr_private_segment_buffer 1
		.amdhsa_user_sgpr_dispatch_ptr 0
		.amdhsa_user_sgpr_queue_ptr 0
		.amdhsa_user_sgpr_kernarg_segment_ptr 1
		.amdhsa_user_sgpr_dispatch_id 0
		.amdhsa_user_sgpr_flat_scratch_init 0
		.amdhsa_user_sgpr_private_segment_size 0
		.amdhsa_wavefront_size32 1
		.amdhsa_uses_dynamic_stack 0
		.amdhsa_system_sgpr_private_segment_wavefront_offset 0
		.amdhsa_system_sgpr_workgroup_id_x 1
		.amdhsa_system_sgpr_workgroup_id_y 0
		.amdhsa_system_sgpr_workgroup_id_z 0
		.amdhsa_system_sgpr_workgroup_info 0
		.amdhsa_system_vgpr_workitem_id 0
		.amdhsa_next_free_vgpr 1
		.amdhsa_next_free_sgpr 1
		.amdhsa_reserve_vcc 0
		.amdhsa_reserve_flat_scratch 0
		.amdhsa_float_round_mode_32 0
		.amdhsa_float_round_mode_16_64 0
		.amdhsa_float_denorm_mode_32 3
		.amdhsa_float_denorm_mode_16_64 3
		.amdhsa_dx10_clamp 1
		.amdhsa_ieee_mode 1
		.amdhsa_fp16_overflow 0
		.amdhsa_workgroup_processor_mode 1
		.amdhsa_memory_ordered 1
		.amdhsa_forward_progress 1
		.amdhsa_shared_vgpr_count 0
		.amdhsa_exception_fp_ieee_invalid_op 0
		.amdhsa_exception_fp_denorm_src 0
		.amdhsa_exception_fp_ieee_div_zero 0
		.amdhsa_exception_fp_ieee_overflow 0
		.amdhsa_exception_fp_ieee_underflow 0
		.amdhsa_exception_fp_ieee_inexact 0
		.amdhsa_exception_int_div_zero 0
	.end_amdhsa_kernel
	.section	.text._ZN7rocprim17ROCPRIM_400000_NS6detail17trampoline_kernelINS0_14default_configENS1_21merge_config_selectorINS0_5tupleIJxxEEENS0_10empty_typeEEEZNS1_10merge_implIS3_NS0_12zip_iteratorINS5_IJN6thrust23THRUST_200600_302600_NS6detail15normal_iteratorINSC_10device_ptrIKxEEEESI_EEEEESK_NSA_INS5_IJNSE_INSF_IxEEEESM_EEEEEPS7_SP_SP_NSC_11hip_rocprim7__merge17predicate_wrapperIxxNSC_7greaterIxEEEEEE10hipError_tPvRmT0_T1_T2_T3_T4_T5_mmT6_P12ihipStream_tbEUlT_E_NS1_11comp_targetILNS1_3genE2ELNS1_11target_archE906ELNS1_3gpuE6ELNS1_3repE0EEENS1_30default_config_static_selectorELNS0_4arch9wavefront6targetE0EEEvS10_,"axG",@progbits,_ZN7rocprim17ROCPRIM_400000_NS6detail17trampoline_kernelINS0_14default_configENS1_21merge_config_selectorINS0_5tupleIJxxEEENS0_10empty_typeEEEZNS1_10merge_implIS3_NS0_12zip_iteratorINS5_IJN6thrust23THRUST_200600_302600_NS6detail15normal_iteratorINSC_10device_ptrIKxEEEESI_EEEEESK_NSA_INS5_IJNSE_INSF_IxEEEESM_EEEEEPS7_SP_SP_NSC_11hip_rocprim7__merge17predicate_wrapperIxxNSC_7greaterIxEEEEEE10hipError_tPvRmT0_T1_T2_T3_T4_T5_mmT6_P12ihipStream_tbEUlT_E_NS1_11comp_targetILNS1_3genE2ELNS1_11target_archE906ELNS1_3gpuE6ELNS1_3repE0EEENS1_30default_config_static_selectorELNS0_4arch9wavefront6targetE0EEEvS10_,comdat
.Lfunc_end411:
	.size	_ZN7rocprim17ROCPRIM_400000_NS6detail17trampoline_kernelINS0_14default_configENS1_21merge_config_selectorINS0_5tupleIJxxEEENS0_10empty_typeEEEZNS1_10merge_implIS3_NS0_12zip_iteratorINS5_IJN6thrust23THRUST_200600_302600_NS6detail15normal_iteratorINSC_10device_ptrIKxEEEESI_EEEEESK_NSA_INS5_IJNSE_INSF_IxEEEESM_EEEEEPS7_SP_SP_NSC_11hip_rocprim7__merge17predicate_wrapperIxxNSC_7greaterIxEEEEEE10hipError_tPvRmT0_T1_T2_T3_T4_T5_mmT6_P12ihipStream_tbEUlT_E_NS1_11comp_targetILNS1_3genE2ELNS1_11target_archE906ELNS1_3gpuE6ELNS1_3repE0EEENS1_30default_config_static_selectorELNS0_4arch9wavefront6targetE0EEEvS10_, .Lfunc_end411-_ZN7rocprim17ROCPRIM_400000_NS6detail17trampoline_kernelINS0_14default_configENS1_21merge_config_selectorINS0_5tupleIJxxEEENS0_10empty_typeEEEZNS1_10merge_implIS3_NS0_12zip_iteratorINS5_IJN6thrust23THRUST_200600_302600_NS6detail15normal_iteratorINSC_10device_ptrIKxEEEESI_EEEEESK_NSA_INS5_IJNSE_INSF_IxEEEESM_EEEEEPS7_SP_SP_NSC_11hip_rocprim7__merge17predicate_wrapperIxxNSC_7greaterIxEEEEEE10hipError_tPvRmT0_T1_T2_T3_T4_T5_mmT6_P12ihipStream_tbEUlT_E_NS1_11comp_targetILNS1_3genE2ELNS1_11target_archE906ELNS1_3gpuE6ELNS1_3repE0EEENS1_30default_config_static_selectorELNS0_4arch9wavefront6targetE0EEEvS10_
                                        ; -- End function
	.set _ZN7rocprim17ROCPRIM_400000_NS6detail17trampoline_kernelINS0_14default_configENS1_21merge_config_selectorINS0_5tupleIJxxEEENS0_10empty_typeEEEZNS1_10merge_implIS3_NS0_12zip_iteratorINS5_IJN6thrust23THRUST_200600_302600_NS6detail15normal_iteratorINSC_10device_ptrIKxEEEESI_EEEEESK_NSA_INS5_IJNSE_INSF_IxEEEESM_EEEEEPS7_SP_SP_NSC_11hip_rocprim7__merge17predicate_wrapperIxxNSC_7greaterIxEEEEEE10hipError_tPvRmT0_T1_T2_T3_T4_T5_mmT6_P12ihipStream_tbEUlT_E_NS1_11comp_targetILNS1_3genE2ELNS1_11target_archE906ELNS1_3gpuE6ELNS1_3repE0EEENS1_30default_config_static_selectorELNS0_4arch9wavefront6targetE0EEEvS10_.num_vgpr, 0
	.set _ZN7rocprim17ROCPRIM_400000_NS6detail17trampoline_kernelINS0_14default_configENS1_21merge_config_selectorINS0_5tupleIJxxEEENS0_10empty_typeEEEZNS1_10merge_implIS3_NS0_12zip_iteratorINS5_IJN6thrust23THRUST_200600_302600_NS6detail15normal_iteratorINSC_10device_ptrIKxEEEESI_EEEEESK_NSA_INS5_IJNSE_INSF_IxEEEESM_EEEEEPS7_SP_SP_NSC_11hip_rocprim7__merge17predicate_wrapperIxxNSC_7greaterIxEEEEEE10hipError_tPvRmT0_T1_T2_T3_T4_T5_mmT6_P12ihipStream_tbEUlT_E_NS1_11comp_targetILNS1_3genE2ELNS1_11target_archE906ELNS1_3gpuE6ELNS1_3repE0EEENS1_30default_config_static_selectorELNS0_4arch9wavefront6targetE0EEEvS10_.num_agpr, 0
	.set _ZN7rocprim17ROCPRIM_400000_NS6detail17trampoline_kernelINS0_14default_configENS1_21merge_config_selectorINS0_5tupleIJxxEEENS0_10empty_typeEEEZNS1_10merge_implIS3_NS0_12zip_iteratorINS5_IJN6thrust23THRUST_200600_302600_NS6detail15normal_iteratorINSC_10device_ptrIKxEEEESI_EEEEESK_NSA_INS5_IJNSE_INSF_IxEEEESM_EEEEEPS7_SP_SP_NSC_11hip_rocprim7__merge17predicate_wrapperIxxNSC_7greaterIxEEEEEE10hipError_tPvRmT0_T1_T2_T3_T4_T5_mmT6_P12ihipStream_tbEUlT_E_NS1_11comp_targetILNS1_3genE2ELNS1_11target_archE906ELNS1_3gpuE6ELNS1_3repE0EEENS1_30default_config_static_selectorELNS0_4arch9wavefront6targetE0EEEvS10_.numbered_sgpr, 0
	.set _ZN7rocprim17ROCPRIM_400000_NS6detail17trampoline_kernelINS0_14default_configENS1_21merge_config_selectorINS0_5tupleIJxxEEENS0_10empty_typeEEEZNS1_10merge_implIS3_NS0_12zip_iteratorINS5_IJN6thrust23THRUST_200600_302600_NS6detail15normal_iteratorINSC_10device_ptrIKxEEEESI_EEEEESK_NSA_INS5_IJNSE_INSF_IxEEEESM_EEEEEPS7_SP_SP_NSC_11hip_rocprim7__merge17predicate_wrapperIxxNSC_7greaterIxEEEEEE10hipError_tPvRmT0_T1_T2_T3_T4_T5_mmT6_P12ihipStream_tbEUlT_E_NS1_11comp_targetILNS1_3genE2ELNS1_11target_archE906ELNS1_3gpuE6ELNS1_3repE0EEENS1_30default_config_static_selectorELNS0_4arch9wavefront6targetE0EEEvS10_.num_named_barrier, 0
	.set _ZN7rocprim17ROCPRIM_400000_NS6detail17trampoline_kernelINS0_14default_configENS1_21merge_config_selectorINS0_5tupleIJxxEEENS0_10empty_typeEEEZNS1_10merge_implIS3_NS0_12zip_iteratorINS5_IJN6thrust23THRUST_200600_302600_NS6detail15normal_iteratorINSC_10device_ptrIKxEEEESI_EEEEESK_NSA_INS5_IJNSE_INSF_IxEEEESM_EEEEEPS7_SP_SP_NSC_11hip_rocprim7__merge17predicate_wrapperIxxNSC_7greaterIxEEEEEE10hipError_tPvRmT0_T1_T2_T3_T4_T5_mmT6_P12ihipStream_tbEUlT_E_NS1_11comp_targetILNS1_3genE2ELNS1_11target_archE906ELNS1_3gpuE6ELNS1_3repE0EEENS1_30default_config_static_selectorELNS0_4arch9wavefront6targetE0EEEvS10_.private_seg_size, 0
	.set _ZN7rocprim17ROCPRIM_400000_NS6detail17trampoline_kernelINS0_14default_configENS1_21merge_config_selectorINS0_5tupleIJxxEEENS0_10empty_typeEEEZNS1_10merge_implIS3_NS0_12zip_iteratorINS5_IJN6thrust23THRUST_200600_302600_NS6detail15normal_iteratorINSC_10device_ptrIKxEEEESI_EEEEESK_NSA_INS5_IJNSE_INSF_IxEEEESM_EEEEEPS7_SP_SP_NSC_11hip_rocprim7__merge17predicate_wrapperIxxNSC_7greaterIxEEEEEE10hipError_tPvRmT0_T1_T2_T3_T4_T5_mmT6_P12ihipStream_tbEUlT_E_NS1_11comp_targetILNS1_3genE2ELNS1_11target_archE906ELNS1_3gpuE6ELNS1_3repE0EEENS1_30default_config_static_selectorELNS0_4arch9wavefront6targetE0EEEvS10_.uses_vcc, 0
	.set _ZN7rocprim17ROCPRIM_400000_NS6detail17trampoline_kernelINS0_14default_configENS1_21merge_config_selectorINS0_5tupleIJxxEEENS0_10empty_typeEEEZNS1_10merge_implIS3_NS0_12zip_iteratorINS5_IJN6thrust23THRUST_200600_302600_NS6detail15normal_iteratorINSC_10device_ptrIKxEEEESI_EEEEESK_NSA_INS5_IJNSE_INSF_IxEEEESM_EEEEEPS7_SP_SP_NSC_11hip_rocprim7__merge17predicate_wrapperIxxNSC_7greaterIxEEEEEE10hipError_tPvRmT0_T1_T2_T3_T4_T5_mmT6_P12ihipStream_tbEUlT_E_NS1_11comp_targetILNS1_3genE2ELNS1_11target_archE906ELNS1_3gpuE6ELNS1_3repE0EEENS1_30default_config_static_selectorELNS0_4arch9wavefront6targetE0EEEvS10_.uses_flat_scratch, 0
	.set _ZN7rocprim17ROCPRIM_400000_NS6detail17trampoline_kernelINS0_14default_configENS1_21merge_config_selectorINS0_5tupleIJxxEEENS0_10empty_typeEEEZNS1_10merge_implIS3_NS0_12zip_iteratorINS5_IJN6thrust23THRUST_200600_302600_NS6detail15normal_iteratorINSC_10device_ptrIKxEEEESI_EEEEESK_NSA_INS5_IJNSE_INSF_IxEEEESM_EEEEEPS7_SP_SP_NSC_11hip_rocprim7__merge17predicate_wrapperIxxNSC_7greaterIxEEEEEE10hipError_tPvRmT0_T1_T2_T3_T4_T5_mmT6_P12ihipStream_tbEUlT_E_NS1_11comp_targetILNS1_3genE2ELNS1_11target_archE906ELNS1_3gpuE6ELNS1_3repE0EEENS1_30default_config_static_selectorELNS0_4arch9wavefront6targetE0EEEvS10_.has_dyn_sized_stack, 0
	.set _ZN7rocprim17ROCPRIM_400000_NS6detail17trampoline_kernelINS0_14default_configENS1_21merge_config_selectorINS0_5tupleIJxxEEENS0_10empty_typeEEEZNS1_10merge_implIS3_NS0_12zip_iteratorINS5_IJN6thrust23THRUST_200600_302600_NS6detail15normal_iteratorINSC_10device_ptrIKxEEEESI_EEEEESK_NSA_INS5_IJNSE_INSF_IxEEEESM_EEEEEPS7_SP_SP_NSC_11hip_rocprim7__merge17predicate_wrapperIxxNSC_7greaterIxEEEEEE10hipError_tPvRmT0_T1_T2_T3_T4_T5_mmT6_P12ihipStream_tbEUlT_E_NS1_11comp_targetILNS1_3genE2ELNS1_11target_archE906ELNS1_3gpuE6ELNS1_3repE0EEENS1_30default_config_static_selectorELNS0_4arch9wavefront6targetE0EEEvS10_.has_recursion, 0
	.set _ZN7rocprim17ROCPRIM_400000_NS6detail17trampoline_kernelINS0_14default_configENS1_21merge_config_selectorINS0_5tupleIJxxEEENS0_10empty_typeEEEZNS1_10merge_implIS3_NS0_12zip_iteratorINS5_IJN6thrust23THRUST_200600_302600_NS6detail15normal_iteratorINSC_10device_ptrIKxEEEESI_EEEEESK_NSA_INS5_IJNSE_INSF_IxEEEESM_EEEEEPS7_SP_SP_NSC_11hip_rocprim7__merge17predicate_wrapperIxxNSC_7greaterIxEEEEEE10hipError_tPvRmT0_T1_T2_T3_T4_T5_mmT6_P12ihipStream_tbEUlT_E_NS1_11comp_targetILNS1_3genE2ELNS1_11target_archE906ELNS1_3gpuE6ELNS1_3repE0EEENS1_30default_config_static_selectorELNS0_4arch9wavefront6targetE0EEEvS10_.has_indirect_call, 0
	.section	.AMDGPU.csdata,"",@progbits
; Kernel info:
; codeLenInByte = 0
; TotalNumSgprs: 0
; NumVgprs: 0
; ScratchSize: 0
; MemoryBound: 0
; FloatMode: 240
; IeeeMode: 1
; LDSByteSize: 0 bytes/workgroup (compile time only)
; SGPRBlocks: 0
; VGPRBlocks: 0
; NumSGPRsForWavesPerEU: 1
; NumVGPRsForWavesPerEU: 1
; Occupancy: 16
; WaveLimiterHint : 0
; COMPUTE_PGM_RSRC2:SCRATCH_EN: 0
; COMPUTE_PGM_RSRC2:USER_SGPR: 6
; COMPUTE_PGM_RSRC2:TRAP_HANDLER: 0
; COMPUTE_PGM_RSRC2:TGID_X_EN: 1
; COMPUTE_PGM_RSRC2:TGID_Y_EN: 0
; COMPUTE_PGM_RSRC2:TGID_Z_EN: 0
; COMPUTE_PGM_RSRC2:TIDIG_COMP_CNT: 0
	.section	.text._ZN7rocprim17ROCPRIM_400000_NS6detail17trampoline_kernelINS0_14default_configENS1_21merge_config_selectorINS0_5tupleIJxxEEENS0_10empty_typeEEEZNS1_10merge_implIS3_NS0_12zip_iteratorINS5_IJN6thrust23THRUST_200600_302600_NS6detail15normal_iteratorINSC_10device_ptrIKxEEEESI_EEEEESK_NSA_INS5_IJNSE_INSF_IxEEEESM_EEEEEPS7_SP_SP_NSC_11hip_rocprim7__merge17predicate_wrapperIxxNSC_7greaterIxEEEEEE10hipError_tPvRmT0_T1_T2_T3_T4_T5_mmT6_P12ihipStream_tbEUlT_E_NS1_11comp_targetILNS1_3genE10ELNS1_11target_archE1201ELNS1_3gpuE5ELNS1_3repE0EEENS1_30default_config_static_selectorELNS0_4arch9wavefront6targetE0EEEvS10_,"axG",@progbits,_ZN7rocprim17ROCPRIM_400000_NS6detail17trampoline_kernelINS0_14default_configENS1_21merge_config_selectorINS0_5tupleIJxxEEENS0_10empty_typeEEEZNS1_10merge_implIS3_NS0_12zip_iteratorINS5_IJN6thrust23THRUST_200600_302600_NS6detail15normal_iteratorINSC_10device_ptrIKxEEEESI_EEEEESK_NSA_INS5_IJNSE_INSF_IxEEEESM_EEEEEPS7_SP_SP_NSC_11hip_rocprim7__merge17predicate_wrapperIxxNSC_7greaterIxEEEEEE10hipError_tPvRmT0_T1_T2_T3_T4_T5_mmT6_P12ihipStream_tbEUlT_E_NS1_11comp_targetILNS1_3genE10ELNS1_11target_archE1201ELNS1_3gpuE5ELNS1_3repE0EEENS1_30default_config_static_selectorELNS0_4arch9wavefront6targetE0EEEvS10_,comdat
	.protected	_ZN7rocprim17ROCPRIM_400000_NS6detail17trampoline_kernelINS0_14default_configENS1_21merge_config_selectorINS0_5tupleIJxxEEENS0_10empty_typeEEEZNS1_10merge_implIS3_NS0_12zip_iteratorINS5_IJN6thrust23THRUST_200600_302600_NS6detail15normal_iteratorINSC_10device_ptrIKxEEEESI_EEEEESK_NSA_INS5_IJNSE_INSF_IxEEEESM_EEEEEPS7_SP_SP_NSC_11hip_rocprim7__merge17predicate_wrapperIxxNSC_7greaterIxEEEEEE10hipError_tPvRmT0_T1_T2_T3_T4_T5_mmT6_P12ihipStream_tbEUlT_E_NS1_11comp_targetILNS1_3genE10ELNS1_11target_archE1201ELNS1_3gpuE5ELNS1_3repE0EEENS1_30default_config_static_selectorELNS0_4arch9wavefront6targetE0EEEvS10_ ; -- Begin function _ZN7rocprim17ROCPRIM_400000_NS6detail17trampoline_kernelINS0_14default_configENS1_21merge_config_selectorINS0_5tupleIJxxEEENS0_10empty_typeEEEZNS1_10merge_implIS3_NS0_12zip_iteratorINS5_IJN6thrust23THRUST_200600_302600_NS6detail15normal_iteratorINSC_10device_ptrIKxEEEESI_EEEEESK_NSA_INS5_IJNSE_INSF_IxEEEESM_EEEEEPS7_SP_SP_NSC_11hip_rocprim7__merge17predicate_wrapperIxxNSC_7greaterIxEEEEEE10hipError_tPvRmT0_T1_T2_T3_T4_T5_mmT6_P12ihipStream_tbEUlT_E_NS1_11comp_targetILNS1_3genE10ELNS1_11target_archE1201ELNS1_3gpuE5ELNS1_3repE0EEENS1_30default_config_static_selectorELNS0_4arch9wavefront6targetE0EEEvS10_
	.globl	_ZN7rocprim17ROCPRIM_400000_NS6detail17trampoline_kernelINS0_14default_configENS1_21merge_config_selectorINS0_5tupleIJxxEEENS0_10empty_typeEEEZNS1_10merge_implIS3_NS0_12zip_iteratorINS5_IJN6thrust23THRUST_200600_302600_NS6detail15normal_iteratorINSC_10device_ptrIKxEEEESI_EEEEESK_NSA_INS5_IJNSE_INSF_IxEEEESM_EEEEEPS7_SP_SP_NSC_11hip_rocprim7__merge17predicate_wrapperIxxNSC_7greaterIxEEEEEE10hipError_tPvRmT0_T1_T2_T3_T4_T5_mmT6_P12ihipStream_tbEUlT_E_NS1_11comp_targetILNS1_3genE10ELNS1_11target_archE1201ELNS1_3gpuE5ELNS1_3repE0EEENS1_30default_config_static_selectorELNS0_4arch9wavefront6targetE0EEEvS10_
	.p2align	8
	.type	_ZN7rocprim17ROCPRIM_400000_NS6detail17trampoline_kernelINS0_14default_configENS1_21merge_config_selectorINS0_5tupleIJxxEEENS0_10empty_typeEEEZNS1_10merge_implIS3_NS0_12zip_iteratorINS5_IJN6thrust23THRUST_200600_302600_NS6detail15normal_iteratorINSC_10device_ptrIKxEEEESI_EEEEESK_NSA_INS5_IJNSE_INSF_IxEEEESM_EEEEEPS7_SP_SP_NSC_11hip_rocprim7__merge17predicate_wrapperIxxNSC_7greaterIxEEEEEE10hipError_tPvRmT0_T1_T2_T3_T4_T5_mmT6_P12ihipStream_tbEUlT_E_NS1_11comp_targetILNS1_3genE10ELNS1_11target_archE1201ELNS1_3gpuE5ELNS1_3repE0EEENS1_30default_config_static_selectorELNS0_4arch9wavefront6targetE0EEEvS10_,@function
_ZN7rocprim17ROCPRIM_400000_NS6detail17trampoline_kernelINS0_14default_configENS1_21merge_config_selectorINS0_5tupleIJxxEEENS0_10empty_typeEEEZNS1_10merge_implIS3_NS0_12zip_iteratorINS5_IJN6thrust23THRUST_200600_302600_NS6detail15normal_iteratorINSC_10device_ptrIKxEEEESI_EEEEESK_NSA_INS5_IJNSE_INSF_IxEEEESM_EEEEEPS7_SP_SP_NSC_11hip_rocprim7__merge17predicate_wrapperIxxNSC_7greaterIxEEEEEE10hipError_tPvRmT0_T1_T2_T3_T4_T5_mmT6_P12ihipStream_tbEUlT_E_NS1_11comp_targetILNS1_3genE10ELNS1_11target_archE1201ELNS1_3gpuE5ELNS1_3repE0EEENS1_30default_config_static_selectorELNS0_4arch9wavefront6targetE0EEEvS10_: ; @_ZN7rocprim17ROCPRIM_400000_NS6detail17trampoline_kernelINS0_14default_configENS1_21merge_config_selectorINS0_5tupleIJxxEEENS0_10empty_typeEEEZNS1_10merge_implIS3_NS0_12zip_iteratorINS5_IJN6thrust23THRUST_200600_302600_NS6detail15normal_iteratorINSC_10device_ptrIKxEEEESI_EEEEESK_NSA_INS5_IJNSE_INSF_IxEEEESM_EEEEEPS7_SP_SP_NSC_11hip_rocprim7__merge17predicate_wrapperIxxNSC_7greaterIxEEEEEE10hipError_tPvRmT0_T1_T2_T3_T4_T5_mmT6_P12ihipStream_tbEUlT_E_NS1_11comp_targetILNS1_3genE10ELNS1_11target_archE1201ELNS1_3gpuE5ELNS1_3repE0EEENS1_30default_config_static_selectorELNS0_4arch9wavefront6targetE0EEEvS10_
; %bb.0:
	.section	.rodata,"a",@progbits
	.p2align	6, 0x0
	.amdhsa_kernel _ZN7rocprim17ROCPRIM_400000_NS6detail17trampoline_kernelINS0_14default_configENS1_21merge_config_selectorINS0_5tupleIJxxEEENS0_10empty_typeEEEZNS1_10merge_implIS3_NS0_12zip_iteratorINS5_IJN6thrust23THRUST_200600_302600_NS6detail15normal_iteratorINSC_10device_ptrIKxEEEESI_EEEEESK_NSA_INS5_IJNSE_INSF_IxEEEESM_EEEEEPS7_SP_SP_NSC_11hip_rocprim7__merge17predicate_wrapperIxxNSC_7greaterIxEEEEEE10hipError_tPvRmT0_T1_T2_T3_T4_T5_mmT6_P12ihipStream_tbEUlT_E_NS1_11comp_targetILNS1_3genE10ELNS1_11target_archE1201ELNS1_3gpuE5ELNS1_3repE0EEENS1_30default_config_static_selectorELNS0_4arch9wavefront6targetE0EEEvS10_
		.amdhsa_group_segment_fixed_size 0
		.amdhsa_private_segment_fixed_size 0
		.amdhsa_kernarg_size 64
		.amdhsa_user_sgpr_count 6
		.amdhsa_user_sgpr_private_segment_buffer 1
		.amdhsa_user_sgpr_dispatch_ptr 0
		.amdhsa_user_sgpr_queue_ptr 0
		.amdhsa_user_sgpr_kernarg_segment_ptr 1
		.amdhsa_user_sgpr_dispatch_id 0
		.amdhsa_user_sgpr_flat_scratch_init 0
		.amdhsa_user_sgpr_private_segment_size 0
		.amdhsa_wavefront_size32 1
		.amdhsa_uses_dynamic_stack 0
		.amdhsa_system_sgpr_private_segment_wavefront_offset 0
		.amdhsa_system_sgpr_workgroup_id_x 1
		.amdhsa_system_sgpr_workgroup_id_y 0
		.amdhsa_system_sgpr_workgroup_id_z 0
		.amdhsa_system_sgpr_workgroup_info 0
		.amdhsa_system_vgpr_workitem_id 0
		.amdhsa_next_free_vgpr 1
		.amdhsa_next_free_sgpr 1
		.amdhsa_reserve_vcc 0
		.amdhsa_reserve_flat_scratch 0
		.amdhsa_float_round_mode_32 0
		.amdhsa_float_round_mode_16_64 0
		.amdhsa_float_denorm_mode_32 3
		.amdhsa_float_denorm_mode_16_64 3
		.amdhsa_dx10_clamp 1
		.amdhsa_ieee_mode 1
		.amdhsa_fp16_overflow 0
		.amdhsa_workgroup_processor_mode 1
		.amdhsa_memory_ordered 1
		.amdhsa_forward_progress 1
		.amdhsa_shared_vgpr_count 0
		.amdhsa_exception_fp_ieee_invalid_op 0
		.amdhsa_exception_fp_denorm_src 0
		.amdhsa_exception_fp_ieee_div_zero 0
		.amdhsa_exception_fp_ieee_overflow 0
		.amdhsa_exception_fp_ieee_underflow 0
		.amdhsa_exception_fp_ieee_inexact 0
		.amdhsa_exception_int_div_zero 0
	.end_amdhsa_kernel
	.section	.text._ZN7rocprim17ROCPRIM_400000_NS6detail17trampoline_kernelINS0_14default_configENS1_21merge_config_selectorINS0_5tupleIJxxEEENS0_10empty_typeEEEZNS1_10merge_implIS3_NS0_12zip_iteratorINS5_IJN6thrust23THRUST_200600_302600_NS6detail15normal_iteratorINSC_10device_ptrIKxEEEESI_EEEEESK_NSA_INS5_IJNSE_INSF_IxEEEESM_EEEEEPS7_SP_SP_NSC_11hip_rocprim7__merge17predicate_wrapperIxxNSC_7greaterIxEEEEEE10hipError_tPvRmT0_T1_T2_T3_T4_T5_mmT6_P12ihipStream_tbEUlT_E_NS1_11comp_targetILNS1_3genE10ELNS1_11target_archE1201ELNS1_3gpuE5ELNS1_3repE0EEENS1_30default_config_static_selectorELNS0_4arch9wavefront6targetE0EEEvS10_,"axG",@progbits,_ZN7rocprim17ROCPRIM_400000_NS6detail17trampoline_kernelINS0_14default_configENS1_21merge_config_selectorINS0_5tupleIJxxEEENS0_10empty_typeEEEZNS1_10merge_implIS3_NS0_12zip_iteratorINS5_IJN6thrust23THRUST_200600_302600_NS6detail15normal_iteratorINSC_10device_ptrIKxEEEESI_EEEEESK_NSA_INS5_IJNSE_INSF_IxEEEESM_EEEEEPS7_SP_SP_NSC_11hip_rocprim7__merge17predicate_wrapperIxxNSC_7greaterIxEEEEEE10hipError_tPvRmT0_T1_T2_T3_T4_T5_mmT6_P12ihipStream_tbEUlT_E_NS1_11comp_targetILNS1_3genE10ELNS1_11target_archE1201ELNS1_3gpuE5ELNS1_3repE0EEENS1_30default_config_static_selectorELNS0_4arch9wavefront6targetE0EEEvS10_,comdat
.Lfunc_end412:
	.size	_ZN7rocprim17ROCPRIM_400000_NS6detail17trampoline_kernelINS0_14default_configENS1_21merge_config_selectorINS0_5tupleIJxxEEENS0_10empty_typeEEEZNS1_10merge_implIS3_NS0_12zip_iteratorINS5_IJN6thrust23THRUST_200600_302600_NS6detail15normal_iteratorINSC_10device_ptrIKxEEEESI_EEEEESK_NSA_INS5_IJNSE_INSF_IxEEEESM_EEEEEPS7_SP_SP_NSC_11hip_rocprim7__merge17predicate_wrapperIxxNSC_7greaterIxEEEEEE10hipError_tPvRmT0_T1_T2_T3_T4_T5_mmT6_P12ihipStream_tbEUlT_E_NS1_11comp_targetILNS1_3genE10ELNS1_11target_archE1201ELNS1_3gpuE5ELNS1_3repE0EEENS1_30default_config_static_selectorELNS0_4arch9wavefront6targetE0EEEvS10_, .Lfunc_end412-_ZN7rocprim17ROCPRIM_400000_NS6detail17trampoline_kernelINS0_14default_configENS1_21merge_config_selectorINS0_5tupleIJxxEEENS0_10empty_typeEEEZNS1_10merge_implIS3_NS0_12zip_iteratorINS5_IJN6thrust23THRUST_200600_302600_NS6detail15normal_iteratorINSC_10device_ptrIKxEEEESI_EEEEESK_NSA_INS5_IJNSE_INSF_IxEEEESM_EEEEEPS7_SP_SP_NSC_11hip_rocprim7__merge17predicate_wrapperIxxNSC_7greaterIxEEEEEE10hipError_tPvRmT0_T1_T2_T3_T4_T5_mmT6_P12ihipStream_tbEUlT_E_NS1_11comp_targetILNS1_3genE10ELNS1_11target_archE1201ELNS1_3gpuE5ELNS1_3repE0EEENS1_30default_config_static_selectorELNS0_4arch9wavefront6targetE0EEEvS10_
                                        ; -- End function
	.set _ZN7rocprim17ROCPRIM_400000_NS6detail17trampoline_kernelINS0_14default_configENS1_21merge_config_selectorINS0_5tupleIJxxEEENS0_10empty_typeEEEZNS1_10merge_implIS3_NS0_12zip_iteratorINS5_IJN6thrust23THRUST_200600_302600_NS6detail15normal_iteratorINSC_10device_ptrIKxEEEESI_EEEEESK_NSA_INS5_IJNSE_INSF_IxEEEESM_EEEEEPS7_SP_SP_NSC_11hip_rocprim7__merge17predicate_wrapperIxxNSC_7greaterIxEEEEEE10hipError_tPvRmT0_T1_T2_T3_T4_T5_mmT6_P12ihipStream_tbEUlT_E_NS1_11comp_targetILNS1_3genE10ELNS1_11target_archE1201ELNS1_3gpuE5ELNS1_3repE0EEENS1_30default_config_static_selectorELNS0_4arch9wavefront6targetE0EEEvS10_.num_vgpr, 0
	.set _ZN7rocprim17ROCPRIM_400000_NS6detail17trampoline_kernelINS0_14default_configENS1_21merge_config_selectorINS0_5tupleIJxxEEENS0_10empty_typeEEEZNS1_10merge_implIS3_NS0_12zip_iteratorINS5_IJN6thrust23THRUST_200600_302600_NS6detail15normal_iteratorINSC_10device_ptrIKxEEEESI_EEEEESK_NSA_INS5_IJNSE_INSF_IxEEEESM_EEEEEPS7_SP_SP_NSC_11hip_rocprim7__merge17predicate_wrapperIxxNSC_7greaterIxEEEEEE10hipError_tPvRmT0_T1_T2_T3_T4_T5_mmT6_P12ihipStream_tbEUlT_E_NS1_11comp_targetILNS1_3genE10ELNS1_11target_archE1201ELNS1_3gpuE5ELNS1_3repE0EEENS1_30default_config_static_selectorELNS0_4arch9wavefront6targetE0EEEvS10_.num_agpr, 0
	.set _ZN7rocprim17ROCPRIM_400000_NS6detail17trampoline_kernelINS0_14default_configENS1_21merge_config_selectorINS0_5tupleIJxxEEENS0_10empty_typeEEEZNS1_10merge_implIS3_NS0_12zip_iteratorINS5_IJN6thrust23THRUST_200600_302600_NS6detail15normal_iteratorINSC_10device_ptrIKxEEEESI_EEEEESK_NSA_INS5_IJNSE_INSF_IxEEEESM_EEEEEPS7_SP_SP_NSC_11hip_rocprim7__merge17predicate_wrapperIxxNSC_7greaterIxEEEEEE10hipError_tPvRmT0_T1_T2_T3_T4_T5_mmT6_P12ihipStream_tbEUlT_E_NS1_11comp_targetILNS1_3genE10ELNS1_11target_archE1201ELNS1_3gpuE5ELNS1_3repE0EEENS1_30default_config_static_selectorELNS0_4arch9wavefront6targetE0EEEvS10_.numbered_sgpr, 0
	.set _ZN7rocprim17ROCPRIM_400000_NS6detail17trampoline_kernelINS0_14default_configENS1_21merge_config_selectorINS0_5tupleIJxxEEENS0_10empty_typeEEEZNS1_10merge_implIS3_NS0_12zip_iteratorINS5_IJN6thrust23THRUST_200600_302600_NS6detail15normal_iteratorINSC_10device_ptrIKxEEEESI_EEEEESK_NSA_INS5_IJNSE_INSF_IxEEEESM_EEEEEPS7_SP_SP_NSC_11hip_rocprim7__merge17predicate_wrapperIxxNSC_7greaterIxEEEEEE10hipError_tPvRmT0_T1_T2_T3_T4_T5_mmT6_P12ihipStream_tbEUlT_E_NS1_11comp_targetILNS1_3genE10ELNS1_11target_archE1201ELNS1_3gpuE5ELNS1_3repE0EEENS1_30default_config_static_selectorELNS0_4arch9wavefront6targetE0EEEvS10_.num_named_barrier, 0
	.set _ZN7rocprim17ROCPRIM_400000_NS6detail17trampoline_kernelINS0_14default_configENS1_21merge_config_selectorINS0_5tupleIJxxEEENS0_10empty_typeEEEZNS1_10merge_implIS3_NS0_12zip_iteratorINS5_IJN6thrust23THRUST_200600_302600_NS6detail15normal_iteratorINSC_10device_ptrIKxEEEESI_EEEEESK_NSA_INS5_IJNSE_INSF_IxEEEESM_EEEEEPS7_SP_SP_NSC_11hip_rocprim7__merge17predicate_wrapperIxxNSC_7greaterIxEEEEEE10hipError_tPvRmT0_T1_T2_T3_T4_T5_mmT6_P12ihipStream_tbEUlT_E_NS1_11comp_targetILNS1_3genE10ELNS1_11target_archE1201ELNS1_3gpuE5ELNS1_3repE0EEENS1_30default_config_static_selectorELNS0_4arch9wavefront6targetE0EEEvS10_.private_seg_size, 0
	.set _ZN7rocprim17ROCPRIM_400000_NS6detail17trampoline_kernelINS0_14default_configENS1_21merge_config_selectorINS0_5tupleIJxxEEENS0_10empty_typeEEEZNS1_10merge_implIS3_NS0_12zip_iteratorINS5_IJN6thrust23THRUST_200600_302600_NS6detail15normal_iteratorINSC_10device_ptrIKxEEEESI_EEEEESK_NSA_INS5_IJNSE_INSF_IxEEEESM_EEEEEPS7_SP_SP_NSC_11hip_rocprim7__merge17predicate_wrapperIxxNSC_7greaterIxEEEEEE10hipError_tPvRmT0_T1_T2_T3_T4_T5_mmT6_P12ihipStream_tbEUlT_E_NS1_11comp_targetILNS1_3genE10ELNS1_11target_archE1201ELNS1_3gpuE5ELNS1_3repE0EEENS1_30default_config_static_selectorELNS0_4arch9wavefront6targetE0EEEvS10_.uses_vcc, 0
	.set _ZN7rocprim17ROCPRIM_400000_NS6detail17trampoline_kernelINS0_14default_configENS1_21merge_config_selectorINS0_5tupleIJxxEEENS0_10empty_typeEEEZNS1_10merge_implIS3_NS0_12zip_iteratorINS5_IJN6thrust23THRUST_200600_302600_NS6detail15normal_iteratorINSC_10device_ptrIKxEEEESI_EEEEESK_NSA_INS5_IJNSE_INSF_IxEEEESM_EEEEEPS7_SP_SP_NSC_11hip_rocprim7__merge17predicate_wrapperIxxNSC_7greaterIxEEEEEE10hipError_tPvRmT0_T1_T2_T3_T4_T5_mmT6_P12ihipStream_tbEUlT_E_NS1_11comp_targetILNS1_3genE10ELNS1_11target_archE1201ELNS1_3gpuE5ELNS1_3repE0EEENS1_30default_config_static_selectorELNS0_4arch9wavefront6targetE0EEEvS10_.uses_flat_scratch, 0
	.set _ZN7rocprim17ROCPRIM_400000_NS6detail17trampoline_kernelINS0_14default_configENS1_21merge_config_selectorINS0_5tupleIJxxEEENS0_10empty_typeEEEZNS1_10merge_implIS3_NS0_12zip_iteratorINS5_IJN6thrust23THRUST_200600_302600_NS6detail15normal_iteratorINSC_10device_ptrIKxEEEESI_EEEEESK_NSA_INS5_IJNSE_INSF_IxEEEESM_EEEEEPS7_SP_SP_NSC_11hip_rocprim7__merge17predicate_wrapperIxxNSC_7greaterIxEEEEEE10hipError_tPvRmT0_T1_T2_T3_T4_T5_mmT6_P12ihipStream_tbEUlT_E_NS1_11comp_targetILNS1_3genE10ELNS1_11target_archE1201ELNS1_3gpuE5ELNS1_3repE0EEENS1_30default_config_static_selectorELNS0_4arch9wavefront6targetE0EEEvS10_.has_dyn_sized_stack, 0
	.set _ZN7rocprim17ROCPRIM_400000_NS6detail17trampoline_kernelINS0_14default_configENS1_21merge_config_selectorINS0_5tupleIJxxEEENS0_10empty_typeEEEZNS1_10merge_implIS3_NS0_12zip_iteratorINS5_IJN6thrust23THRUST_200600_302600_NS6detail15normal_iteratorINSC_10device_ptrIKxEEEESI_EEEEESK_NSA_INS5_IJNSE_INSF_IxEEEESM_EEEEEPS7_SP_SP_NSC_11hip_rocprim7__merge17predicate_wrapperIxxNSC_7greaterIxEEEEEE10hipError_tPvRmT0_T1_T2_T3_T4_T5_mmT6_P12ihipStream_tbEUlT_E_NS1_11comp_targetILNS1_3genE10ELNS1_11target_archE1201ELNS1_3gpuE5ELNS1_3repE0EEENS1_30default_config_static_selectorELNS0_4arch9wavefront6targetE0EEEvS10_.has_recursion, 0
	.set _ZN7rocprim17ROCPRIM_400000_NS6detail17trampoline_kernelINS0_14default_configENS1_21merge_config_selectorINS0_5tupleIJxxEEENS0_10empty_typeEEEZNS1_10merge_implIS3_NS0_12zip_iteratorINS5_IJN6thrust23THRUST_200600_302600_NS6detail15normal_iteratorINSC_10device_ptrIKxEEEESI_EEEEESK_NSA_INS5_IJNSE_INSF_IxEEEESM_EEEEEPS7_SP_SP_NSC_11hip_rocprim7__merge17predicate_wrapperIxxNSC_7greaterIxEEEEEE10hipError_tPvRmT0_T1_T2_T3_T4_T5_mmT6_P12ihipStream_tbEUlT_E_NS1_11comp_targetILNS1_3genE10ELNS1_11target_archE1201ELNS1_3gpuE5ELNS1_3repE0EEENS1_30default_config_static_selectorELNS0_4arch9wavefront6targetE0EEEvS10_.has_indirect_call, 0
	.section	.AMDGPU.csdata,"",@progbits
; Kernel info:
; codeLenInByte = 0
; TotalNumSgprs: 0
; NumVgprs: 0
; ScratchSize: 0
; MemoryBound: 0
; FloatMode: 240
; IeeeMode: 1
; LDSByteSize: 0 bytes/workgroup (compile time only)
; SGPRBlocks: 0
; VGPRBlocks: 0
; NumSGPRsForWavesPerEU: 1
; NumVGPRsForWavesPerEU: 1
; Occupancy: 16
; WaveLimiterHint : 0
; COMPUTE_PGM_RSRC2:SCRATCH_EN: 0
; COMPUTE_PGM_RSRC2:USER_SGPR: 6
; COMPUTE_PGM_RSRC2:TRAP_HANDLER: 0
; COMPUTE_PGM_RSRC2:TGID_X_EN: 1
; COMPUTE_PGM_RSRC2:TGID_Y_EN: 0
; COMPUTE_PGM_RSRC2:TGID_Z_EN: 0
; COMPUTE_PGM_RSRC2:TIDIG_COMP_CNT: 0
	.section	.text._ZN7rocprim17ROCPRIM_400000_NS6detail17trampoline_kernelINS0_14default_configENS1_21merge_config_selectorINS0_5tupleIJxxEEENS0_10empty_typeEEEZNS1_10merge_implIS3_NS0_12zip_iteratorINS5_IJN6thrust23THRUST_200600_302600_NS6detail15normal_iteratorINSC_10device_ptrIKxEEEESI_EEEEESK_NSA_INS5_IJNSE_INSF_IxEEEESM_EEEEEPS7_SP_SP_NSC_11hip_rocprim7__merge17predicate_wrapperIxxNSC_7greaterIxEEEEEE10hipError_tPvRmT0_T1_T2_T3_T4_T5_mmT6_P12ihipStream_tbEUlT_E_NS1_11comp_targetILNS1_3genE10ELNS1_11target_archE1200ELNS1_3gpuE4ELNS1_3repE0EEENS1_30default_config_static_selectorELNS0_4arch9wavefront6targetE0EEEvS10_,"axG",@progbits,_ZN7rocprim17ROCPRIM_400000_NS6detail17trampoline_kernelINS0_14default_configENS1_21merge_config_selectorINS0_5tupleIJxxEEENS0_10empty_typeEEEZNS1_10merge_implIS3_NS0_12zip_iteratorINS5_IJN6thrust23THRUST_200600_302600_NS6detail15normal_iteratorINSC_10device_ptrIKxEEEESI_EEEEESK_NSA_INS5_IJNSE_INSF_IxEEEESM_EEEEEPS7_SP_SP_NSC_11hip_rocprim7__merge17predicate_wrapperIxxNSC_7greaterIxEEEEEE10hipError_tPvRmT0_T1_T2_T3_T4_T5_mmT6_P12ihipStream_tbEUlT_E_NS1_11comp_targetILNS1_3genE10ELNS1_11target_archE1200ELNS1_3gpuE4ELNS1_3repE0EEENS1_30default_config_static_selectorELNS0_4arch9wavefront6targetE0EEEvS10_,comdat
	.protected	_ZN7rocprim17ROCPRIM_400000_NS6detail17trampoline_kernelINS0_14default_configENS1_21merge_config_selectorINS0_5tupleIJxxEEENS0_10empty_typeEEEZNS1_10merge_implIS3_NS0_12zip_iteratorINS5_IJN6thrust23THRUST_200600_302600_NS6detail15normal_iteratorINSC_10device_ptrIKxEEEESI_EEEEESK_NSA_INS5_IJNSE_INSF_IxEEEESM_EEEEEPS7_SP_SP_NSC_11hip_rocprim7__merge17predicate_wrapperIxxNSC_7greaterIxEEEEEE10hipError_tPvRmT0_T1_T2_T3_T4_T5_mmT6_P12ihipStream_tbEUlT_E_NS1_11comp_targetILNS1_3genE10ELNS1_11target_archE1200ELNS1_3gpuE4ELNS1_3repE0EEENS1_30default_config_static_selectorELNS0_4arch9wavefront6targetE0EEEvS10_ ; -- Begin function _ZN7rocprim17ROCPRIM_400000_NS6detail17trampoline_kernelINS0_14default_configENS1_21merge_config_selectorINS0_5tupleIJxxEEENS0_10empty_typeEEEZNS1_10merge_implIS3_NS0_12zip_iteratorINS5_IJN6thrust23THRUST_200600_302600_NS6detail15normal_iteratorINSC_10device_ptrIKxEEEESI_EEEEESK_NSA_INS5_IJNSE_INSF_IxEEEESM_EEEEEPS7_SP_SP_NSC_11hip_rocprim7__merge17predicate_wrapperIxxNSC_7greaterIxEEEEEE10hipError_tPvRmT0_T1_T2_T3_T4_T5_mmT6_P12ihipStream_tbEUlT_E_NS1_11comp_targetILNS1_3genE10ELNS1_11target_archE1200ELNS1_3gpuE4ELNS1_3repE0EEENS1_30default_config_static_selectorELNS0_4arch9wavefront6targetE0EEEvS10_
	.globl	_ZN7rocprim17ROCPRIM_400000_NS6detail17trampoline_kernelINS0_14default_configENS1_21merge_config_selectorINS0_5tupleIJxxEEENS0_10empty_typeEEEZNS1_10merge_implIS3_NS0_12zip_iteratorINS5_IJN6thrust23THRUST_200600_302600_NS6detail15normal_iteratorINSC_10device_ptrIKxEEEESI_EEEEESK_NSA_INS5_IJNSE_INSF_IxEEEESM_EEEEEPS7_SP_SP_NSC_11hip_rocprim7__merge17predicate_wrapperIxxNSC_7greaterIxEEEEEE10hipError_tPvRmT0_T1_T2_T3_T4_T5_mmT6_P12ihipStream_tbEUlT_E_NS1_11comp_targetILNS1_3genE10ELNS1_11target_archE1200ELNS1_3gpuE4ELNS1_3repE0EEENS1_30default_config_static_selectorELNS0_4arch9wavefront6targetE0EEEvS10_
	.p2align	8
	.type	_ZN7rocprim17ROCPRIM_400000_NS6detail17trampoline_kernelINS0_14default_configENS1_21merge_config_selectorINS0_5tupleIJxxEEENS0_10empty_typeEEEZNS1_10merge_implIS3_NS0_12zip_iteratorINS5_IJN6thrust23THRUST_200600_302600_NS6detail15normal_iteratorINSC_10device_ptrIKxEEEESI_EEEEESK_NSA_INS5_IJNSE_INSF_IxEEEESM_EEEEEPS7_SP_SP_NSC_11hip_rocprim7__merge17predicate_wrapperIxxNSC_7greaterIxEEEEEE10hipError_tPvRmT0_T1_T2_T3_T4_T5_mmT6_P12ihipStream_tbEUlT_E_NS1_11comp_targetILNS1_3genE10ELNS1_11target_archE1200ELNS1_3gpuE4ELNS1_3repE0EEENS1_30default_config_static_selectorELNS0_4arch9wavefront6targetE0EEEvS10_,@function
_ZN7rocprim17ROCPRIM_400000_NS6detail17trampoline_kernelINS0_14default_configENS1_21merge_config_selectorINS0_5tupleIJxxEEENS0_10empty_typeEEEZNS1_10merge_implIS3_NS0_12zip_iteratorINS5_IJN6thrust23THRUST_200600_302600_NS6detail15normal_iteratorINSC_10device_ptrIKxEEEESI_EEEEESK_NSA_INS5_IJNSE_INSF_IxEEEESM_EEEEEPS7_SP_SP_NSC_11hip_rocprim7__merge17predicate_wrapperIxxNSC_7greaterIxEEEEEE10hipError_tPvRmT0_T1_T2_T3_T4_T5_mmT6_P12ihipStream_tbEUlT_E_NS1_11comp_targetILNS1_3genE10ELNS1_11target_archE1200ELNS1_3gpuE4ELNS1_3repE0EEENS1_30default_config_static_selectorELNS0_4arch9wavefront6targetE0EEEvS10_: ; @_ZN7rocprim17ROCPRIM_400000_NS6detail17trampoline_kernelINS0_14default_configENS1_21merge_config_selectorINS0_5tupleIJxxEEENS0_10empty_typeEEEZNS1_10merge_implIS3_NS0_12zip_iteratorINS5_IJN6thrust23THRUST_200600_302600_NS6detail15normal_iteratorINSC_10device_ptrIKxEEEESI_EEEEESK_NSA_INS5_IJNSE_INSF_IxEEEESM_EEEEEPS7_SP_SP_NSC_11hip_rocprim7__merge17predicate_wrapperIxxNSC_7greaterIxEEEEEE10hipError_tPvRmT0_T1_T2_T3_T4_T5_mmT6_P12ihipStream_tbEUlT_E_NS1_11comp_targetILNS1_3genE10ELNS1_11target_archE1200ELNS1_3gpuE4ELNS1_3repE0EEENS1_30default_config_static_selectorELNS0_4arch9wavefront6targetE0EEEvS10_
; %bb.0:
	.section	.rodata,"a",@progbits
	.p2align	6, 0x0
	.amdhsa_kernel _ZN7rocprim17ROCPRIM_400000_NS6detail17trampoline_kernelINS0_14default_configENS1_21merge_config_selectorINS0_5tupleIJxxEEENS0_10empty_typeEEEZNS1_10merge_implIS3_NS0_12zip_iteratorINS5_IJN6thrust23THRUST_200600_302600_NS6detail15normal_iteratorINSC_10device_ptrIKxEEEESI_EEEEESK_NSA_INS5_IJNSE_INSF_IxEEEESM_EEEEEPS7_SP_SP_NSC_11hip_rocprim7__merge17predicate_wrapperIxxNSC_7greaterIxEEEEEE10hipError_tPvRmT0_T1_T2_T3_T4_T5_mmT6_P12ihipStream_tbEUlT_E_NS1_11comp_targetILNS1_3genE10ELNS1_11target_archE1200ELNS1_3gpuE4ELNS1_3repE0EEENS1_30default_config_static_selectorELNS0_4arch9wavefront6targetE0EEEvS10_
		.amdhsa_group_segment_fixed_size 0
		.amdhsa_private_segment_fixed_size 0
		.amdhsa_kernarg_size 64
		.amdhsa_user_sgpr_count 6
		.amdhsa_user_sgpr_private_segment_buffer 1
		.amdhsa_user_sgpr_dispatch_ptr 0
		.amdhsa_user_sgpr_queue_ptr 0
		.amdhsa_user_sgpr_kernarg_segment_ptr 1
		.amdhsa_user_sgpr_dispatch_id 0
		.amdhsa_user_sgpr_flat_scratch_init 0
		.amdhsa_user_sgpr_private_segment_size 0
		.amdhsa_wavefront_size32 1
		.amdhsa_uses_dynamic_stack 0
		.amdhsa_system_sgpr_private_segment_wavefront_offset 0
		.amdhsa_system_sgpr_workgroup_id_x 1
		.amdhsa_system_sgpr_workgroup_id_y 0
		.amdhsa_system_sgpr_workgroup_id_z 0
		.amdhsa_system_sgpr_workgroup_info 0
		.amdhsa_system_vgpr_workitem_id 0
		.amdhsa_next_free_vgpr 1
		.amdhsa_next_free_sgpr 1
		.amdhsa_reserve_vcc 0
		.amdhsa_reserve_flat_scratch 0
		.amdhsa_float_round_mode_32 0
		.amdhsa_float_round_mode_16_64 0
		.amdhsa_float_denorm_mode_32 3
		.amdhsa_float_denorm_mode_16_64 3
		.amdhsa_dx10_clamp 1
		.amdhsa_ieee_mode 1
		.amdhsa_fp16_overflow 0
		.amdhsa_workgroup_processor_mode 1
		.amdhsa_memory_ordered 1
		.amdhsa_forward_progress 1
		.amdhsa_shared_vgpr_count 0
		.amdhsa_exception_fp_ieee_invalid_op 0
		.amdhsa_exception_fp_denorm_src 0
		.amdhsa_exception_fp_ieee_div_zero 0
		.amdhsa_exception_fp_ieee_overflow 0
		.amdhsa_exception_fp_ieee_underflow 0
		.amdhsa_exception_fp_ieee_inexact 0
		.amdhsa_exception_int_div_zero 0
	.end_amdhsa_kernel
	.section	.text._ZN7rocprim17ROCPRIM_400000_NS6detail17trampoline_kernelINS0_14default_configENS1_21merge_config_selectorINS0_5tupleIJxxEEENS0_10empty_typeEEEZNS1_10merge_implIS3_NS0_12zip_iteratorINS5_IJN6thrust23THRUST_200600_302600_NS6detail15normal_iteratorINSC_10device_ptrIKxEEEESI_EEEEESK_NSA_INS5_IJNSE_INSF_IxEEEESM_EEEEEPS7_SP_SP_NSC_11hip_rocprim7__merge17predicate_wrapperIxxNSC_7greaterIxEEEEEE10hipError_tPvRmT0_T1_T2_T3_T4_T5_mmT6_P12ihipStream_tbEUlT_E_NS1_11comp_targetILNS1_3genE10ELNS1_11target_archE1200ELNS1_3gpuE4ELNS1_3repE0EEENS1_30default_config_static_selectorELNS0_4arch9wavefront6targetE0EEEvS10_,"axG",@progbits,_ZN7rocprim17ROCPRIM_400000_NS6detail17trampoline_kernelINS0_14default_configENS1_21merge_config_selectorINS0_5tupleIJxxEEENS0_10empty_typeEEEZNS1_10merge_implIS3_NS0_12zip_iteratorINS5_IJN6thrust23THRUST_200600_302600_NS6detail15normal_iteratorINSC_10device_ptrIKxEEEESI_EEEEESK_NSA_INS5_IJNSE_INSF_IxEEEESM_EEEEEPS7_SP_SP_NSC_11hip_rocprim7__merge17predicate_wrapperIxxNSC_7greaterIxEEEEEE10hipError_tPvRmT0_T1_T2_T3_T4_T5_mmT6_P12ihipStream_tbEUlT_E_NS1_11comp_targetILNS1_3genE10ELNS1_11target_archE1200ELNS1_3gpuE4ELNS1_3repE0EEENS1_30default_config_static_selectorELNS0_4arch9wavefront6targetE0EEEvS10_,comdat
.Lfunc_end413:
	.size	_ZN7rocprim17ROCPRIM_400000_NS6detail17trampoline_kernelINS0_14default_configENS1_21merge_config_selectorINS0_5tupleIJxxEEENS0_10empty_typeEEEZNS1_10merge_implIS3_NS0_12zip_iteratorINS5_IJN6thrust23THRUST_200600_302600_NS6detail15normal_iteratorINSC_10device_ptrIKxEEEESI_EEEEESK_NSA_INS5_IJNSE_INSF_IxEEEESM_EEEEEPS7_SP_SP_NSC_11hip_rocprim7__merge17predicate_wrapperIxxNSC_7greaterIxEEEEEE10hipError_tPvRmT0_T1_T2_T3_T4_T5_mmT6_P12ihipStream_tbEUlT_E_NS1_11comp_targetILNS1_3genE10ELNS1_11target_archE1200ELNS1_3gpuE4ELNS1_3repE0EEENS1_30default_config_static_selectorELNS0_4arch9wavefront6targetE0EEEvS10_, .Lfunc_end413-_ZN7rocprim17ROCPRIM_400000_NS6detail17trampoline_kernelINS0_14default_configENS1_21merge_config_selectorINS0_5tupleIJxxEEENS0_10empty_typeEEEZNS1_10merge_implIS3_NS0_12zip_iteratorINS5_IJN6thrust23THRUST_200600_302600_NS6detail15normal_iteratorINSC_10device_ptrIKxEEEESI_EEEEESK_NSA_INS5_IJNSE_INSF_IxEEEESM_EEEEEPS7_SP_SP_NSC_11hip_rocprim7__merge17predicate_wrapperIxxNSC_7greaterIxEEEEEE10hipError_tPvRmT0_T1_T2_T3_T4_T5_mmT6_P12ihipStream_tbEUlT_E_NS1_11comp_targetILNS1_3genE10ELNS1_11target_archE1200ELNS1_3gpuE4ELNS1_3repE0EEENS1_30default_config_static_selectorELNS0_4arch9wavefront6targetE0EEEvS10_
                                        ; -- End function
	.set _ZN7rocprim17ROCPRIM_400000_NS6detail17trampoline_kernelINS0_14default_configENS1_21merge_config_selectorINS0_5tupleIJxxEEENS0_10empty_typeEEEZNS1_10merge_implIS3_NS0_12zip_iteratorINS5_IJN6thrust23THRUST_200600_302600_NS6detail15normal_iteratorINSC_10device_ptrIKxEEEESI_EEEEESK_NSA_INS5_IJNSE_INSF_IxEEEESM_EEEEEPS7_SP_SP_NSC_11hip_rocprim7__merge17predicate_wrapperIxxNSC_7greaterIxEEEEEE10hipError_tPvRmT0_T1_T2_T3_T4_T5_mmT6_P12ihipStream_tbEUlT_E_NS1_11comp_targetILNS1_3genE10ELNS1_11target_archE1200ELNS1_3gpuE4ELNS1_3repE0EEENS1_30default_config_static_selectorELNS0_4arch9wavefront6targetE0EEEvS10_.num_vgpr, 0
	.set _ZN7rocprim17ROCPRIM_400000_NS6detail17trampoline_kernelINS0_14default_configENS1_21merge_config_selectorINS0_5tupleIJxxEEENS0_10empty_typeEEEZNS1_10merge_implIS3_NS0_12zip_iteratorINS5_IJN6thrust23THRUST_200600_302600_NS6detail15normal_iteratorINSC_10device_ptrIKxEEEESI_EEEEESK_NSA_INS5_IJNSE_INSF_IxEEEESM_EEEEEPS7_SP_SP_NSC_11hip_rocprim7__merge17predicate_wrapperIxxNSC_7greaterIxEEEEEE10hipError_tPvRmT0_T1_T2_T3_T4_T5_mmT6_P12ihipStream_tbEUlT_E_NS1_11comp_targetILNS1_3genE10ELNS1_11target_archE1200ELNS1_3gpuE4ELNS1_3repE0EEENS1_30default_config_static_selectorELNS0_4arch9wavefront6targetE0EEEvS10_.num_agpr, 0
	.set _ZN7rocprim17ROCPRIM_400000_NS6detail17trampoline_kernelINS0_14default_configENS1_21merge_config_selectorINS0_5tupleIJxxEEENS0_10empty_typeEEEZNS1_10merge_implIS3_NS0_12zip_iteratorINS5_IJN6thrust23THRUST_200600_302600_NS6detail15normal_iteratorINSC_10device_ptrIKxEEEESI_EEEEESK_NSA_INS5_IJNSE_INSF_IxEEEESM_EEEEEPS7_SP_SP_NSC_11hip_rocprim7__merge17predicate_wrapperIxxNSC_7greaterIxEEEEEE10hipError_tPvRmT0_T1_T2_T3_T4_T5_mmT6_P12ihipStream_tbEUlT_E_NS1_11comp_targetILNS1_3genE10ELNS1_11target_archE1200ELNS1_3gpuE4ELNS1_3repE0EEENS1_30default_config_static_selectorELNS0_4arch9wavefront6targetE0EEEvS10_.numbered_sgpr, 0
	.set _ZN7rocprim17ROCPRIM_400000_NS6detail17trampoline_kernelINS0_14default_configENS1_21merge_config_selectorINS0_5tupleIJxxEEENS0_10empty_typeEEEZNS1_10merge_implIS3_NS0_12zip_iteratorINS5_IJN6thrust23THRUST_200600_302600_NS6detail15normal_iteratorINSC_10device_ptrIKxEEEESI_EEEEESK_NSA_INS5_IJNSE_INSF_IxEEEESM_EEEEEPS7_SP_SP_NSC_11hip_rocprim7__merge17predicate_wrapperIxxNSC_7greaterIxEEEEEE10hipError_tPvRmT0_T1_T2_T3_T4_T5_mmT6_P12ihipStream_tbEUlT_E_NS1_11comp_targetILNS1_3genE10ELNS1_11target_archE1200ELNS1_3gpuE4ELNS1_3repE0EEENS1_30default_config_static_selectorELNS0_4arch9wavefront6targetE0EEEvS10_.num_named_barrier, 0
	.set _ZN7rocprim17ROCPRIM_400000_NS6detail17trampoline_kernelINS0_14default_configENS1_21merge_config_selectorINS0_5tupleIJxxEEENS0_10empty_typeEEEZNS1_10merge_implIS3_NS0_12zip_iteratorINS5_IJN6thrust23THRUST_200600_302600_NS6detail15normal_iteratorINSC_10device_ptrIKxEEEESI_EEEEESK_NSA_INS5_IJNSE_INSF_IxEEEESM_EEEEEPS7_SP_SP_NSC_11hip_rocprim7__merge17predicate_wrapperIxxNSC_7greaterIxEEEEEE10hipError_tPvRmT0_T1_T2_T3_T4_T5_mmT6_P12ihipStream_tbEUlT_E_NS1_11comp_targetILNS1_3genE10ELNS1_11target_archE1200ELNS1_3gpuE4ELNS1_3repE0EEENS1_30default_config_static_selectorELNS0_4arch9wavefront6targetE0EEEvS10_.private_seg_size, 0
	.set _ZN7rocprim17ROCPRIM_400000_NS6detail17trampoline_kernelINS0_14default_configENS1_21merge_config_selectorINS0_5tupleIJxxEEENS0_10empty_typeEEEZNS1_10merge_implIS3_NS0_12zip_iteratorINS5_IJN6thrust23THRUST_200600_302600_NS6detail15normal_iteratorINSC_10device_ptrIKxEEEESI_EEEEESK_NSA_INS5_IJNSE_INSF_IxEEEESM_EEEEEPS7_SP_SP_NSC_11hip_rocprim7__merge17predicate_wrapperIxxNSC_7greaterIxEEEEEE10hipError_tPvRmT0_T1_T2_T3_T4_T5_mmT6_P12ihipStream_tbEUlT_E_NS1_11comp_targetILNS1_3genE10ELNS1_11target_archE1200ELNS1_3gpuE4ELNS1_3repE0EEENS1_30default_config_static_selectorELNS0_4arch9wavefront6targetE0EEEvS10_.uses_vcc, 0
	.set _ZN7rocprim17ROCPRIM_400000_NS6detail17trampoline_kernelINS0_14default_configENS1_21merge_config_selectorINS0_5tupleIJxxEEENS0_10empty_typeEEEZNS1_10merge_implIS3_NS0_12zip_iteratorINS5_IJN6thrust23THRUST_200600_302600_NS6detail15normal_iteratorINSC_10device_ptrIKxEEEESI_EEEEESK_NSA_INS5_IJNSE_INSF_IxEEEESM_EEEEEPS7_SP_SP_NSC_11hip_rocprim7__merge17predicate_wrapperIxxNSC_7greaterIxEEEEEE10hipError_tPvRmT0_T1_T2_T3_T4_T5_mmT6_P12ihipStream_tbEUlT_E_NS1_11comp_targetILNS1_3genE10ELNS1_11target_archE1200ELNS1_3gpuE4ELNS1_3repE0EEENS1_30default_config_static_selectorELNS0_4arch9wavefront6targetE0EEEvS10_.uses_flat_scratch, 0
	.set _ZN7rocprim17ROCPRIM_400000_NS6detail17trampoline_kernelINS0_14default_configENS1_21merge_config_selectorINS0_5tupleIJxxEEENS0_10empty_typeEEEZNS1_10merge_implIS3_NS0_12zip_iteratorINS5_IJN6thrust23THRUST_200600_302600_NS6detail15normal_iteratorINSC_10device_ptrIKxEEEESI_EEEEESK_NSA_INS5_IJNSE_INSF_IxEEEESM_EEEEEPS7_SP_SP_NSC_11hip_rocprim7__merge17predicate_wrapperIxxNSC_7greaterIxEEEEEE10hipError_tPvRmT0_T1_T2_T3_T4_T5_mmT6_P12ihipStream_tbEUlT_E_NS1_11comp_targetILNS1_3genE10ELNS1_11target_archE1200ELNS1_3gpuE4ELNS1_3repE0EEENS1_30default_config_static_selectorELNS0_4arch9wavefront6targetE0EEEvS10_.has_dyn_sized_stack, 0
	.set _ZN7rocprim17ROCPRIM_400000_NS6detail17trampoline_kernelINS0_14default_configENS1_21merge_config_selectorINS0_5tupleIJxxEEENS0_10empty_typeEEEZNS1_10merge_implIS3_NS0_12zip_iteratorINS5_IJN6thrust23THRUST_200600_302600_NS6detail15normal_iteratorINSC_10device_ptrIKxEEEESI_EEEEESK_NSA_INS5_IJNSE_INSF_IxEEEESM_EEEEEPS7_SP_SP_NSC_11hip_rocprim7__merge17predicate_wrapperIxxNSC_7greaterIxEEEEEE10hipError_tPvRmT0_T1_T2_T3_T4_T5_mmT6_P12ihipStream_tbEUlT_E_NS1_11comp_targetILNS1_3genE10ELNS1_11target_archE1200ELNS1_3gpuE4ELNS1_3repE0EEENS1_30default_config_static_selectorELNS0_4arch9wavefront6targetE0EEEvS10_.has_recursion, 0
	.set _ZN7rocprim17ROCPRIM_400000_NS6detail17trampoline_kernelINS0_14default_configENS1_21merge_config_selectorINS0_5tupleIJxxEEENS0_10empty_typeEEEZNS1_10merge_implIS3_NS0_12zip_iteratorINS5_IJN6thrust23THRUST_200600_302600_NS6detail15normal_iteratorINSC_10device_ptrIKxEEEESI_EEEEESK_NSA_INS5_IJNSE_INSF_IxEEEESM_EEEEEPS7_SP_SP_NSC_11hip_rocprim7__merge17predicate_wrapperIxxNSC_7greaterIxEEEEEE10hipError_tPvRmT0_T1_T2_T3_T4_T5_mmT6_P12ihipStream_tbEUlT_E_NS1_11comp_targetILNS1_3genE10ELNS1_11target_archE1200ELNS1_3gpuE4ELNS1_3repE0EEENS1_30default_config_static_selectorELNS0_4arch9wavefront6targetE0EEEvS10_.has_indirect_call, 0
	.section	.AMDGPU.csdata,"",@progbits
; Kernel info:
; codeLenInByte = 0
; TotalNumSgprs: 0
; NumVgprs: 0
; ScratchSize: 0
; MemoryBound: 0
; FloatMode: 240
; IeeeMode: 1
; LDSByteSize: 0 bytes/workgroup (compile time only)
; SGPRBlocks: 0
; VGPRBlocks: 0
; NumSGPRsForWavesPerEU: 1
; NumVGPRsForWavesPerEU: 1
; Occupancy: 16
; WaveLimiterHint : 0
; COMPUTE_PGM_RSRC2:SCRATCH_EN: 0
; COMPUTE_PGM_RSRC2:USER_SGPR: 6
; COMPUTE_PGM_RSRC2:TRAP_HANDLER: 0
; COMPUTE_PGM_RSRC2:TGID_X_EN: 1
; COMPUTE_PGM_RSRC2:TGID_Y_EN: 0
; COMPUTE_PGM_RSRC2:TGID_Z_EN: 0
; COMPUTE_PGM_RSRC2:TIDIG_COMP_CNT: 0
	.section	.text._ZN7rocprim17ROCPRIM_400000_NS6detail17trampoline_kernelINS0_14default_configENS1_21merge_config_selectorINS0_5tupleIJxxEEENS0_10empty_typeEEEZNS1_10merge_implIS3_NS0_12zip_iteratorINS5_IJN6thrust23THRUST_200600_302600_NS6detail15normal_iteratorINSC_10device_ptrIKxEEEESI_EEEEESK_NSA_INS5_IJNSE_INSF_IxEEEESM_EEEEEPS7_SP_SP_NSC_11hip_rocprim7__merge17predicate_wrapperIxxNSC_7greaterIxEEEEEE10hipError_tPvRmT0_T1_T2_T3_T4_T5_mmT6_P12ihipStream_tbEUlT_E_NS1_11comp_targetILNS1_3genE9ELNS1_11target_archE1100ELNS1_3gpuE3ELNS1_3repE0EEENS1_30default_config_static_selectorELNS0_4arch9wavefront6targetE0EEEvS10_,"axG",@progbits,_ZN7rocprim17ROCPRIM_400000_NS6detail17trampoline_kernelINS0_14default_configENS1_21merge_config_selectorINS0_5tupleIJxxEEENS0_10empty_typeEEEZNS1_10merge_implIS3_NS0_12zip_iteratorINS5_IJN6thrust23THRUST_200600_302600_NS6detail15normal_iteratorINSC_10device_ptrIKxEEEESI_EEEEESK_NSA_INS5_IJNSE_INSF_IxEEEESM_EEEEEPS7_SP_SP_NSC_11hip_rocprim7__merge17predicate_wrapperIxxNSC_7greaterIxEEEEEE10hipError_tPvRmT0_T1_T2_T3_T4_T5_mmT6_P12ihipStream_tbEUlT_E_NS1_11comp_targetILNS1_3genE9ELNS1_11target_archE1100ELNS1_3gpuE3ELNS1_3repE0EEENS1_30default_config_static_selectorELNS0_4arch9wavefront6targetE0EEEvS10_,comdat
	.protected	_ZN7rocprim17ROCPRIM_400000_NS6detail17trampoline_kernelINS0_14default_configENS1_21merge_config_selectorINS0_5tupleIJxxEEENS0_10empty_typeEEEZNS1_10merge_implIS3_NS0_12zip_iteratorINS5_IJN6thrust23THRUST_200600_302600_NS6detail15normal_iteratorINSC_10device_ptrIKxEEEESI_EEEEESK_NSA_INS5_IJNSE_INSF_IxEEEESM_EEEEEPS7_SP_SP_NSC_11hip_rocprim7__merge17predicate_wrapperIxxNSC_7greaterIxEEEEEE10hipError_tPvRmT0_T1_T2_T3_T4_T5_mmT6_P12ihipStream_tbEUlT_E_NS1_11comp_targetILNS1_3genE9ELNS1_11target_archE1100ELNS1_3gpuE3ELNS1_3repE0EEENS1_30default_config_static_selectorELNS0_4arch9wavefront6targetE0EEEvS10_ ; -- Begin function _ZN7rocprim17ROCPRIM_400000_NS6detail17trampoline_kernelINS0_14default_configENS1_21merge_config_selectorINS0_5tupleIJxxEEENS0_10empty_typeEEEZNS1_10merge_implIS3_NS0_12zip_iteratorINS5_IJN6thrust23THRUST_200600_302600_NS6detail15normal_iteratorINSC_10device_ptrIKxEEEESI_EEEEESK_NSA_INS5_IJNSE_INSF_IxEEEESM_EEEEEPS7_SP_SP_NSC_11hip_rocprim7__merge17predicate_wrapperIxxNSC_7greaterIxEEEEEE10hipError_tPvRmT0_T1_T2_T3_T4_T5_mmT6_P12ihipStream_tbEUlT_E_NS1_11comp_targetILNS1_3genE9ELNS1_11target_archE1100ELNS1_3gpuE3ELNS1_3repE0EEENS1_30default_config_static_selectorELNS0_4arch9wavefront6targetE0EEEvS10_
	.globl	_ZN7rocprim17ROCPRIM_400000_NS6detail17trampoline_kernelINS0_14default_configENS1_21merge_config_selectorINS0_5tupleIJxxEEENS0_10empty_typeEEEZNS1_10merge_implIS3_NS0_12zip_iteratorINS5_IJN6thrust23THRUST_200600_302600_NS6detail15normal_iteratorINSC_10device_ptrIKxEEEESI_EEEEESK_NSA_INS5_IJNSE_INSF_IxEEEESM_EEEEEPS7_SP_SP_NSC_11hip_rocprim7__merge17predicate_wrapperIxxNSC_7greaterIxEEEEEE10hipError_tPvRmT0_T1_T2_T3_T4_T5_mmT6_P12ihipStream_tbEUlT_E_NS1_11comp_targetILNS1_3genE9ELNS1_11target_archE1100ELNS1_3gpuE3ELNS1_3repE0EEENS1_30default_config_static_selectorELNS0_4arch9wavefront6targetE0EEEvS10_
	.p2align	8
	.type	_ZN7rocprim17ROCPRIM_400000_NS6detail17trampoline_kernelINS0_14default_configENS1_21merge_config_selectorINS0_5tupleIJxxEEENS0_10empty_typeEEEZNS1_10merge_implIS3_NS0_12zip_iteratorINS5_IJN6thrust23THRUST_200600_302600_NS6detail15normal_iteratorINSC_10device_ptrIKxEEEESI_EEEEESK_NSA_INS5_IJNSE_INSF_IxEEEESM_EEEEEPS7_SP_SP_NSC_11hip_rocprim7__merge17predicate_wrapperIxxNSC_7greaterIxEEEEEE10hipError_tPvRmT0_T1_T2_T3_T4_T5_mmT6_P12ihipStream_tbEUlT_E_NS1_11comp_targetILNS1_3genE9ELNS1_11target_archE1100ELNS1_3gpuE3ELNS1_3repE0EEENS1_30default_config_static_selectorELNS0_4arch9wavefront6targetE0EEEvS10_,@function
_ZN7rocprim17ROCPRIM_400000_NS6detail17trampoline_kernelINS0_14default_configENS1_21merge_config_selectorINS0_5tupleIJxxEEENS0_10empty_typeEEEZNS1_10merge_implIS3_NS0_12zip_iteratorINS5_IJN6thrust23THRUST_200600_302600_NS6detail15normal_iteratorINSC_10device_ptrIKxEEEESI_EEEEESK_NSA_INS5_IJNSE_INSF_IxEEEESM_EEEEEPS7_SP_SP_NSC_11hip_rocprim7__merge17predicate_wrapperIxxNSC_7greaterIxEEEEEE10hipError_tPvRmT0_T1_T2_T3_T4_T5_mmT6_P12ihipStream_tbEUlT_E_NS1_11comp_targetILNS1_3genE9ELNS1_11target_archE1100ELNS1_3gpuE3ELNS1_3repE0EEENS1_30default_config_static_selectorELNS0_4arch9wavefront6targetE0EEEvS10_: ; @_ZN7rocprim17ROCPRIM_400000_NS6detail17trampoline_kernelINS0_14default_configENS1_21merge_config_selectorINS0_5tupleIJxxEEENS0_10empty_typeEEEZNS1_10merge_implIS3_NS0_12zip_iteratorINS5_IJN6thrust23THRUST_200600_302600_NS6detail15normal_iteratorINSC_10device_ptrIKxEEEESI_EEEEESK_NSA_INS5_IJNSE_INSF_IxEEEESM_EEEEEPS7_SP_SP_NSC_11hip_rocprim7__merge17predicate_wrapperIxxNSC_7greaterIxEEEEEE10hipError_tPvRmT0_T1_T2_T3_T4_T5_mmT6_P12ihipStream_tbEUlT_E_NS1_11comp_targetILNS1_3genE9ELNS1_11target_archE1100ELNS1_3gpuE3ELNS1_3repE0EEENS1_30default_config_static_selectorELNS0_4arch9wavefront6targetE0EEEvS10_
; %bb.0:
	.section	.rodata,"a",@progbits
	.p2align	6, 0x0
	.amdhsa_kernel _ZN7rocprim17ROCPRIM_400000_NS6detail17trampoline_kernelINS0_14default_configENS1_21merge_config_selectorINS0_5tupleIJxxEEENS0_10empty_typeEEEZNS1_10merge_implIS3_NS0_12zip_iteratorINS5_IJN6thrust23THRUST_200600_302600_NS6detail15normal_iteratorINSC_10device_ptrIKxEEEESI_EEEEESK_NSA_INS5_IJNSE_INSF_IxEEEESM_EEEEEPS7_SP_SP_NSC_11hip_rocprim7__merge17predicate_wrapperIxxNSC_7greaterIxEEEEEE10hipError_tPvRmT0_T1_T2_T3_T4_T5_mmT6_P12ihipStream_tbEUlT_E_NS1_11comp_targetILNS1_3genE9ELNS1_11target_archE1100ELNS1_3gpuE3ELNS1_3repE0EEENS1_30default_config_static_selectorELNS0_4arch9wavefront6targetE0EEEvS10_
		.amdhsa_group_segment_fixed_size 0
		.amdhsa_private_segment_fixed_size 0
		.amdhsa_kernarg_size 64
		.amdhsa_user_sgpr_count 6
		.amdhsa_user_sgpr_private_segment_buffer 1
		.amdhsa_user_sgpr_dispatch_ptr 0
		.amdhsa_user_sgpr_queue_ptr 0
		.amdhsa_user_sgpr_kernarg_segment_ptr 1
		.amdhsa_user_sgpr_dispatch_id 0
		.amdhsa_user_sgpr_flat_scratch_init 0
		.amdhsa_user_sgpr_private_segment_size 0
		.amdhsa_wavefront_size32 1
		.amdhsa_uses_dynamic_stack 0
		.amdhsa_system_sgpr_private_segment_wavefront_offset 0
		.amdhsa_system_sgpr_workgroup_id_x 1
		.amdhsa_system_sgpr_workgroup_id_y 0
		.amdhsa_system_sgpr_workgroup_id_z 0
		.amdhsa_system_sgpr_workgroup_info 0
		.amdhsa_system_vgpr_workitem_id 0
		.amdhsa_next_free_vgpr 1
		.amdhsa_next_free_sgpr 1
		.amdhsa_reserve_vcc 0
		.amdhsa_reserve_flat_scratch 0
		.amdhsa_float_round_mode_32 0
		.amdhsa_float_round_mode_16_64 0
		.amdhsa_float_denorm_mode_32 3
		.amdhsa_float_denorm_mode_16_64 3
		.amdhsa_dx10_clamp 1
		.amdhsa_ieee_mode 1
		.amdhsa_fp16_overflow 0
		.amdhsa_workgroup_processor_mode 1
		.amdhsa_memory_ordered 1
		.amdhsa_forward_progress 1
		.amdhsa_shared_vgpr_count 0
		.amdhsa_exception_fp_ieee_invalid_op 0
		.amdhsa_exception_fp_denorm_src 0
		.amdhsa_exception_fp_ieee_div_zero 0
		.amdhsa_exception_fp_ieee_overflow 0
		.amdhsa_exception_fp_ieee_underflow 0
		.amdhsa_exception_fp_ieee_inexact 0
		.amdhsa_exception_int_div_zero 0
	.end_amdhsa_kernel
	.section	.text._ZN7rocprim17ROCPRIM_400000_NS6detail17trampoline_kernelINS0_14default_configENS1_21merge_config_selectorINS0_5tupleIJxxEEENS0_10empty_typeEEEZNS1_10merge_implIS3_NS0_12zip_iteratorINS5_IJN6thrust23THRUST_200600_302600_NS6detail15normal_iteratorINSC_10device_ptrIKxEEEESI_EEEEESK_NSA_INS5_IJNSE_INSF_IxEEEESM_EEEEEPS7_SP_SP_NSC_11hip_rocprim7__merge17predicate_wrapperIxxNSC_7greaterIxEEEEEE10hipError_tPvRmT0_T1_T2_T3_T4_T5_mmT6_P12ihipStream_tbEUlT_E_NS1_11comp_targetILNS1_3genE9ELNS1_11target_archE1100ELNS1_3gpuE3ELNS1_3repE0EEENS1_30default_config_static_selectorELNS0_4arch9wavefront6targetE0EEEvS10_,"axG",@progbits,_ZN7rocprim17ROCPRIM_400000_NS6detail17trampoline_kernelINS0_14default_configENS1_21merge_config_selectorINS0_5tupleIJxxEEENS0_10empty_typeEEEZNS1_10merge_implIS3_NS0_12zip_iteratorINS5_IJN6thrust23THRUST_200600_302600_NS6detail15normal_iteratorINSC_10device_ptrIKxEEEESI_EEEEESK_NSA_INS5_IJNSE_INSF_IxEEEESM_EEEEEPS7_SP_SP_NSC_11hip_rocprim7__merge17predicate_wrapperIxxNSC_7greaterIxEEEEEE10hipError_tPvRmT0_T1_T2_T3_T4_T5_mmT6_P12ihipStream_tbEUlT_E_NS1_11comp_targetILNS1_3genE9ELNS1_11target_archE1100ELNS1_3gpuE3ELNS1_3repE0EEENS1_30default_config_static_selectorELNS0_4arch9wavefront6targetE0EEEvS10_,comdat
.Lfunc_end414:
	.size	_ZN7rocprim17ROCPRIM_400000_NS6detail17trampoline_kernelINS0_14default_configENS1_21merge_config_selectorINS0_5tupleIJxxEEENS0_10empty_typeEEEZNS1_10merge_implIS3_NS0_12zip_iteratorINS5_IJN6thrust23THRUST_200600_302600_NS6detail15normal_iteratorINSC_10device_ptrIKxEEEESI_EEEEESK_NSA_INS5_IJNSE_INSF_IxEEEESM_EEEEEPS7_SP_SP_NSC_11hip_rocprim7__merge17predicate_wrapperIxxNSC_7greaterIxEEEEEE10hipError_tPvRmT0_T1_T2_T3_T4_T5_mmT6_P12ihipStream_tbEUlT_E_NS1_11comp_targetILNS1_3genE9ELNS1_11target_archE1100ELNS1_3gpuE3ELNS1_3repE0EEENS1_30default_config_static_selectorELNS0_4arch9wavefront6targetE0EEEvS10_, .Lfunc_end414-_ZN7rocprim17ROCPRIM_400000_NS6detail17trampoline_kernelINS0_14default_configENS1_21merge_config_selectorINS0_5tupleIJxxEEENS0_10empty_typeEEEZNS1_10merge_implIS3_NS0_12zip_iteratorINS5_IJN6thrust23THRUST_200600_302600_NS6detail15normal_iteratorINSC_10device_ptrIKxEEEESI_EEEEESK_NSA_INS5_IJNSE_INSF_IxEEEESM_EEEEEPS7_SP_SP_NSC_11hip_rocprim7__merge17predicate_wrapperIxxNSC_7greaterIxEEEEEE10hipError_tPvRmT0_T1_T2_T3_T4_T5_mmT6_P12ihipStream_tbEUlT_E_NS1_11comp_targetILNS1_3genE9ELNS1_11target_archE1100ELNS1_3gpuE3ELNS1_3repE0EEENS1_30default_config_static_selectorELNS0_4arch9wavefront6targetE0EEEvS10_
                                        ; -- End function
	.set _ZN7rocprim17ROCPRIM_400000_NS6detail17trampoline_kernelINS0_14default_configENS1_21merge_config_selectorINS0_5tupleIJxxEEENS0_10empty_typeEEEZNS1_10merge_implIS3_NS0_12zip_iteratorINS5_IJN6thrust23THRUST_200600_302600_NS6detail15normal_iteratorINSC_10device_ptrIKxEEEESI_EEEEESK_NSA_INS5_IJNSE_INSF_IxEEEESM_EEEEEPS7_SP_SP_NSC_11hip_rocprim7__merge17predicate_wrapperIxxNSC_7greaterIxEEEEEE10hipError_tPvRmT0_T1_T2_T3_T4_T5_mmT6_P12ihipStream_tbEUlT_E_NS1_11comp_targetILNS1_3genE9ELNS1_11target_archE1100ELNS1_3gpuE3ELNS1_3repE0EEENS1_30default_config_static_selectorELNS0_4arch9wavefront6targetE0EEEvS10_.num_vgpr, 0
	.set _ZN7rocprim17ROCPRIM_400000_NS6detail17trampoline_kernelINS0_14default_configENS1_21merge_config_selectorINS0_5tupleIJxxEEENS0_10empty_typeEEEZNS1_10merge_implIS3_NS0_12zip_iteratorINS5_IJN6thrust23THRUST_200600_302600_NS6detail15normal_iteratorINSC_10device_ptrIKxEEEESI_EEEEESK_NSA_INS5_IJNSE_INSF_IxEEEESM_EEEEEPS7_SP_SP_NSC_11hip_rocprim7__merge17predicate_wrapperIxxNSC_7greaterIxEEEEEE10hipError_tPvRmT0_T1_T2_T3_T4_T5_mmT6_P12ihipStream_tbEUlT_E_NS1_11comp_targetILNS1_3genE9ELNS1_11target_archE1100ELNS1_3gpuE3ELNS1_3repE0EEENS1_30default_config_static_selectorELNS0_4arch9wavefront6targetE0EEEvS10_.num_agpr, 0
	.set _ZN7rocprim17ROCPRIM_400000_NS6detail17trampoline_kernelINS0_14default_configENS1_21merge_config_selectorINS0_5tupleIJxxEEENS0_10empty_typeEEEZNS1_10merge_implIS3_NS0_12zip_iteratorINS5_IJN6thrust23THRUST_200600_302600_NS6detail15normal_iteratorINSC_10device_ptrIKxEEEESI_EEEEESK_NSA_INS5_IJNSE_INSF_IxEEEESM_EEEEEPS7_SP_SP_NSC_11hip_rocprim7__merge17predicate_wrapperIxxNSC_7greaterIxEEEEEE10hipError_tPvRmT0_T1_T2_T3_T4_T5_mmT6_P12ihipStream_tbEUlT_E_NS1_11comp_targetILNS1_3genE9ELNS1_11target_archE1100ELNS1_3gpuE3ELNS1_3repE0EEENS1_30default_config_static_selectorELNS0_4arch9wavefront6targetE0EEEvS10_.numbered_sgpr, 0
	.set _ZN7rocprim17ROCPRIM_400000_NS6detail17trampoline_kernelINS0_14default_configENS1_21merge_config_selectorINS0_5tupleIJxxEEENS0_10empty_typeEEEZNS1_10merge_implIS3_NS0_12zip_iteratorINS5_IJN6thrust23THRUST_200600_302600_NS6detail15normal_iteratorINSC_10device_ptrIKxEEEESI_EEEEESK_NSA_INS5_IJNSE_INSF_IxEEEESM_EEEEEPS7_SP_SP_NSC_11hip_rocprim7__merge17predicate_wrapperIxxNSC_7greaterIxEEEEEE10hipError_tPvRmT0_T1_T2_T3_T4_T5_mmT6_P12ihipStream_tbEUlT_E_NS1_11comp_targetILNS1_3genE9ELNS1_11target_archE1100ELNS1_3gpuE3ELNS1_3repE0EEENS1_30default_config_static_selectorELNS0_4arch9wavefront6targetE0EEEvS10_.num_named_barrier, 0
	.set _ZN7rocprim17ROCPRIM_400000_NS6detail17trampoline_kernelINS0_14default_configENS1_21merge_config_selectorINS0_5tupleIJxxEEENS0_10empty_typeEEEZNS1_10merge_implIS3_NS0_12zip_iteratorINS5_IJN6thrust23THRUST_200600_302600_NS6detail15normal_iteratorINSC_10device_ptrIKxEEEESI_EEEEESK_NSA_INS5_IJNSE_INSF_IxEEEESM_EEEEEPS7_SP_SP_NSC_11hip_rocprim7__merge17predicate_wrapperIxxNSC_7greaterIxEEEEEE10hipError_tPvRmT0_T1_T2_T3_T4_T5_mmT6_P12ihipStream_tbEUlT_E_NS1_11comp_targetILNS1_3genE9ELNS1_11target_archE1100ELNS1_3gpuE3ELNS1_3repE0EEENS1_30default_config_static_selectorELNS0_4arch9wavefront6targetE0EEEvS10_.private_seg_size, 0
	.set _ZN7rocprim17ROCPRIM_400000_NS6detail17trampoline_kernelINS0_14default_configENS1_21merge_config_selectorINS0_5tupleIJxxEEENS0_10empty_typeEEEZNS1_10merge_implIS3_NS0_12zip_iteratorINS5_IJN6thrust23THRUST_200600_302600_NS6detail15normal_iteratorINSC_10device_ptrIKxEEEESI_EEEEESK_NSA_INS5_IJNSE_INSF_IxEEEESM_EEEEEPS7_SP_SP_NSC_11hip_rocprim7__merge17predicate_wrapperIxxNSC_7greaterIxEEEEEE10hipError_tPvRmT0_T1_T2_T3_T4_T5_mmT6_P12ihipStream_tbEUlT_E_NS1_11comp_targetILNS1_3genE9ELNS1_11target_archE1100ELNS1_3gpuE3ELNS1_3repE0EEENS1_30default_config_static_selectorELNS0_4arch9wavefront6targetE0EEEvS10_.uses_vcc, 0
	.set _ZN7rocprim17ROCPRIM_400000_NS6detail17trampoline_kernelINS0_14default_configENS1_21merge_config_selectorINS0_5tupleIJxxEEENS0_10empty_typeEEEZNS1_10merge_implIS3_NS0_12zip_iteratorINS5_IJN6thrust23THRUST_200600_302600_NS6detail15normal_iteratorINSC_10device_ptrIKxEEEESI_EEEEESK_NSA_INS5_IJNSE_INSF_IxEEEESM_EEEEEPS7_SP_SP_NSC_11hip_rocprim7__merge17predicate_wrapperIxxNSC_7greaterIxEEEEEE10hipError_tPvRmT0_T1_T2_T3_T4_T5_mmT6_P12ihipStream_tbEUlT_E_NS1_11comp_targetILNS1_3genE9ELNS1_11target_archE1100ELNS1_3gpuE3ELNS1_3repE0EEENS1_30default_config_static_selectorELNS0_4arch9wavefront6targetE0EEEvS10_.uses_flat_scratch, 0
	.set _ZN7rocprim17ROCPRIM_400000_NS6detail17trampoline_kernelINS0_14default_configENS1_21merge_config_selectorINS0_5tupleIJxxEEENS0_10empty_typeEEEZNS1_10merge_implIS3_NS0_12zip_iteratorINS5_IJN6thrust23THRUST_200600_302600_NS6detail15normal_iteratorINSC_10device_ptrIKxEEEESI_EEEEESK_NSA_INS5_IJNSE_INSF_IxEEEESM_EEEEEPS7_SP_SP_NSC_11hip_rocprim7__merge17predicate_wrapperIxxNSC_7greaterIxEEEEEE10hipError_tPvRmT0_T1_T2_T3_T4_T5_mmT6_P12ihipStream_tbEUlT_E_NS1_11comp_targetILNS1_3genE9ELNS1_11target_archE1100ELNS1_3gpuE3ELNS1_3repE0EEENS1_30default_config_static_selectorELNS0_4arch9wavefront6targetE0EEEvS10_.has_dyn_sized_stack, 0
	.set _ZN7rocprim17ROCPRIM_400000_NS6detail17trampoline_kernelINS0_14default_configENS1_21merge_config_selectorINS0_5tupleIJxxEEENS0_10empty_typeEEEZNS1_10merge_implIS3_NS0_12zip_iteratorINS5_IJN6thrust23THRUST_200600_302600_NS6detail15normal_iteratorINSC_10device_ptrIKxEEEESI_EEEEESK_NSA_INS5_IJNSE_INSF_IxEEEESM_EEEEEPS7_SP_SP_NSC_11hip_rocprim7__merge17predicate_wrapperIxxNSC_7greaterIxEEEEEE10hipError_tPvRmT0_T1_T2_T3_T4_T5_mmT6_P12ihipStream_tbEUlT_E_NS1_11comp_targetILNS1_3genE9ELNS1_11target_archE1100ELNS1_3gpuE3ELNS1_3repE0EEENS1_30default_config_static_selectorELNS0_4arch9wavefront6targetE0EEEvS10_.has_recursion, 0
	.set _ZN7rocprim17ROCPRIM_400000_NS6detail17trampoline_kernelINS0_14default_configENS1_21merge_config_selectorINS0_5tupleIJxxEEENS0_10empty_typeEEEZNS1_10merge_implIS3_NS0_12zip_iteratorINS5_IJN6thrust23THRUST_200600_302600_NS6detail15normal_iteratorINSC_10device_ptrIKxEEEESI_EEEEESK_NSA_INS5_IJNSE_INSF_IxEEEESM_EEEEEPS7_SP_SP_NSC_11hip_rocprim7__merge17predicate_wrapperIxxNSC_7greaterIxEEEEEE10hipError_tPvRmT0_T1_T2_T3_T4_T5_mmT6_P12ihipStream_tbEUlT_E_NS1_11comp_targetILNS1_3genE9ELNS1_11target_archE1100ELNS1_3gpuE3ELNS1_3repE0EEENS1_30default_config_static_selectorELNS0_4arch9wavefront6targetE0EEEvS10_.has_indirect_call, 0
	.section	.AMDGPU.csdata,"",@progbits
; Kernel info:
; codeLenInByte = 0
; TotalNumSgprs: 0
; NumVgprs: 0
; ScratchSize: 0
; MemoryBound: 0
; FloatMode: 240
; IeeeMode: 1
; LDSByteSize: 0 bytes/workgroup (compile time only)
; SGPRBlocks: 0
; VGPRBlocks: 0
; NumSGPRsForWavesPerEU: 1
; NumVGPRsForWavesPerEU: 1
; Occupancy: 16
; WaveLimiterHint : 0
; COMPUTE_PGM_RSRC2:SCRATCH_EN: 0
; COMPUTE_PGM_RSRC2:USER_SGPR: 6
; COMPUTE_PGM_RSRC2:TRAP_HANDLER: 0
; COMPUTE_PGM_RSRC2:TGID_X_EN: 1
; COMPUTE_PGM_RSRC2:TGID_Y_EN: 0
; COMPUTE_PGM_RSRC2:TGID_Z_EN: 0
; COMPUTE_PGM_RSRC2:TIDIG_COMP_CNT: 0
	.section	.text._ZN7rocprim17ROCPRIM_400000_NS6detail17trampoline_kernelINS0_14default_configENS1_21merge_config_selectorINS0_5tupleIJxxEEENS0_10empty_typeEEEZNS1_10merge_implIS3_NS0_12zip_iteratorINS5_IJN6thrust23THRUST_200600_302600_NS6detail15normal_iteratorINSC_10device_ptrIKxEEEESI_EEEEESK_NSA_INS5_IJNSE_INSF_IxEEEESM_EEEEEPS7_SP_SP_NSC_11hip_rocprim7__merge17predicate_wrapperIxxNSC_7greaterIxEEEEEE10hipError_tPvRmT0_T1_T2_T3_T4_T5_mmT6_P12ihipStream_tbEUlT_E_NS1_11comp_targetILNS1_3genE8ELNS1_11target_archE1030ELNS1_3gpuE2ELNS1_3repE0EEENS1_30default_config_static_selectorELNS0_4arch9wavefront6targetE0EEEvS10_,"axG",@progbits,_ZN7rocprim17ROCPRIM_400000_NS6detail17trampoline_kernelINS0_14default_configENS1_21merge_config_selectorINS0_5tupleIJxxEEENS0_10empty_typeEEEZNS1_10merge_implIS3_NS0_12zip_iteratorINS5_IJN6thrust23THRUST_200600_302600_NS6detail15normal_iteratorINSC_10device_ptrIKxEEEESI_EEEEESK_NSA_INS5_IJNSE_INSF_IxEEEESM_EEEEEPS7_SP_SP_NSC_11hip_rocprim7__merge17predicate_wrapperIxxNSC_7greaterIxEEEEEE10hipError_tPvRmT0_T1_T2_T3_T4_T5_mmT6_P12ihipStream_tbEUlT_E_NS1_11comp_targetILNS1_3genE8ELNS1_11target_archE1030ELNS1_3gpuE2ELNS1_3repE0EEENS1_30default_config_static_selectorELNS0_4arch9wavefront6targetE0EEEvS10_,comdat
	.protected	_ZN7rocprim17ROCPRIM_400000_NS6detail17trampoline_kernelINS0_14default_configENS1_21merge_config_selectorINS0_5tupleIJxxEEENS0_10empty_typeEEEZNS1_10merge_implIS3_NS0_12zip_iteratorINS5_IJN6thrust23THRUST_200600_302600_NS6detail15normal_iteratorINSC_10device_ptrIKxEEEESI_EEEEESK_NSA_INS5_IJNSE_INSF_IxEEEESM_EEEEEPS7_SP_SP_NSC_11hip_rocprim7__merge17predicate_wrapperIxxNSC_7greaterIxEEEEEE10hipError_tPvRmT0_T1_T2_T3_T4_T5_mmT6_P12ihipStream_tbEUlT_E_NS1_11comp_targetILNS1_3genE8ELNS1_11target_archE1030ELNS1_3gpuE2ELNS1_3repE0EEENS1_30default_config_static_selectorELNS0_4arch9wavefront6targetE0EEEvS10_ ; -- Begin function _ZN7rocprim17ROCPRIM_400000_NS6detail17trampoline_kernelINS0_14default_configENS1_21merge_config_selectorINS0_5tupleIJxxEEENS0_10empty_typeEEEZNS1_10merge_implIS3_NS0_12zip_iteratorINS5_IJN6thrust23THRUST_200600_302600_NS6detail15normal_iteratorINSC_10device_ptrIKxEEEESI_EEEEESK_NSA_INS5_IJNSE_INSF_IxEEEESM_EEEEEPS7_SP_SP_NSC_11hip_rocprim7__merge17predicate_wrapperIxxNSC_7greaterIxEEEEEE10hipError_tPvRmT0_T1_T2_T3_T4_T5_mmT6_P12ihipStream_tbEUlT_E_NS1_11comp_targetILNS1_3genE8ELNS1_11target_archE1030ELNS1_3gpuE2ELNS1_3repE0EEENS1_30default_config_static_selectorELNS0_4arch9wavefront6targetE0EEEvS10_
	.globl	_ZN7rocprim17ROCPRIM_400000_NS6detail17trampoline_kernelINS0_14default_configENS1_21merge_config_selectorINS0_5tupleIJxxEEENS0_10empty_typeEEEZNS1_10merge_implIS3_NS0_12zip_iteratorINS5_IJN6thrust23THRUST_200600_302600_NS6detail15normal_iteratorINSC_10device_ptrIKxEEEESI_EEEEESK_NSA_INS5_IJNSE_INSF_IxEEEESM_EEEEEPS7_SP_SP_NSC_11hip_rocprim7__merge17predicate_wrapperIxxNSC_7greaterIxEEEEEE10hipError_tPvRmT0_T1_T2_T3_T4_T5_mmT6_P12ihipStream_tbEUlT_E_NS1_11comp_targetILNS1_3genE8ELNS1_11target_archE1030ELNS1_3gpuE2ELNS1_3repE0EEENS1_30default_config_static_selectorELNS0_4arch9wavefront6targetE0EEEvS10_
	.p2align	8
	.type	_ZN7rocprim17ROCPRIM_400000_NS6detail17trampoline_kernelINS0_14default_configENS1_21merge_config_selectorINS0_5tupleIJxxEEENS0_10empty_typeEEEZNS1_10merge_implIS3_NS0_12zip_iteratorINS5_IJN6thrust23THRUST_200600_302600_NS6detail15normal_iteratorINSC_10device_ptrIKxEEEESI_EEEEESK_NSA_INS5_IJNSE_INSF_IxEEEESM_EEEEEPS7_SP_SP_NSC_11hip_rocprim7__merge17predicate_wrapperIxxNSC_7greaterIxEEEEEE10hipError_tPvRmT0_T1_T2_T3_T4_T5_mmT6_P12ihipStream_tbEUlT_E_NS1_11comp_targetILNS1_3genE8ELNS1_11target_archE1030ELNS1_3gpuE2ELNS1_3repE0EEENS1_30default_config_static_selectorELNS0_4arch9wavefront6targetE0EEEvS10_,@function
_ZN7rocprim17ROCPRIM_400000_NS6detail17trampoline_kernelINS0_14default_configENS1_21merge_config_selectorINS0_5tupleIJxxEEENS0_10empty_typeEEEZNS1_10merge_implIS3_NS0_12zip_iteratorINS5_IJN6thrust23THRUST_200600_302600_NS6detail15normal_iteratorINSC_10device_ptrIKxEEEESI_EEEEESK_NSA_INS5_IJNSE_INSF_IxEEEESM_EEEEEPS7_SP_SP_NSC_11hip_rocprim7__merge17predicate_wrapperIxxNSC_7greaterIxEEEEEE10hipError_tPvRmT0_T1_T2_T3_T4_T5_mmT6_P12ihipStream_tbEUlT_E_NS1_11comp_targetILNS1_3genE8ELNS1_11target_archE1030ELNS1_3gpuE2ELNS1_3repE0EEENS1_30default_config_static_selectorELNS0_4arch9wavefront6targetE0EEEvS10_: ; @_ZN7rocprim17ROCPRIM_400000_NS6detail17trampoline_kernelINS0_14default_configENS1_21merge_config_selectorINS0_5tupleIJxxEEENS0_10empty_typeEEEZNS1_10merge_implIS3_NS0_12zip_iteratorINS5_IJN6thrust23THRUST_200600_302600_NS6detail15normal_iteratorINSC_10device_ptrIKxEEEESI_EEEEESK_NSA_INS5_IJNSE_INSF_IxEEEESM_EEEEEPS7_SP_SP_NSC_11hip_rocprim7__merge17predicate_wrapperIxxNSC_7greaterIxEEEEEE10hipError_tPvRmT0_T1_T2_T3_T4_T5_mmT6_P12ihipStream_tbEUlT_E_NS1_11comp_targetILNS1_3genE8ELNS1_11target_archE1030ELNS1_3gpuE2ELNS1_3repE0EEENS1_30default_config_static_selectorELNS0_4arch9wavefront6targetE0EEEvS10_
; %bb.0:
	s_clause 0x2
	s_load_dword s2, s[4:5], 0x38
	s_load_dword s0, s[4:5], 0x4c
	s_load_dwordx4 s[12:15], s[4:5], 0x28
	s_waitcnt lgkmcnt(0)
	v_cvt_f32_u32_e32 v1, s2
	s_and_b32 s3, s0, 0xffff
	s_add_u32 s0, s14, s12
	s_addc_u32 s1, s15, s13
	s_sub_i32 s8, 0, s2
	v_rcp_iflag_f32_e32 v1, v1
	s_add_i32 s9, s2, s0
	s_add_i32 s9, s9, -1
	v_mul_f32_e32 v1, 0x4f7ffffe, v1
	v_cvt_u32_f32_e32 v1, v1
	v_readfirstlane_b32 s7, v1
	v_mad_u64_u32 v[0:1], null, s6, s3, v[0:1]
	s_mul_i32 s8, s8, s7
	s_mul_hi_u32 s8, s7, s8
	s_add_i32 s7, s7, s8
	s_mul_hi_u32 s7, s9, s7
	s_mul_i32 s8, s7, s2
	s_sub_i32 s8, s9, s8
	s_add_i32 s9, s7, 1
	s_sub_i32 s10, s8, s2
	s_cmp_ge_u32 s8, s2
	s_cselect_b32 s3, s9, s7
	s_cselect_b32 s6, s10, s8
	s_add_i32 s7, s3, 1
	s_cmp_ge_u32 s6, s2
	s_cselect_b32 s3, s7, s3
	v_cmp_ge_u32_e32 vcc_lo, s3, v0
	s_and_saveexec_b32 s3, vcc_lo
	s_cbranch_execz .LBB415_6
; %bb.1:
	v_mul_lo_u32 v1, v0, s2
	v_mov_b32_e32 v2, 0
	s_load_dwordx4 s[8:11], s[4:5], 0x0
	v_cmp_gt_u64_e32 vcc_lo, s[0:1], v[1:2]
	v_cndmask_b32_e32 v6, s0, v1, vcc_lo
	v_cndmask_b32_e64 v7, s1, 0, vcc_lo
	s_mov_b32 s1, exec_lo
	v_sub_co_u32 v1, vcc_lo, v6, s14
	v_subrev_co_ci_u32_e64 v2, null, s15, v7, vcc_lo
	v_cmp_gt_u64_e64 s0, s[12:13], v[6:7]
	v_cmp_gt_u64_e32 vcc_lo, v[1:2], v[6:7]
	v_cndmask_b32_e64 v5, s13, v7, s0
	v_cndmask_b32_e64 v4, s12, v6, s0
	v_cndmask_b32_e64 v3, v2, 0, vcc_lo
	v_cndmask_b32_e64 v2, v1, 0, vcc_lo
	v_cmpx_lt_u64_e64 v[2:3], v[4:5]
	s_cbranch_execz .LBB415_5
; %bb.2:
	s_load_dwordx2 s[2:3], s[4:5], 0x18
	v_lshlrev_b64 v[6:7], 3, v[6:7]
	s_waitcnt lgkmcnt(0)
	v_add_co_u32 v1, vcc_lo, s2, v6
	v_add_co_ci_u32_e64 v6, null, s3, v7, vcc_lo
	s_mov_b32 s2, 0
	s_inst_prefetch 0x1
	.p2align	6
.LBB415_3:                              ; =>This Inner Loop Header: Depth=1
	v_add_co_u32 v7, vcc_lo, v4, v2
	v_add_co_ci_u32_e64 v8, null, v5, v3, vcc_lo
	v_lshrrev_b64 v[7:8], 1, v[7:8]
	v_lshlrev_b64 v[9:10], 3, v[7:8]
	v_xor_b32_e32 v11, -8, v9
	v_xor_b32_e32 v12, -1, v10
	v_add_co_u32 v9, vcc_lo, s10, v9
	v_add_co_ci_u32_e64 v10, null, s11, v10, vcc_lo
	v_add_co_u32 v11, vcc_lo, v1, v11
	v_add_co_ci_u32_e64 v12, null, v6, v12, vcc_lo
	v_add_co_u32 v13, vcc_lo, v7, 1
	global_load_dwordx2 v[9:10], v[9:10], off
	global_load_dwordx2 v[11:12], v[11:12], off
	s_waitcnt vmcnt(0)
	v_cmp_gt_i64_e64 s0, v[11:12], v[9:10]
	v_add_co_ci_u32_e64 v9, null, 0, v8, vcc_lo
	v_cndmask_b32_e64 v5, v5, v8, s0
	v_cndmask_b32_e64 v4, v4, v7, s0
	;; [unrolled: 1-line block ×4, first 2 shown]
	v_cmp_ge_u64_e32 vcc_lo, v[2:3], v[4:5]
	s_or_b32 s2, vcc_lo, s2
	s_andn2_b32 exec_lo, exec_lo, s2
	s_cbranch_execnz .LBB415_3
; %bb.4:
	s_inst_prefetch 0x2
	s_or_b32 exec_lo, exec_lo, s2
.LBB415_5:
	s_or_b32 exec_lo, exec_lo, s1
	v_mov_b32_e32 v1, 0
	v_lshlrev_b64 v[0:1], 2, v[0:1]
	s_waitcnt lgkmcnt(0)
	v_add_co_u32 v0, vcc_lo, s8, v0
	v_add_co_ci_u32_e64 v1, null, s9, v1, vcc_lo
	global_store_dword v[0:1], v2, off
.LBB415_6:
	s_endpgm
	.section	.rodata,"a",@progbits
	.p2align	6, 0x0
	.amdhsa_kernel _ZN7rocprim17ROCPRIM_400000_NS6detail17trampoline_kernelINS0_14default_configENS1_21merge_config_selectorINS0_5tupleIJxxEEENS0_10empty_typeEEEZNS1_10merge_implIS3_NS0_12zip_iteratorINS5_IJN6thrust23THRUST_200600_302600_NS6detail15normal_iteratorINSC_10device_ptrIKxEEEESI_EEEEESK_NSA_INS5_IJNSE_INSF_IxEEEESM_EEEEEPS7_SP_SP_NSC_11hip_rocprim7__merge17predicate_wrapperIxxNSC_7greaterIxEEEEEE10hipError_tPvRmT0_T1_T2_T3_T4_T5_mmT6_P12ihipStream_tbEUlT_E_NS1_11comp_targetILNS1_3genE8ELNS1_11target_archE1030ELNS1_3gpuE2ELNS1_3repE0EEENS1_30default_config_static_selectorELNS0_4arch9wavefront6targetE0EEEvS10_
		.amdhsa_group_segment_fixed_size 0
		.amdhsa_private_segment_fixed_size 0
		.amdhsa_kernarg_size 320
		.amdhsa_user_sgpr_count 6
		.amdhsa_user_sgpr_private_segment_buffer 1
		.amdhsa_user_sgpr_dispatch_ptr 0
		.amdhsa_user_sgpr_queue_ptr 0
		.amdhsa_user_sgpr_kernarg_segment_ptr 1
		.amdhsa_user_sgpr_dispatch_id 0
		.amdhsa_user_sgpr_flat_scratch_init 0
		.amdhsa_user_sgpr_private_segment_size 0
		.amdhsa_wavefront_size32 1
		.amdhsa_uses_dynamic_stack 0
		.amdhsa_system_sgpr_private_segment_wavefront_offset 0
		.amdhsa_system_sgpr_workgroup_id_x 1
		.amdhsa_system_sgpr_workgroup_id_y 0
		.amdhsa_system_sgpr_workgroup_id_z 0
		.amdhsa_system_sgpr_workgroup_info 0
		.amdhsa_system_vgpr_workitem_id 0
		.amdhsa_next_free_vgpr 14
		.amdhsa_next_free_sgpr 16
		.amdhsa_reserve_vcc 1
		.amdhsa_reserve_flat_scratch 0
		.amdhsa_float_round_mode_32 0
		.amdhsa_float_round_mode_16_64 0
		.amdhsa_float_denorm_mode_32 3
		.amdhsa_float_denorm_mode_16_64 3
		.amdhsa_dx10_clamp 1
		.amdhsa_ieee_mode 1
		.amdhsa_fp16_overflow 0
		.amdhsa_workgroup_processor_mode 1
		.amdhsa_memory_ordered 1
		.amdhsa_forward_progress 1
		.amdhsa_shared_vgpr_count 0
		.amdhsa_exception_fp_ieee_invalid_op 0
		.amdhsa_exception_fp_denorm_src 0
		.amdhsa_exception_fp_ieee_div_zero 0
		.amdhsa_exception_fp_ieee_overflow 0
		.amdhsa_exception_fp_ieee_underflow 0
		.amdhsa_exception_fp_ieee_inexact 0
		.amdhsa_exception_int_div_zero 0
	.end_amdhsa_kernel
	.section	.text._ZN7rocprim17ROCPRIM_400000_NS6detail17trampoline_kernelINS0_14default_configENS1_21merge_config_selectorINS0_5tupleIJxxEEENS0_10empty_typeEEEZNS1_10merge_implIS3_NS0_12zip_iteratorINS5_IJN6thrust23THRUST_200600_302600_NS6detail15normal_iteratorINSC_10device_ptrIKxEEEESI_EEEEESK_NSA_INS5_IJNSE_INSF_IxEEEESM_EEEEEPS7_SP_SP_NSC_11hip_rocprim7__merge17predicate_wrapperIxxNSC_7greaterIxEEEEEE10hipError_tPvRmT0_T1_T2_T3_T4_T5_mmT6_P12ihipStream_tbEUlT_E_NS1_11comp_targetILNS1_3genE8ELNS1_11target_archE1030ELNS1_3gpuE2ELNS1_3repE0EEENS1_30default_config_static_selectorELNS0_4arch9wavefront6targetE0EEEvS10_,"axG",@progbits,_ZN7rocprim17ROCPRIM_400000_NS6detail17trampoline_kernelINS0_14default_configENS1_21merge_config_selectorINS0_5tupleIJxxEEENS0_10empty_typeEEEZNS1_10merge_implIS3_NS0_12zip_iteratorINS5_IJN6thrust23THRUST_200600_302600_NS6detail15normal_iteratorINSC_10device_ptrIKxEEEESI_EEEEESK_NSA_INS5_IJNSE_INSF_IxEEEESM_EEEEEPS7_SP_SP_NSC_11hip_rocprim7__merge17predicate_wrapperIxxNSC_7greaterIxEEEEEE10hipError_tPvRmT0_T1_T2_T3_T4_T5_mmT6_P12ihipStream_tbEUlT_E_NS1_11comp_targetILNS1_3genE8ELNS1_11target_archE1030ELNS1_3gpuE2ELNS1_3repE0EEENS1_30default_config_static_selectorELNS0_4arch9wavefront6targetE0EEEvS10_,comdat
.Lfunc_end415:
	.size	_ZN7rocprim17ROCPRIM_400000_NS6detail17trampoline_kernelINS0_14default_configENS1_21merge_config_selectorINS0_5tupleIJxxEEENS0_10empty_typeEEEZNS1_10merge_implIS3_NS0_12zip_iteratorINS5_IJN6thrust23THRUST_200600_302600_NS6detail15normal_iteratorINSC_10device_ptrIKxEEEESI_EEEEESK_NSA_INS5_IJNSE_INSF_IxEEEESM_EEEEEPS7_SP_SP_NSC_11hip_rocprim7__merge17predicate_wrapperIxxNSC_7greaterIxEEEEEE10hipError_tPvRmT0_T1_T2_T3_T4_T5_mmT6_P12ihipStream_tbEUlT_E_NS1_11comp_targetILNS1_3genE8ELNS1_11target_archE1030ELNS1_3gpuE2ELNS1_3repE0EEENS1_30default_config_static_selectorELNS0_4arch9wavefront6targetE0EEEvS10_, .Lfunc_end415-_ZN7rocprim17ROCPRIM_400000_NS6detail17trampoline_kernelINS0_14default_configENS1_21merge_config_selectorINS0_5tupleIJxxEEENS0_10empty_typeEEEZNS1_10merge_implIS3_NS0_12zip_iteratorINS5_IJN6thrust23THRUST_200600_302600_NS6detail15normal_iteratorINSC_10device_ptrIKxEEEESI_EEEEESK_NSA_INS5_IJNSE_INSF_IxEEEESM_EEEEEPS7_SP_SP_NSC_11hip_rocprim7__merge17predicate_wrapperIxxNSC_7greaterIxEEEEEE10hipError_tPvRmT0_T1_T2_T3_T4_T5_mmT6_P12ihipStream_tbEUlT_E_NS1_11comp_targetILNS1_3genE8ELNS1_11target_archE1030ELNS1_3gpuE2ELNS1_3repE0EEENS1_30default_config_static_selectorELNS0_4arch9wavefront6targetE0EEEvS10_
                                        ; -- End function
	.set _ZN7rocprim17ROCPRIM_400000_NS6detail17trampoline_kernelINS0_14default_configENS1_21merge_config_selectorINS0_5tupleIJxxEEENS0_10empty_typeEEEZNS1_10merge_implIS3_NS0_12zip_iteratorINS5_IJN6thrust23THRUST_200600_302600_NS6detail15normal_iteratorINSC_10device_ptrIKxEEEESI_EEEEESK_NSA_INS5_IJNSE_INSF_IxEEEESM_EEEEEPS7_SP_SP_NSC_11hip_rocprim7__merge17predicate_wrapperIxxNSC_7greaterIxEEEEEE10hipError_tPvRmT0_T1_T2_T3_T4_T5_mmT6_P12ihipStream_tbEUlT_E_NS1_11comp_targetILNS1_3genE8ELNS1_11target_archE1030ELNS1_3gpuE2ELNS1_3repE0EEENS1_30default_config_static_selectorELNS0_4arch9wavefront6targetE0EEEvS10_.num_vgpr, 14
	.set _ZN7rocprim17ROCPRIM_400000_NS6detail17trampoline_kernelINS0_14default_configENS1_21merge_config_selectorINS0_5tupleIJxxEEENS0_10empty_typeEEEZNS1_10merge_implIS3_NS0_12zip_iteratorINS5_IJN6thrust23THRUST_200600_302600_NS6detail15normal_iteratorINSC_10device_ptrIKxEEEESI_EEEEESK_NSA_INS5_IJNSE_INSF_IxEEEESM_EEEEEPS7_SP_SP_NSC_11hip_rocprim7__merge17predicate_wrapperIxxNSC_7greaterIxEEEEEE10hipError_tPvRmT0_T1_T2_T3_T4_T5_mmT6_P12ihipStream_tbEUlT_E_NS1_11comp_targetILNS1_3genE8ELNS1_11target_archE1030ELNS1_3gpuE2ELNS1_3repE0EEENS1_30default_config_static_selectorELNS0_4arch9wavefront6targetE0EEEvS10_.num_agpr, 0
	.set _ZN7rocprim17ROCPRIM_400000_NS6detail17trampoline_kernelINS0_14default_configENS1_21merge_config_selectorINS0_5tupleIJxxEEENS0_10empty_typeEEEZNS1_10merge_implIS3_NS0_12zip_iteratorINS5_IJN6thrust23THRUST_200600_302600_NS6detail15normal_iteratorINSC_10device_ptrIKxEEEESI_EEEEESK_NSA_INS5_IJNSE_INSF_IxEEEESM_EEEEEPS7_SP_SP_NSC_11hip_rocprim7__merge17predicate_wrapperIxxNSC_7greaterIxEEEEEE10hipError_tPvRmT0_T1_T2_T3_T4_T5_mmT6_P12ihipStream_tbEUlT_E_NS1_11comp_targetILNS1_3genE8ELNS1_11target_archE1030ELNS1_3gpuE2ELNS1_3repE0EEENS1_30default_config_static_selectorELNS0_4arch9wavefront6targetE0EEEvS10_.numbered_sgpr, 16
	.set _ZN7rocprim17ROCPRIM_400000_NS6detail17trampoline_kernelINS0_14default_configENS1_21merge_config_selectorINS0_5tupleIJxxEEENS0_10empty_typeEEEZNS1_10merge_implIS3_NS0_12zip_iteratorINS5_IJN6thrust23THRUST_200600_302600_NS6detail15normal_iteratorINSC_10device_ptrIKxEEEESI_EEEEESK_NSA_INS5_IJNSE_INSF_IxEEEESM_EEEEEPS7_SP_SP_NSC_11hip_rocprim7__merge17predicate_wrapperIxxNSC_7greaterIxEEEEEE10hipError_tPvRmT0_T1_T2_T3_T4_T5_mmT6_P12ihipStream_tbEUlT_E_NS1_11comp_targetILNS1_3genE8ELNS1_11target_archE1030ELNS1_3gpuE2ELNS1_3repE0EEENS1_30default_config_static_selectorELNS0_4arch9wavefront6targetE0EEEvS10_.num_named_barrier, 0
	.set _ZN7rocprim17ROCPRIM_400000_NS6detail17trampoline_kernelINS0_14default_configENS1_21merge_config_selectorINS0_5tupleIJxxEEENS0_10empty_typeEEEZNS1_10merge_implIS3_NS0_12zip_iteratorINS5_IJN6thrust23THRUST_200600_302600_NS6detail15normal_iteratorINSC_10device_ptrIKxEEEESI_EEEEESK_NSA_INS5_IJNSE_INSF_IxEEEESM_EEEEEPS7_SP_SP_NSC_11hip_rocprim7__merge17predicate_wrapperIxxNSC_7greaterIxEEEEEE10hipError_tPvRmT0_T1_T2_T3_T4_T5_mmT6_P12ihipStream_tbEUlT_E_NS1_11comp_targetILNS1_3genE8ELNS1_11target_archE1030ELNS1_3gpuE2ELNS1_3repE0EEENS1_30default_config_static_selectorELNS0_4arch9wavefront6targetE0EEEvS10_.private_seg_size, 0
	.set _ZN7rocprim17ROCPRIM_400000_NS6detail17trampoline_kernelINS0_14default_configENS1_21merge_config_selectorINS0_5tupleIJxxEEENS0_10empty_typeEEEZNS1_10merge_implIS3_NS0_12zip_iteratorINS5_IJN6thrust23THRUST_200600_302600_NS6detail15normal_iteratorINSC_10device_ptrIKxEEEESI_EEEEESK_NSA_INS5_IJNSE_INSF_IxEEEESM_EEEEEPS7_SP_SP_NSC_11hip_rocprim7__merge17predicate_wrapperIxxNSC_7greaterIxEEEEEE10hipError_tPvRmT0_T1_T2_T3_T4_T5_mmT6_P12ihipStream_tbEUlT_E_NS1_11comp_targetILNS1_3genE8ELNS1_11target_archE1030ELNS1_3gpuE2ELNS1_3repE0EEENS1_30default_config_static_selectorELNS0_4arch9wavefront6targetE0EEEvS10_.uses_vcc, 1
	.set _ZN7rocprim17ROCPRIM_400000_NS6detail17trampoline_kernelINS0_14default_configENS1_21merge_config_selectorINS0_5tupleIJxxEEENS0_10empty_typeEEEZNS1_10merge_implIS3_NS0_12zip_iteratorINS5_IJN6thrust23THRUST_200600_302600_NS6detail15normal_iteratorINSC_10device_ptrIKxEEEESI_EEEEESK_NSA_INS5_IJNSE_INSF_IxEEEESM_EEEEEPS7_SP_SP_NSC_11hip_rocprim7__merge17predicate_wrapperIxxNSC_7greaterIxEEEEEE10hipError_tPvRmT0_T1_T2_T3_T4_T5_mmT6_P12ihipStream_tbEUlT_E_NS1_11comp_targetILNS1_3genE8ELNS1_11target_archE1030ELNS1_3gpuE2ELNS1_3repE0EEENS1_30default_config_static_selectorELNS0_4arch9wavefront6targetE0EEEvS10_.uses_flat_scratch, 0
	.set _ZN7rocprim17ROCPRIM_400000_NS6detail17trampoline_kernelINS0_14default_configENS1_21merge_config_selectorINS0_5tupleIJxxEEENS0_10empty_typeEEEZNS1_10merge_implIS3_NS0_12zip_iteratorINS5_IJN6thrust23THRUST_200600_302600_NS6detail15normal_iteratorINSC_10device_ptrIKxEEEESI_EEEEESK_NSA_INS5_IJNSE_INSF_IxEEEESM_EEEEEPS7_SP_SP_NSC_11hip_rocprim7__merge17predicate_wrapperIxxNSC_7greaterIxEEEEEE10hipError_tPvRmT0_T1_T2_T3_T4_T5_mmT6_P12ihipStream_tbEUlT_E_NS1_11comp_targetILNS1_3genE8ELNS1_11target_archE1030ELNS1_3gpuE2ELNS1_3repE0EEENS1_30default_config_static_selectorELNS0_4arch9wavefront6targetE0EEEvS10_.has_dyn_sized_stack, 0
	.set _ZN7rocprim17ROCPRIM_400000_NS6detail17trampoline_kernelINS0_14default_configENS1_21merge_config_selectorINS0_5tupleIJxxEEENS0_10empty_typeEEEZNS1_10merge_implIS3_NS0_12zip_iteratorINS5_IJN6thrust23THRUST_200600_302600_NS6detail15normal_iteratorINSC_10device_ptrIKxEEEESI_EEEEESK_NSA_INS5_IJNSE_INSF_IxEEEESM_EEEEEPS7_SP_SP_NSC_11hip_rocprim7__merge17predicate_wrapperIxxNSC_7greaterIxEEEEEE10hipError_tPvRmT0_T1_T2_T3_T4_T5_mmT6_P12ihipStream_tbEUlT_E_NS1_11comp_targetILNS1_3genE8ELNS1_11target_archE1030ELNS1_3gpuE2ELNS1_3repE0EEENS1_30default_config_static_selectorELNS0_4arch9wavefront6targetE0EEEvS10_.has_recursion, 0
	.set _ZN7rocprim17ROCPRIM_400000_NS6detail17trampoline_kernelINS0_14default_configENS1_21merge_config_selectorINS0_5tupleIJxxEEENS0_10empty_typeEEEZNS1_10merge_implIS3_NS0_12zip_iteratorINS5_IJN6thrust23THRUST_200600_302600_NS6detail15normal_iteratorINSC_10device_ptrIKxEEEESI_EEEEESK_NSA_INS5_IJNSE_INSF_IxEEEESM_EEEEEPS7_SP_SP_NSC_11hip_rocprim7__merge17predicate_wrapperIxxNSC_7greaterIxEEEEEE10hipError_tPvRmT0_T1_T2_T3_T4_T5_mmT6_P12ihipStream_tbEUlT_E_NS1_11comp_targetILNS1_3genE8ELNS1_11target_archE1030ELNS1_3gpuE2ELNS1_3repE0EEENS1_30default_config_static_selectorELNS0_4arch9wavefront6targetE0EEEvS10_.has_indirect_call, 0
	.section	.AMDGPU.csdata,"",@progbits
; Kernel info:
; codeLenInByte = 540
; TotalNumSgprs: 18
; NumVgprs: 14
; ScratchSize: 0
; MemoryBound: 0
; FloatMode: 240
; IeeeMode: 1
; LDSByteSize: 0 bytes/workgroup (compile time only)
; SGPRBlocks: 0
; VGPRBlocks: 1
; NumSGPRsForWavesPerEU: 18
; NumVGPRsForWavesPerEU: 14
; Occupancy: 16
; WaveLimiterHint : 0
; COMPUTE_PGM_RSRC2:SCRATCH_EN: 0
; COMPUTE_PGM_RSRC2:USER_SGPR: 6
; COMPUTE_PGM_RSRC2:TRAP_HANDLER: 0
; COMPUTE_PGM_RSRC2:TGID_X_EN: 1
; COMPUTE_PGM_RSRC2:TGID_Y_EN: 0
; COMPUTE_PGM_RSRC2:TGID_Z_EN: 0
; COMPUTE_PGM_RSRC2:TIDIG_COMP_CNT: 0
	.section	.text._ZN7rocprim17ROCPRIM_400000_NS6detail17trampoline_kernelINS0_14default_configENS1_21merge_config_selectorINS0_5tupleIJxxEEENS0_10empty_typeEEEZNS1_10merge_implIS3_NS0_12zip_iteratorINS5_IJN6thrust23THRUST_200600_302600_NS6detail15normal_iteratorINSC_10device_ptrIKxEEEESI_EEEEESK_NSA_INS5_IJNSE_INSF_IxEEEESM_EEEEEPS7_SP_SP_NSC_11hip_rocprim7__merge17predicate_wrapperIxxNSC_7greaterIxEEEEEE10hipError_tPvRmT0_T1_T2_T3_T4_T5_mmT6_P12ihipStream_tbEUlT_E0_NS1_11comp_targetILNS1_3genE0ELNS1_11target_archE4294967295ELNS1_3gpuE0ELNS1_3repE0EEENS1_30default_config_static_selectorELNS0_4arch9wavefront6targetE0EEEvS10_,"axG",@progbits,_ZN7rocprim17ROCPRIM_400000_NS6detail17trampoline_kernelINS0_14default_configENS1_21merge_config_selectorINS0_5tupleIJxxEEENS0_10empty_typeEEEZNS1_10merge_implIS3_NS0_12zip_iteratorINS5_IJN6thrust23THRUST_200600_302600_NS6detail15normal_iteratorINSC_10device_ptrIKxEEEESI_EEEEESK_NSA_INS5_IJNSE_INSF_IxEEEESM_EEEEEPS7_SP_SP_NSC_11hip_rocprim7__merge17predicate_wrapperIxxNSC_7greaterIxEEEEEE10hipError_tPvRmT0_T1_T2_T3_T4_T5_mmT6_P12ihipStream_tbEUlT_E0_NS1_11comp_targetILNS1_3genE0ELNS1_11target_archE4294967295ELNS1_3gpuE0ELNS1_3repE0EEENS1_30default_config_static_selectorELNS0_4arch9wavefront6targetE0EEEvS10_,comdat
	.protected	_ZN7rocprim17ROCPRIM_400000_NS6detail17trampoline_kernelINS0_14default_configENS1_21merge_config_selectorINS0_5tupleIJxxEEENS0_10empty_typeEEEZNS1_10merge_implIS3_NS0_12zip_iteratorINS5_IJN6thrust23THRUST_200600_302600_NS6detail15normal_iteratorINSC_10device_ptrIKxEEEESI_EEEEESK_NSA_INS5_IJNSE_INSF_IxEEEESM_EEEEEPS7_SP_SP_NSC_11hip_rocprim7__merge17predicate_wrapperIxxNSC_7greaterIxEEEEEE10hipError_tPvRmT0_T1_T2_T3_T4_T5_mmT6_P12ihipStream_tbEUlT_E0_NS1_11comp_targetILNS1_3genE0ELNS1_11target_archE4294967295ELNS1_3gpuE0ELNS1_3repE0EEENS1_30default_config_static_selectorELNS0_4arch9wavefront6targetE0EEEvS10_ ; -- Begin function _ZN7rocprim17ROCPRIM_400000_NS6detail17trampoline_kernelINS0_14default_configENS1_21merge_config_selectorINS0_5tupleIJxxEEENS0_10empty_typeEEEZNS1_10merge_implIS3_NS0_12zip_iteratorINS5_IJN6thrust23THRUST_200600_302600_NS6detail15normal_iteratorINSC_10device_ptrIKxEEEESI_EEEEESK_NSA_INS5_IJNSE_INSF_IxEEEESM_EEEEEPS7_SP_SP_NSC_11hip_rocprim7__merge17predicate_wrapperIxxNSC_7greaterIxEEEEEE10hipError_tPvRmT0_T1_T2_T3_T4_T5_mmT6_P12ihipStream_tbEUlT_E0_NS1_11comp_targetILNS1_3genE0ELNS1_11target_archE4294967295ELNS1_3gpuE0ELNS1_3repE0EEENS1_30default_config_static_selectorELNS0_4arch9wavefront6targetE0EEEvS10_
	.globl	_ZN7rocprim17ROCPRIM_400000_NS6detail17trampoline_kernelINS0_14default_configENS1_21merge_config_selectorINS0_5tupleIJxxEEENS0_10empty_typeEEEZNS1_10merge_implIS3_NS0_12zip_iteratorINS5_IJN6thrust23THRUST_200600_302600_NS6detail15normal_iteratorINSC_10device_ptrIKxEEEESI_EEEEESK_NSA_INS5_IJNSE_INSF_IxEEEESM_EEEEEPS7_SP_SP_NSC_11hip_rocprim7__merge17predicate_wrapperIxxNSC_7greaterIxEEEEEE10hipError_tPvRmT0_T1_T2_T3_T4_T5_mmT6_P12ihipStream_tbEUlT_E0_NS1_11comp_targetILNS1_3genE0ELNS1_11target_archE4294967295ELNS1_3gpuE0ELNS1_3repE0EEENS1_30default_config_static_selectorELNS0_4arch9wavefront6targetE0EEEvS10_
	.p2align	8
	.type	_ZN7rocprim17ROCPRIM_400000_NS6detail17trampoline_kernelINS0_14default_configENS1_21merge_config_selectorINS0_5tupleIJxxEEENS0_10empty_typeEEEZNS1_10merge_implIS3_NS0_12zip_iteratorINS5_IJN6thrust23THRUST_200600_302600_NS6detail15normal_iteratorINSC_10device_ptrIKxEEEESI_EEEEESK_NSA_INS5_IJNSE_INSF_IxEEEESM_EEEEEPS7_SP_SP_NSC_11hip_rocprim7__merge17predicate_wrapperIxxNSC_7greaterIxEEEEEE10hipError_tPvRmT0_T1_T2_T3_T4_T5_mmT6_P12ihipStream_tbEUlT_E0_NS1_11comp_targetILNS1_3genE0ELNS1_11target_archE4294967295ELNS1_3gpuE0ELNS1_3repE0EEENS1_30default_config_static_selectorELNS0_4arch9wavefront6targetE0EEEvS10_,@function
_ZN7rocprim17ROCPRIM_400000_NS6detail17trampoline_kernelINS0_14default_configENS1_21merge_config_selectorINS0_5tupleIJxxEEENS0_10empty_typeEEEZNS1_10merge_implIS3_NS0_12zip_iteratorINS5_IJN6thrust23THRUST_200600_302600_NS6detail15normal_iteratorINSC_10device_ptrIKxEEEESI_EEEEESK_NSA_INS5_IJNSE_INSF_IxEEEESM_EEEEEPS7_SP_SP_NSC_11hip_rocprim7__merge17predicate_wrapperIxxNSC_7greaterIxEEEEEE10hipError_tPvRmT0_T1_T2_T3_T4_T5_mmT6_P12ihipStream_tbEUlT_E0_NS1_11comp_targetILNS1_3genE0ELNS1_11target_archE4294967295ELNS1_3gpuE0ELNS1_3repE0EEENS1_30default_config_static_selectorELNS0_4arch9wavefront6targetE0EEEvS10_: ; @_ZN7rocprim17ROCPRIM_400000_NS6detail17trampoline_kernelINS0_14default_configENS1_21merge_config_selectorINS0_5tupleIJxxEEENS0_10empty_typeEEEZNS1_10merge_implIS3_NS0_12zip_iteratorINS5_IJN6thrust23THRUST_200600_302600_NS6detail15normal_iteratorINSC_10device_ptrIKxEEEESI_EEEEESK_NSA_INS5_IJNSE_INSF_IxEEEESM_EEEEEPS7_SP_SP_NSC_11hip_rocprim7__merge17predicate_wrapperIxxNSC_7greaterIxEEEEEE10hipError_tPvRmT0_T1_T2_T3_T4_T5_mmT6_P12ihipStream_tbEUlT_E0_NS1_11comp_targetILNS1_3genE0ELNS1_11target_archE4294967295ELNS1_3gpuE0ELNS1_3repE0EEENS1_30default_config_static_selectorELNS0_4arch9wavefront6targetE0EEEvS10_
; %bb.0:
	.section	.rodata,"a",@progbits
	.p2align	6, 0x0
	.amdhsa_kernel _ZN7rocprim17ROCPRIM_400000_NS6detail17trampoline_kernelINS0_14default_configENS1_21merge_config_selectorINS0_5tupleIJxxEEENS0_10empty_typeEEEZNS1_10merge_implIS3_NS0_12zip_iteratorINS5_IJN6thrust23THRUST_200600_302600_NS6detail15normal_iteratorINSC_10device_ptrIKxEEEESI_EEEEESK_NSA_INS5_IJNSE_INSF_IxEEEESM_EEEEEPS7_SP_SP_NSC_11hip_rocprim7__merge17predicate_wrapperIxxNSC_7greaterIxEEEEEE10hipError_tPvRmT0_T1_T2_T3_T4_T5_mmT6_P12ihipStream_tbEUlT_E0_NS1_11comp_targetILNS1_3genE0ELNS1_11target_archE4294967295ELNS1_3gpuE0ELNS1_3repE0EEENS1_30default_config_static_selectorELNS0_4arch9wavefront6targetE0EEEvS10_
		.amdhsa_group_segment_fixed_size 0
		.amdhsa_private_segment_fixed_size 0
		.amdhsa_kernarg_size 112
		.amdhsa_user_sgpr_count 6
		.amdhsa_user_sgpr_private_segment_buffer 1
		.amdhsa_user_sgpr_dispatch_ptr 0
		.amdhsa_user_sgpr_queue_ptr 0
		.amdhsa_user_sgpr_kernarg_segment_ptr 1
		.amdhsa_user_sgpr_dispatch_id 0
		.amdhsa_user_sgpr_flat_scratch_init 0
		.amdhsa_user_sgpr_private_segment_size 0
		.amdhsa_wavefront_size32 1
		.amdhsa_uses_dynamic_stack 0
		.amdhsa_system_sgpr_private_segment_wavefront_offset 0
		.amdhsa_system_sgpr_workgroup_id_x 1
		.amdhsa_system_sgpr_workgroup_id_y 0
		.amdhsa_system_sgpr_workgroup_id_z 0
		.amdhsa_system_sgpr_workgroup_info 0
		.amdhsa_system_vgpr_workitem_id 0
		.amdhsa_next_free_vgpr 1
		.amdhsa_next_free_sgpr 1
		.amdhsa_reserve_vcc 0
		.amdhsa_reserve_flat_scratch 0
		.amdhsa_float_round_mode_32 0
		.amdhsa_float_round_mode_16_64 0
		.amdhsa_float_denorm_mode_32 3
		.amdhsa_float_denorm_mode_16_64 3
		.amdhsa_dx10_clamp 1
		.amdhsa_ieee_mode 1
		.amdhsa_fp16_overflow 0
		.amdhsa_workgroup_processor_mode 1
		.amdhsa_memory_ordered 1
		.amdhsa_forward_progress 1
		.amdhsa_shared_vgpr_count 0
		.amdhsa_exception_fp_ieee_invalid_op 0
		.amdhsa_exception_fp_denorm_src 0
		.amdhsa_exception_fp_ieee_div_zero 0
		.amdhsa_exception_fp_ieee_overflow 0
		.amdhsa_exception_fp_ieee_underflow 0
		.amdhsa_exception_fp_ieee_inexact 0
		.amdhsa_exception_int_div_zero 0
	.end_amdhsa_kernel
	.section	.text._ZN7rocprim17ROCPRIM_400000_NS6detail17trampoline_kernelINS0_14default_configENS1_21merge_config_selectorINS0_5tupleIJxxEEENS0_10empty_typeEEEZNS1_10merge_implIS3_NS0_12zip_iteratorINS5_IJN6thrust23THRUST_200600_302600_NS6detail15normal_iteratorINSC_10device_ptrIKxEEEESI_EEEEESK_NSA_INS5_IJNSE_INSF_IxEEEESM_EEEEEPS7_SP_SP_NSC_11hip_rocprim7__merge17predicate_wrapperIxxNSC_7greaterIxEEEEEE10hipError_tPvRmT0_T1_T2_T3_T4_T5_mmT6_P12ihipStream_tbEUlT_E0_NS1_11comp_targetILNS1_3genE0ELNS1_11target_archE4294967295ELNS1_3gpuE0ELNS1_3repE0EEENS1_30default_config_static_selectorELNS0_4arch9wavefront6targetE0EEEvS10_,"axG",@progbits,_ZN7rocprim17ROCPRIM_400000_NS6detail17trampoline_kernelINS0_14default_configENS1_21merge_config_selectorINS0_5tupleIJxxEEENS0_10empty_typeEEEZNS1_10merge_implIS3_NS0_12zip_iteratorINS5_IJN6thrust23THRUST_200600_302600_NS6detail15normal_iteratorINSC_10device_ptrIKxEEEESI_EEEEESK_NSA_INS5_IJNSE_INSF_IxEEEESM_EEEEEPS7_SP_SP_NSC_11hip_rocprim7__merge17predicate_wrapperIxxNSC_7greaterIxEEEEEE10hipError_tPvRmT0_T1_T2_T3_T4_T5_mmT6_P12ihipStream_tbEUlT_E0_NS1_11comp_targetILNS1_3genE0ELNS1_11target_archE4294967295ELNS1_3gpuE0ELNS1_3repE0EEENS1_30default_config_static_selectorELNS0_4arch9wavefront6targetE0EEEvS10_,comdat
.Lfunc_end416:
	.size	_ZN7rocprim17ROCPRIM_400000_NS6detail17trampoline_kernelINS0_14default_configENS1_21merge_config_selectorINS0_5tupleIJxxEEENS0_10empty_typeEEEZNS1_10merge_implIS3_NS0_12zip_iteratorINS5_IJN6thrust23THRUST_200600_302600_NS6detail15normal_iteratorINSC_10device_ptrIKxEEEESI_EEEEESK_NSA_INS5_IJNSE_INSF_IxEEEESM_EEEEEPS7_SP_SP_NSC_11hip_rocprim7__merge17predicate_wrapperIxxNSC_7greaterIxEEEEEE10hipError_tPvRmT0_T1_T2_T3_T4_T5_mmT6_P12ihipStream_tbEUlT_E0_NS1_11comp_targetILNS1_3genE0ELNS1_11target_archE4294967295ELNS1_3gpuE0ELNS1_3repE0EEENS1_30default_config_static_selectorELNS0_4arch9wavefront6targetE0EEEvS10_, .Lfunc_end416-_ZN7rocprim17ROCPRIM_400000_NS6detail17trampoline_kernelINS0_14default_configENS1_21merge_config_selectorINS0_5tupleIJxxEEENS0_10empty_typeEEEZNS1_10merge_implIS3_NS0_12zip_iteratorINS5_IJN6thrust23THRUST_200600_302600_NS6detail15normal_iteratorINSC_10device_ptrIKxEEEESI_EEEEESK_NSA_INS5_IJNSE_INSF_IxEEEESM_EEEEEPS7_SP_SP_NSC_11hip_rocprim7__merge17predicate_wrapperIxxNSC_7greaterIxEEEEEE10hipError_tPvRmT0_T1_T2_T3_T4_T5_mmT6_P12ihipStream_tbEUlT_E0_NS1_11comp_targetILNS1_3genE0ELNS1_11target_archE4294967295ELNS1_3gpuE0ELNS1_3repE0EEENS1_30default_config_static_selectorELNS0_4arch9wavefront6targetE0EEEvS10_
                                        ; -- End function
	.set _ZN7rocprim17ROCPRIM_400000_NS6detail17trampoline_kernelINS0_14default_configENS1_21merge_config_selectorINS0_5tupleIJxxEEENS0_10empty_typeEEEZNS1_10merge_implIS3_NS0_12zip_iteratorINS5_IJN6thrust23THRUST_200600_302600_NS6detail15normal_iteratorINSC_10device_ptrIKxEEEESI_EEEEESK_NSA_INS5_IJNSE_INSF_IxEEEESM_EEEEEPS7_SP_SP_NSC_11hip_rocprim7__merge17predicate_wrapperIxxNSC_7greaterIxEEEEEE10hipError_tPvRmT0_T1_T2_T3_T4_T5_mmT6_P12ihipStream_tbEUlT_E0_NS1_11comp_targetILNS1_3genE0ELNS1_11target_archE4294967295ELNS1_3gpuE0ELNS1_3repE0EEENS1_30default_config_static_selectorELNS0_4arch9wavefront6targetE0EEEvS10_.num_vgpr, 0
	.set _ZN7rocprim17ROCPRIM_400000_NS6detail17trampoline_kernelINS0_14default_configENS1_21merge_config_selectorINS0_5tupleIJxxEEENS0_10empty_typeEEEZNS1_10merge_implIS3_NS0_12zip_iteratorINS5_IJN6thrust23THRUST_200600_302600_NS6detail15normal_iteratorINSC_10device_ptrIKxEEEESI_EEEEESK_NSA_INS5_IJNSE_INSF_IxEEEESM_EEEEEPS7_SP_SP_NSC_11hip_rocprim7__merge17predicate_wrapperIxxNSC_7greaterIxEEEEEE10hipError_tPvRmT0_T1_T2_T3_T4_T5_mmT6_P12ihipStream_tbEUlT_E0_NS1_11comp_targetILNS1_3genE0ELNS1_11target_archE4294967295ELNS1_3gpuE0ELNS1_3repE0EEENS1_30default_config_static_selectorELNS0_4arch9wavefront6targetE0EEEvS10_.num_agpr, 0
	.set _ZN7rocprim17ROCPRIM_400000_NS6detail17trampoline_kernelINS0_14default_configENS1_21merge_config_selectorINS0_5tupleIJxxEEENS0_10empty_typeEEEZNS1_10merge_implIS3_NS0_12zip_iteratorINS5_IJN6thrust23THRUST_200600_302600_NS6detail15normal_iteratorINSC_10device_ptrIKxEEEESI_EEEEESK_NSA_INS5_IJNSE_INSF_IxEEEESM_EEEEEPS7_SP_SP_NSC_11hip_rocprim7__merge17predicate_wrapperIxxNSC_7greaterIxEEEEEE10hipError_tPvRmT0_T1_T2_T3_T4_T5_mmT6_P12ihipStream_tbEUlT_E0_NS1_11comp_targetILNS1_3genE0ELNS1_11target_archE4294967295ELNS1_3gpuE0ELNS1_3repE0EEENS1_30default_config_static_selectorELNS0_4arch9wavefront6targetE0EEEvS10_.numbered_sgpr, 0
	.set _ZN7rocprim17ROCPRIM_400000_NS6detail17trampoline_kernelINS0_14default_configENS1_21merge_config_selectorINS0_5tupleIJxxEEENS0_10empty_typeEEEZNS1_10merge_implIS3_NS0_12zip_iteratorINS5_IJN6thrust23THRUST_200600_302600_NS6detail15normal_iteratorINSC_10device_ptrIKxEEEESI_EEEEESK_NSA_INS5_IJNSE_INSF_IxEEEESM_EEEEEPS7_SP_SP_NSC_11hip_rocprim7__merge17predicate_wrapperIxxNSC_7greaterIxEEEEEE10hipError_tPvRmT0_T1_T2_T3_T4_T5_mmT6_P12ihipStream_tbEUlT_E0_NS1_11comp_targetILNS1_3genE0ELNS1_11target_archE4294967295ELNS1_3gpuE0ELNS1_3repE0EEENS1_30default_config_static_selectorELNS0_4arch9wavefront6targetE0EEEvS10_.num_named_barrier, 0
	.set _ZN7rocprim17ROCPRIM_400000_NS6detail17trampoline_kernelINS0_14default_configENS1_21merge_config_selectorINS0_5tupleIJxxEEENS0_10empty_typeEEEZNS1_10merge_implIS3_NS0_12zip_iteratorINS5_IJN6thrust23THRUST_200600_302600_NS6detail15normal_iteratorINSC_10device_ptrIKxEEEESI_EEEEESK_NSA_INS5_IJNSE_INSF_IxEEEESM_EEEEEPS7_SP_SP_NSC_11hip_rocprim7__merge17predicate_wrapperIxxNSC_7greaterIxEEEEEE10hipError_tPvRmT0_T1_T2_T3_T4_T5_mmT6_P12ihipStream_tbEUlT_E0_NS1_11comp_targetILNS1_3genE0ELNS1_11target_archE4294967295ELNS1_3gpuE0ELNS1_3repE0EEENS1_30default_config_static_selectorELNS0_4arch9wavefront6targetE0EEEvS10_.private_seg_size, 0
	.set _ZN7rocprim17ROCPRIM_400000_NS6detail17trampoline_kernelINS0_14default_configENS1_21merge_config_selectorINS0_5tupleIJxxEEENS0_10empty_typeEEEZNS1_10merge_implIS3_NS0_12zip_iteratorINS5_IJN6thrust23THRUST_200600_302600_NS6detail15normal_iteratorINSC_10device_ptrIKxEEEESI_EEEEESK_NSA_INS5_IJNSE_INSF_IxEEEESM_EEEEEPS7_SP_SP_NSC_11hip_rocprim7__merge17predicate_wrapperIxxNSC_7greaterIxEEEEEE10hipError_tPvRmT0_T1_T2_T3_T4_T5_mmT6_P12ihipStream_tbEUlT_E0_NS1_11comp_targetILNS1_3genE0ELNS1_11target_archE4294967295ELNS1_3gpuE0ELNS1_3repE0EEENS1_30default_config_static_selectorELNS0_4arch9wavefront6targetE0EEEvS10_.uses_vcc, 0
	.set _ZN7rocprim17ROCPRIM_400000_NS6detail17trampoline_kernelINS0_14default_configENS1_21merge_config_selectorINS0_5tupleIJxxEEENS0_10empty_typeEEEZNS1_10merge_implIS3_NS0_12zip_iteratorINS5_IJN6thrust23THRUST_200600_302600_NS6detail15normal_iteratorINSC_10device_ptrIKxEEEESI_EEEEESK_NSA_INS5_IJNSE_INSF_IxEEEESM_EEEEEPS7_SP_SP_NSC_11hip_rocprim7__merge17predicate_wrapperIxxNSC_7greaterIxEEEEEE10hipError_tPvRmT0_T1_T2_T3_T4_T5_mmT6_P12ihipStream_tbEUlT_E0_NS1_11comp_targetILNS1_3genE0ELNS1_11target_archE4294967295ELNS1_3gpuE0ELNS1_3repE0EEENS1_30default_config_static_selectorELNS0_4arch9wavefront6targetE0EEEvS10_.uses_flat_scratch, 0
	.set _ZN7rocprim17ROCPRIM_400000_NS6detail17trampoline_kernelINS0_14default_configENS1_21merge_config_selectorINS0_5tupleIJxxEEENS0_10empty_typeEEEZNS1_10merge_implIS3_NS0_12zip_iteratorINS5_IJN6thrust23THRUST_200600_302600_NS6detail15normal_iteratorINSC_10device_ptrIKxEEEESI_EEEEESK_NSA_INS5_IJNSE_INSF_IxEEEESM_EEEEEPS7_SP_SP_NSC_11hip_rocprim7__merge17predicate_wrapperIxxNSC_7greaterIxEEEEEE10hipError_tPvRmT0_T1_T2_T3_T4_T5_mmT6_P12ihipStream_tbEUlT_E0_NS1_11comp_targetILNS1_3genE0ELNS1_11target_archE4294967295ELNS1_3gpuE0ELNS1_3repE0EEENS1_30default_config_static_selectorELNS0_4arch9wavefront6targetE0EEEvS10_.has_dyn_sized_stack, 0
	.set _ZN7rocprim17ROCPRIM_400000_NS6detail17trampoline_kernelINS0_14default_configENS1_21merge_config_selectorINS0_5tupleIJxxEEENS0_10empty_typeEEEZNS1_10merge_implIS3_NS0_12zip_iteratorINS5_IJN6thrust23THRUST_200600_302600_NS6detail15normal_iteratorINSC_10device_ptrIKxEEEESI_EEEEESK_NSA_INS5_IJNSE_INSF_IxEEEESM_EEEEEPS7_SP_SP_NSC_11hip_rocprim7__merge17predicate_wrapperIxxNSC_7greaterIxEEEEEE10hipError_tPvRmT0_T1_T2_T3_T4_T5_mmT6_P12ihipStream_tbEUlT_E0_NS1_11comp_targetILNS1_3genE0ELNS1_11target_archE4294967295ELNS1_3gpuE0ELNS1_3repE0EEENS1_30default_config_static_selectorELNS0_4arch9wavefront6targetE0EEEvS10_.has_recursion, 0
	.set _ZN7rocprim17ROCPRIM_400000_NS6detail17trampoline_kernelINS0_14default_configENS1_21merge_config_selectorINS0_5tupleIJxxEEENS0_10empty_typeEEEZNS1_10merge_implIS3_NS0_12zip_iteratorINS5_IJN6thrust23THRUST_200600_302600_NS6detail15normal_iteratorINSC_10device_ptrIKxEEEESI_EEEEESK_NSA_INS5_IJNSE_INSF_IxEEEESM_EEEEEPS7_SP_SP_NSC_11hip_rocprim7__merge17predicate_wrapperIxxNSC_7greaterIxEEEEEE10hipError_tPvRmT0_T1_T2_T3_T4_T5_mmT6_P12ihipStream_tbEUlT_E0_NS1_11comp_targetILNS1_3genE0ELNS1_11target_archE4294967295ELNS1_3gpuE0ELNS1_3repE0EEENS1_30default_config_static_selectorELNS0_4arch9wavefront6targetE0EEEvS10_.has_indirect_call, 0
	.section	.AMDGPU.csdata,"",@progbits
; Kernel info:
; codeLenInByte = 0
; TotalNumSgprs: 0
; NumVgprs: 0
; ScratchSize: 0
; MemoryBound: 0
; FloatMode: 240
; IeeeMode: 1
; LDSByteSize: 0 bytes/workgroup (compile time only)
; SGPRBlocks: 0
; VGPRBlocks: 0
; NumSGPRsForWavesPerEU: 1
; NumVGPRsForWavesPerEU: 1
; Occupancy: 16
; WaveLimiterHint : 0
; COMPUTE_PGM_RSRC2:SCRATCH_EN: 0
; COMPUTE_PGM_RSRC2:USER_SGPR: 6
; COMPUTE_PGM_RSRC2:TRAP_HANDLER: 0
; COMPUTE_PGM_RSRC2:TGID_X_EN: 1
; COMPUTE_PGM_RSRC2:TGID_Y_EN: 0
; COMPUTE_PGM_RSRC2:TGID_Z_EN: 0
; COMPUTE_PGM_RSRC2:TIDIG_COMP_CNT: 0
	.section	.text._ZN7rocprim17ROCPRIM_400000_NS6detail17trampoline_kernelINS0_14default_configENS1_21merge_config_selectorINS0_5tupleIJxxEEENS0_10empty_typeEEEZNS1_10merge_implIS3_NS0_12zip_iteratorINS5_IJN6thrust23THRUST_200600_302600_NS6detail15normal_iteratorINSC_10device_ptrIKxEEEESI_EEEEESK_NSA_INS5_IJNSE_INSF_IxEEEESM_EEEEEPS7_SP_SP_NSC_11hip_rocprim7__merge17predicate_wrapperIxxNSC_7greaterIxEEEEEE10hipError_tPvRmT0_T1_T2_T3_T4_T5_mmT6_P12ihipStream_tbEUlT_E0_NS1_11comp_targetILNS1_3genE5ELNS1_11target_archE942ELNS1_3gpuE9ELNS1_3repE0EEENS1_30default_config_static_selectorELNS0_4arch9wavefront6targetE0EEEvS10_,"axG",@progbits,_ZN7rocprim17ROCPRIM_400000_NS6detail17trampoline_kernelINS0_14default_configENS1_21merge_config_selectorINS0_5tupleIJxxEEENS0_10empty_typeEEEZNS1_10merge_implIS3_NS0_12zip_iteratorINS5_IJN6thrust23THRUST_200600_302600_NS6detail15normal_iteratorINSC_10device_ptrIKxEEEESI_EEEEESK_NSA_INS5_IJNSE_INSF_IxEEEESM_EEEEEPS7_SP_SP_NSC_11hip_rocprim7__merge17predicate_wrapperIxxNSC_7greaterIxEEEEEE10hipError_tPvRmT0_T1_T2_T3_T4_T5_mmT6_P12ihipStream_tbEUlT_E0_NS1_11comp_targetILNS1_3genE5ELNS1_11target_archE942ELNS1_3gpuE9ELNS1_3repE0EEENS1_30default_config_static_selectorELNS0_4arch9wavefront6targetE0EEEvS10_,comdat
	.protected	_ZN7rocprim17ROCPRIM_400000_NS6detail17trampoline_kernelINS0_14default_configENS1_21merge_config_selectorINS0_5tupleIJxxEEENS0_10empty_typeEEEZNS1_10merge_implIS3_NS0_12zip_iteratorINS5_IJN6thrust23THRUST_200600_302600_NS6detail15normal_iteratorINSC_10device_ptrIKxEEEESI_EEEEESK_NSA_INS5_IJNSE_INSF_IxEEEESM_EEEEEPS7_SP_SP_NSC_11hip_rocprim7__merge17predicate_wrapperIxxNSC_7greaterIxEEEEEE10hipError_tPvRmT0_T1_T2_T3_T4_T5_mmT6_P12ihipStream_tbEUlT_E0_NS1_11comp_targetILNS1_3genE5ELNS1_11target_archE942ELNS1_3gpuE9ELNS1_3repE0EEENS1_30default_config_static_selectorELNS0_4arch9wavefront6targetE0EEEvS10_ ; -- Begin function _ZN7rocprim17ROCPRIM_400000_NS6detail17trampoline_kernelINS0_14default_configENS1_21merge_config_selectorINS0_5tupleIJxxEEENS0_10empty_typeEEEZNS1_10merge_implIS3_NS0_12zip_iteratorINS5_IJN6thrust23THRUST_200600_302600_NS6detail15normal_iteratorINSC_10device_ptrIKxEEEESI_EEEEESK_NSA_INS5_IJNSE_INSF_IxEEEESM_EEEEEPS7_SP_SP_NSC_11hip_rocprim7__merge17predicate_wrapperIxxNSC_7greaterIxEEEEEE10hipError_tPvRmT0_T1_T2_T3_T4_T5_mmT6_P12ihipStream_tbEUlT_E0_NS1_11comp_targetILNS1_3genE5ELNS1_11target_archE942ELNS1_3gpuE9ELNS1_3repE0EEENS1_30default_config_static_selectorELNS0_4arch9wavefront6targetE0EEEvS10_
	.globl	_ZN7rocprim17ROCPRIM_400000_NS6detail17trampoline_kernelINS0_14default_configENS1_21merge_config_selectorINS0_5tupleIJxxEEENS0_10empty_typeEEEZNS1_10merge_implIS3_NS0_12zip_iteratorINS5_IJN6thrust23THRUST_200600_302600_NS6detail15normal_iteratorINSC_10device_ptrIKxEEEESI_EEEEESK_NSA_INS5_IJNSE_INSF_IxEEEESM_EEEEEPS7_SP_SP_NSC_11hip_rocprim7__merge17predicate_wrapperIxxNSC_7greaterIxEEEEEE10hipError_tPvRmT0_T1_T2_T3_T4_T5_mmT6_P12ihipStream_tbEUlT_E0_NS1_11comp_targetILNS1_3genE5ELNS1_11target_archE942ELNS1_3gpuE9ELNS1_3repE0EEENS1_30default_config_static_selectorELNS0_4arch9wavefront6targetE0EEEvS10_
	.p2align	8
	.type	_ZN7rocprim17ROCPRIM_400000_NS6detail17trampoline_kernelINS0_14default_configENS1_21merge_config_selectorINS0_5tupleIJxxEEENS0_10empty_typeEEEZNS1_10merge_implIS3_NS0_12zip_iteratorINS5_IJN6thrust23THRUST_200600_302600_NS6detail15normal_iteratorINSC_10device_ptrIKxEEEESI_EEEEESK_NSA_INS5_IJNSE_INSF_IxEEEESM_EEEEEPS7_SP_SP_NSC_11hip_rocprim7__merge17predicate_wrapperIxxNSC_7greaterIxEEEEEE10hipError_tPvRmT0_T1_T2_T3_T4_T5_mmT6_P12ihipStream_tbEUlT_E0_NS1_11comp_targetILNS1_3genE5ELNS1_11target_archE942ELNS1_3gpuE9ELNS1_3repE0EEENS1_30default_config_static_selectorELNS0_4arch9wavefront6targetE0EEEvS10_,@function
_ZN7rocprim17ROCPRIM_400000_NS6detail17trampoline_kernelINS0_14default_configENS1_21merge_config_selectorINS0_5tupleIJxxEEENS0_10empty_typeEEEZNS1_10merge_implIS3_NS0_12zip_iteratorINS5_IJN6thrust23THRUST_200600_302600_NS6detail15normal_iteratorINSC_10device_ptrIKxEEEESI_EEEEESK_NSA_INS5_IJNSE_INSF_IxEEEESM_EEEEEPS7_SP_SP_NSC_11hip_rocprim7__merge17predicate_wrapperIxxNSC_7greaterIxEEEEEE10hipError_tPvRmT0_T1_T2_T3_T4_T5_mmT6_P12ihipStream_tbEUlT_E0_NS1_11comp_targetILNS1_3genE5ELNS1_11target_archE942ELNS1_3gpuE9ELNS1_3repE0EEENS1_30default_config_static_selectorELNS0_4arch9wavefront6targetE0EEEvS10_: ; @_ZN7rocprim17ROCPRIM_400000_NS6detail17trampoline_kernelINS0_14default_configENS1_21merge_config_selectorINS0_5tupleIJxxEEENS0_10empty_typeEEEZNS1_10merge_implIS3_NS0_12zip_iteratorINS5_IJN6thrust23THRUST_200600_302600_NS6detail15normal_iteratorINSC_10device_ptrIKxEEEESI_EEEEESK_NSA_INS5_IJNSE_INSF_IxEEEESM_EEEEEPS7_SP_SP_NSC_11hip_rocprim7__merge17predicate_wrapperIxxNSC_7greaterIxEEEEEE10hipError_tPvRmT0_T1_T2_T3_T4_T5_mmT6_P12ihipStream_tbEUlT_E0_NS1_11comp_targetILNS1_3genE5ELNS1_11target_archE942ELNS1_3gpuE9ELNS1_3repE0EEENS1_30default_config_static_selectorELNS0_4arch9wavefront6targetE0EEEvS10_
; %bb.0:
	.section	.rodata,"a",@progbits
	.p2align	6, 0x0
	.amdhsa_kernel _ZN7rocprim17ROCPRIM_400000_NS6detail17trampoline_kernelINS0_14default_configENS1_21merge_config_selectorINS0_5tupleIJxxEEENS0_10empty_typeEEEZNS1_10merge_implIS3_NS0_12zip_iteratorINS5_IJN6thrust23THRUST_200600_302600_NS6detail15normal_iteratorINSC_10device_ptrIKxEEEESI_EEEEESK_NSA_INS5_IJNSE_INSF_IxEEEESM_EEEEEPS7_SP_SP_NSC_11hip_rocprim7__merge17predicate_wrapperIxxNSC_7greaterIxEEEEEE10hipError_tPvRmT0_T1_T2_T3_T4_T5_mmT6_P12ihipStream_tbEUlT_E0_NS1_11comp_targetILNS1_3genE5ELNS1_11target_archE942ELNS1_3gpuE9ELNS1_3repE0EEENS1_30default_config_static_selectorELNS0_4arch9wavefront6targetE0EEEvS10_
		.amdhsa_group_segment_fixed_size 0
		.amdhsa_private_segment_fixed_size 0
		.amdhsa_kernarg_size 112
		.amdhsa_user_sgpr_count 6
		.amdhsa_user_sgpr_private_segment_buffer 1
		.amdhsa_user_sgpr_dispatch_ptr 0
		.amdhsa_user_sgpr_queue_ptr 0
		.amdhsa_user_sgpr_kernarg_segment_ptr 1
		.amdhsa_user_sgpr_dispatch_id 0
		.amdhsa_user_sgpr_flat_scratch_init 0
		.amdhsa_user_sgpr_private_segment_size 0
		.amdhsa_wavefront_size32 1
		.amdhsa_uses_dynamic_stack 0
		.amdhsa_system_sgpr_private_segment_wavefront_offset 0
		.amdhsa_system_sgpr_workgroup_id_x 1
		.amdhsa_system_sgpr_workgroup_id_y 0
		.amdhsa_system_sgpr_workgroup_id_z 0
		.amdhsa_system_sgpr_workgroup_info 0
		.amdhsa_system_vgpr_workitem_id 0
		.amdhsa_next_free_vgpr 1
		.amdhsa_next_free_sgpr 1
		.amdhsa_reserve_vcc 0
		.amdhsa_reserve_flat_scratch 0
		.amdhsa_float_round_mode_32 0
		.amdhsa_float_round_mode_16_64 0
		.amdhsa_float_denorm_mode_32 3
		.amdhsa_float_denorm_mode_16_64 3
		.amdhsa_dx10_clamp 1
		.amdhsa_ieee_mode 1
		.amdhsa_fp16_overflow 0
		.amdhsa_workgroup_processor_mode 1
		.amdhsa_memory_ordered 1
		.amdhsa_forward_progress 1
		.amdhsa_shared_vgpr_count 0
		.amdhsa_exception_fp_ieee_invalid_op 0
		.amdhsa_exception_fp_denorm_src 0
		.amdhsa_exception_fp_ieee_div_zero 0
		.amdhsa_exception_fp_ieee_overflow 0
		.amdhsa_exception_fp_ieee_underflow 0
		.amdhsa_exception_fp_ieee_inexact 0
		.amdhsa_exception_int_div_zero 0
	.end_amdhsa_kernel
	.section	.text._ZN7rocprim17ROCPRIM_400000_NS6detail17trampoline_kernelINS0_14default_configENS1_21merge_config_selectorINS0_5tupleIJxxEEENS0_10empty_typeEEEZNS1_10merge_implIS3_NS0_12zip_iteratorINS5_IJN6thrust23THRUST_200600_302600_NS6detail15normal_iteratorINSC_10device_ptrIKxEEEESI_EEEEESK_NSA_INS5_IJNSE_INSF_IxEEEESM_EEEEEPS7_SP_SP_NSC_11hip_rocprim7__merge17predicate_wrapperIxxNSC_7greaterIxEEEEEE10hipError_tPvRmT0_T1_T2_T3_T4_T5_mmT6_P12ihipStream_tbEUlT_E0_NS1_11comp_targetILNS1_3genE5ELNS1_11target_archE942ELNS1_3gpuE9ELNS1_3repE0EEENS1_30default_config_static_selectorELNS0_4arch9wavefront6targetE0EEEvS10_,"axG",@progbits,_ZN7rocprim17ROCPRIM_400000_NS6detail17trampoline_kernelINS0_14default_configENS1_21merge_config_selectorINS0_5tupleIJxxEEENS0_10empty_typeEEEZNS1_10merge_implIS3_NS0_12zip_iteratorINS5_IJN6thrust23THRUST_200600_302600_NS6detail15normal_iteratorINSC_10device_ptrIKxEEEESI_EEEEESK_NSA_INS5_IJNSE_INSF_IxEEEESM_EEEEEPS7_SP_SP_NSC_11hip_rocprim7__merge17predicate_wrapperIxxNSC_7greaterIxEEEEEE10hipError_tPvRmT0_T1_T2_T3_T4_T5_mmT6_P12ihipStream_tbEUlT_E0_NS1_11comp_targetILNS1_3genE5ELNS1_11target_archE942ELNS1_3gpuE9ELNS1_3repE0EEENS1_30default_config_static_selectorELNS0_4arch9wavefront6targetE0EEEvS10_,comdat
.Lfunc_end417:
	.size	_ZN7rocprim17ROCPRIM_400000_NS6detail17trampoline_kernelINS0_14default_configENS1_21merge_config_selectorINS0_5tupleIJxxEEENS0_10empty_typeEEEZNS1_10merge_implIS3_NS0_12zip_iteratorINS5_IJN6thrust23THRUST_200600_302600_NS6detail15normal_iteratorINSC_10device_ptrIKxEEEESI_EEEEESK_NSA_INS5_IJNSE_INSF_IxEEEESM_EEEEEPS7_SP_SP_NSC_11hip_rocprim7__merge17predicate_wrapperIxxNSC_7greaterIxEEEEEE10hipError_tPvRmT0_T1_T2_T3_T4_T5_mmT6_P12ihipStream_tbEUlT_E0_NS1_11comp_targetILNS1_3genE5ELNS1_11target_archE942ELNS1_3gpuE9ELNS1_3repE0EEENS1_30default_config_static_selectorELNS0_4arch9wavefront6targetE0EEEvS10_, .Lfunc_end417-_ZN7rocprim17ROCPRIM_400000_NS6detail17trampoline_kernelINS0_14default_configENS1_21merge_config_selectorINS0_5tupleIJxxEEENS0_10empty_typeEEEZNS1_10merge_implIS3_NS0_12zip_iteratorINS5_IJN6thrust23THRUST_200600_302600_NS6detail15normal_iteratorINSC_10device_ptrIKxEEEESI_EEEEESK_NSA_INS5_IJNSE_INSF_IxEEEESM_EEEEEPS7_SP_SP_NSC_11hip_rocprim7__merge17predicate_wrapperIxxNSC_7greaterIxEEEEEE10hipError_tPvRmT0_T1_T2_T3_T4_T5_mmT6_P12ihipStream_tbEUlT_E0_NS1_11comp_targetILNS1_3genE5ELNS1_11target_archE942ELNS1_3gpuE9ELNS1_3repE0EEENS1_30default_config_static_selectorELNS0_4arch9wavefront6targetE0EEEvS10_
                                        ; -- End function
	.set _ZN7rocprim17ROCPRIM_400000_NS6detail17trampoline_kernelINS0_14default_configENS1_21merge_config_selectorINS0_5tupleIJxxEEENS0_10empty_typeEEEZNS1_10merge_implIS3_NS0_12zip_iteratorINS5_IJN6thrust23THRUST_200600_302600_NS6detail15normal_iteratorINSC_10device_ptrIKxEEEESI_EEEEESK_NSA_INS5_IJNSE_INSF_IxEEEESM_EEEEEPS7_SP_SP_NSC_11hip_rocprim7__merge17predicate_wrapperIxxNSC_7greaterIxEEEEEE10hipError_tPvRmT0_T1_T2_T3_T4_T5_mmT6_P12ihipStream_tbEUlT_E0_NS1_11comp_targetILNS1_3genE5ELNS1_11target_archE942ELNS1_3gpuE9ELNS1_3repE0EEENS1_30default_config_static_selectorELNS0_4arch9wavefront6targetE0EEEvS10_.num_vgpr, 0
	.set _ZN7rocprim17ROCPRIM_400000_NS6detail17trampoline_kernelINS0_14default_configENS1_21merge_config_selectorINS0_5tupleIJxxEEENS0_10empty_typeEEEZNS1_10merge_implIS3_NS0_12zip_iteratorINS5_IJN6thrust23THRUST_200600_302600_NS6detail15normal_iteratorINSC_10device_ptrIKxEEEESI_EEEEESK_NSA_INS5_IJNSE_INSF_IxEEEESM_EEEEEPS7_SP_SP_NSC_11hip_rocprim7__merge17predicate_wrapperIxxNSC_7greaterIxEEEEEE10hipError_tPvRmT0_T1_T2_T3_T4_T5_mmT6_P12ihipStream_tbEUlT_E0_NS1_11comp_targetILNS1_3genE5ELNS1_11target_archE942ELNS1_3gpuE9ELNS1_3repE0EEENS1_30default_config_static_selectorELNS0_4arch9wavefront6targetE0EEEvS10_.num_agpr, 0
	.set _ZN7rocprim17ROCPRIM_400000_NS6detail17trampoline_kernelINS0_14default_configENS1_21merge_config_selectorINS0_5tupleIJxxEEENS0_10empty_typeEEEZNS1_10merge_implIS3_NS0_12zip_iteratorINS5_IJN6thrust23THRUST_200600_302600_NS6detail15normal_iteratorINSC_10device_ptrIKxEEEESI_EEEEESK_NSA_INS5_IJNSE_INSF_IxEEEESM_EEEEEPS7_SP_SP_NSC_11hip_rocprim7__merge17predicate_wrapperIxxNSC_7greaterIxEEEEEE10hipError_tPvRmT0_T1_T2_T3_T4_T5_mmT6_P12ihipStream_tbEUlT_E0_NS1_11comp_targetILNS1_3genE5ELNS1_11target_archE942ELNS1_3gpuE9ELNS1_3repE0EEENS1_30default_config_static_selectorELNS0_4arch9wavefront6targetE0EEEvS10_.numbered_sgpr, 0
	.set _ZN7rocprim17ROCPRIM_400000_NS6detail17trampoline_kernelINS0_14default_configENS1_21merge_config_selectorINS0_5tupleIJxxEEENS0_10empty_typeEEEZNS1_10merge_implIS3_NS0_12zip_iteratorINS5_IJN6thrust23THRUST_200600_302600_NS6detail15normal_iteratorINSC_10device_ptrIKxEEEESI_EEEEESK_NSA_INS5_IJNSE_INSF_IxEEEESM_EEEEEPS7_SP_SP_NSC_11hip_rocprim7__merge17predicate_wrapperIxxNSC_7greaterIxEEEEEE10hipError_tPvRmT0_T1_T2_T3_T4_T5_mmT6_P12ihipStream_tbEUlT_E0_NS1_11comp_targetILNS1_3genE5ELNS1_11target_archE942ELNS1_3gpuE9ELNS1_3repE0EEENS1_30default_config_static_selectorELNS0_4arch9wavefront6targetE0EEEvS10_.num_named_barrier, 0
	.set _ZN7rocprim17ROCPRIM_400000_NS6detail17trampoline_kernelINS0_14default_configENS1_21merge_config_selectorINS0_5tupleIJxxEEENS0_10empty_typeEEEZNS1_10merge_implIS3_NS0_12zip_iteratorINS5_IJN6thrust23THRUST_200600_302600_NS6detail15normal_iteratorINSC_10device_ptrIKxEEEESI_EEEEESK_NSA_INS5_IJNSE_INSF_IxEEEESM_EEEEEPS7_SP_SP_NSC_11hip_rocprim7__merge17predicate_wrapperIxxNSC_7greaterIxEEEEEE10hipError_tPvRmT0_T1_T2_T3_T4_T5_mmT6_P12ihipStream_tbEUlT_E0_NS1_11comp_targetILNS1_3genE5ELNS1_11target_archE942ELNS1_3gpuE9ELNS1_3repE0EEENS1_30default_config_static_selectorELNS0_4arch9wavefront6targetE0EEEvS10_.private_seg_size, 0
	.set _ZN7rocprim17ROCPRIM_400000_NS6detail17trampoline_kernelINS0_14default_configENS1_21merge_config_selectorINS0_5tupleIJxxEEENS0_10empty_typeEEEZNS1_10merge_implIS3_NS0_12zip_iteratorINS5_IJN6thrust23THRUST_200600_302600_NS6detail15normal_iteratorINSC_10device_ptrIKxEEEESI_EEEEESK_NSA_INS5_IJNSE_INSF_IxEEEESM_EEEEEPS7_SP_SP_NSC_11hip_rocprim7__merge17predicate_wrapperIxxNSC_7greaterIxEEEEEE10hipError_tPvRmT0_T1_T2_T3_T4_T5_mmT6_P12ihipStream_tbEUlT_E0_NS1_11comp_targetILNS1_3genE5ELNS1_11target_archE942ELNS1_3gpuE9ELNS1_3repE0EEENS1_30default_config_static_selectorELNS0_4arch9wavefront6targetE0EEEvS10_.uses_vcc, 0
	.set _ZN7rocprim17ROCPRIM_400000_NS6detail17trampoline_kernelINS0_14default_configENS1_21merge_config_selectorINS0_5tupleIJxxEEENS0_10empty_typeEEEZNS1_10merge_implIS3_NS0_12zip_iteratorINS5_IJN6thrust23THRUST_200600_302600_NS6detail15normal_iteratorINSC_10device_ptrIKxEEEESI_EEEEESK_NSA_INS5_IJNSE_INSF_IxEEEESM_EEEEEPS7_SP_SP_NSC_11hip_rocprim7__merge17predicate_wrapperIxxNSC_7greaterIxEEEEEE10hipError_tPvRmT0_T1_T2_T3_T4_T5_mmT6_P12ihipStream_tbEUlT_E0_NS1_11comp_targetILNS1_3genE5ELNS1_11target_archE942ELNS1_3gpuE9ELNS1_3repE0EEENS1_30default_config_static_selectorELNS0_4arch9wavefront6targetE0EEEvS10_.uses_flat_scratch, 0
	.set _ZN7rocprim17ROCPRIM_400000_NS6detail17trampoline_kernelINS0_14default_configENS1_21merge_config_selectorINS0_5tupleIJxxEEENS0_10empty_typeEEEZNS1_10merge_implIS3_NS0_12zip_iteratorINS5_IJN6thrust23THRUST_200600_302600_NS6detail15normal_iteratorINSC_10device_ptrIKxEEEESI_EEEEESK_NSA_INS5_IJNSE_INSF_IxEEEESM_EEEEEPS7_SP_SP_NSC_11hip_rocprim7__merge17predicate_wrapperIxxNSC_7greaterIxEEEEEE10hipError_tPvRmT0_T1_T2_T3_T4_T5_mmT6_P12ihipStream_tbEUlT_E0_NS1_11comp_targetILNS1_3genE5ELNS1_11target_archE942ELNS1_3gpuE9ELNS1_3repE0EEENS1_30default_config_static_selectorELNS0_4arch9wavefront6targetE0EEEvS10_.has_dyn_sized_stack, 0
	.set _ZN7rocprim17ROCPRIM_400000_NS6detail17trampoline_kernelINS0_14default_configENS1_21merge_config_selectorINS0_5tupleIJxxEEENS0_10empty_typeEEEZNS1_10merge_implIS3_NS0_12zip_iteratorINS5_IJN6thrust23THRUST_200600_302600_NS6detail15normal_iteratorINSC_10device_ptrIKxEEEESI_EEEEESK_NSA_INS5_IJNSE_INSF_IxEEEESM_EEEEEPS7_SP_SP_NSC_11hip_rocprim7__merge17predicate_wrapperIxxNSC_7greaterIxEEEEEE10hipError_tPvRmT0_T1_T2_T3_T4_T5_mmT6_P12ihipStream_tbEUlT_E0_NS1_11comp_targetILNS1_3genE5ELNS1_11target_archE942ELNS1_3gpuE9ELNS1_3repE0EEENS1_30default_config_static_selectorELNS0_4arch9wavefront6targetE0EEEvS10_.has_recursion, 0
	.set _ZN7rocprim17ROCPRIM_400000_NS6detail17trampoline_kernelINS0_14default_configENS1_21merge_config_selectorINS0_5tupleIJxxEEENS0_10empty_typeEEEZNS1_10merge_implIS3_NS0_12zip_iteratorINS5_IJN6thrust23THRUST_200600_302600_NS6detail15normal_iteratorINSC_10device_ptrIKxEEEESI_EEEEESK_NSA_INS5_IJNSE_INSF_IxEEEESM_EEEEEPS7_SP_SP_NSC_11hip_rocprim7__merge17predicate_wrapperIxxNSC_7greaterIxEEEEEE10hipError_tPvRmT0_T1_T2_T3_T4_T5_mmT6_P12ihipStream_tbEUlT_E0_NS1_11comp_targetILNS1_3genE5ELNS1_11target_archE942ELNS1_3gpuE9ELNS1_3repE0EEENS1_30default_config_static_selectorELNS0_4arch9wavefront6targetE0EEEvS10_.has_indirect_call, 0
	.section	.AMDGPU.csdata,"",@progbits
; Kernel info:
; codeLenInByte = 0
; TotalNumSgprs: 0
; NumVgprs: 0
; ScratchSize: 0
; MemoryBound: 0
; FloatMode: 240
; IeeeMode: 1
; LDSByteSize: 0 bytes/workgroup (compile time only)
; SGPRBlocks: 0
; VGPRBlocks: 0
; NumSGPRsForWavesPerEU: 1
; NumVGPRsForWavesPerEU: 1
; Occupancy: 16
; WaveLimiterHint : 0
; COMPUTE_PGM_RSRC2:SCRATCH_EN: 0
; COMPUTE_PGM_RSRC2:USER_SGPR: 6
; COMPUTE_PGM_RSRC2:TRAP_HANDLER: 0
; COMPUTE_PGM_RSRC2:TGID_X_EN: 1
; COMPUTE_PGM_RSRC2:TGID_Y_EN: 0
; COMPUTE_PGM_RSRC2:TGID_Z_EN: 0
; COMPUTE_PGM_RSRC2:TIDIG_COMP_CNT: 0
	.section	.text._ZN7rocprim17ROCPRIM_400000_NS6detail17trampoline_kernelINS0_14default_configENS1_21merge_config_selectorINS0_5tupleIJxxEEENS0_10empty_typeEEEZNS1_10merge_implIS3_NS0_12zip_iteratorINS5_IJN6thrust23THRUST_200600_302600_NS6detail15normal_iteratorINSC_10device_ptrIKxEEEESI_EEEEESK_NSA_INS5_IJNSE_INSF_IxEEEESM_EEEEEPS7_SP_SP_NSC_11hip_rocprim7__merge17predicate_wrapperIxxNSC_7greaterIxEEEEEE10hipError_tPvRmT0_T1_T2_T3_T4_T5_mmT6_P12ihipStream_tbEUlT_E0_NS1_11comp_targetILNS1_3genE4ELNS1_11target_archE910ELNS1_3gpuE8ELNS1_3repE0EEENS1_30default_config_static_selectorELNS0_4arch9wavefront6targetE0EEEvS10_,"axG",@progbits,_ZN7rocprim17ROCPRIM_400000_NS6detail17trampoline_kernelINS0_14default_configENS1_21merge_config_selectorINS0_5tupleIJxxEEENS0_10empty_typeEEEZNS1_10merge_implIS3_NS0_12zip_iteratorINS5_IJN6thrust23THRUST_200600_302600_NS6detail15normal_iteratorINSC_10device_ptrIKxEEEESI_EEEEESK_NSA_INS5_IJNSE_INSF_IxEEEESM_EEEEEPS7_SP_SP_NSC_11hip_rocprim7__merge17predicate_wrapperIxxNSC_7greaterIxEEEEEE10hipError_tPvRmT0_T1_T2_T3_T4_T5_mmT6_P12ihipStream_tbEUlT_E0_NS1_11comp_targetILNS1_3genE4ELNS1_11target_archE910ELNS1_3gpuE8ELNS1_3repE0EEENS1_30default_config_static_selectorELNS0_4arch9wavefront6targetE0EEEvS10_,comdat
	.protected	_ZN7rocprim17ROCPRIM_400000_NS6detail17trampoline_kernelINS0_14default_configENS1_21merge_config_selectorINS0_5tupleIJxxEEENS0_10empty_typeEEEZNS1_10merge_implIS3_NS0_12zip_iteratorINS5_IJN6thrust23THRUST_200600_302600_NS6detail15normal_iteratorINSC_10device_ptrIKxEEEESI_EEEEESK_NSA_INS5_IJNSE_INSF_IxEEEESM_EEEEEPS7_SP_SP_NSC_11hip_rocprim7__merge17predicate_wrapperIxxNSC_7greaterIxEEEEEE10hipError_tPvRmT0_T1_T2_T3_T4_T5_mmT6_P12ihipStream_tbEUlT_E0_NS1_11comp_targetILNS1_3genE4ELNS1_11target_archE910ELNS1_3gpuE8ELNS1_3repE0EEENS1_30default_config_static_selectorELNS0_4arch9wavefront6targetE0EEEvS10_ ; -- Begin function _ZN7rocprim17ROCPRIM_400000_NS6detail17trampoline_kernelINS0_14default_configENS1_21merge_config_selectorINS0_5tupleIJxxEEENS0_10empty_typeEEEZNS1_10merge_implIS3_NS0_12zip_iteratorINS5_IJN6thrust23THRUST_200600_302600_NS6detail15normal_iteratorINSC_10device_ptrIKxEEEESI_EEEEESK_NSA_INS5_IJNSE_INSF_IxEEEESM_EEEEEPS7_SP_SP_NSC_11hip_rocprim7__merge17predicate_wrapperIxxNSC_7greaterIxEEEEEE10hipError_tPvRmT0_T1_T2_T3_T4_T5_mmT6_P12ihipStream_tbEUlT_E0_NS1_11comp_targetILNS1_3genE4ELNS1_11target_archE910ELNS1_3gpuE8ELNS1_3repE0EEENS1_30default_config_static_selectorELNS0_4arch9wavefront6targetE0EEEvS10_
	.globl	_ZN7rocprim17ROCPRIM_400000_NS6detail17trampoline_kernelINS0_14default_configENS1_21merge_config_selectorINS0_5tupleIJxxEEENS0_10empty_typeEEEZNS1_10merge_implIS3_NS0_12zip_iteratorINS5_IJN6thrust23THRUST_200600_302600_NS6detail15normal_iteratorINSC_10device_ptrIKxEEEESI_EEEEESK_NSA_INS5_IJNSE_INSF_IxEEEESM_EEEEEPS7_SP_SP_NSC_11hip_rocprim7__merge17predicate_wrapperIxxNSC_7greaterIxEEEEEE10hipError_tPvRmT0_T1_T2_T3_T4_T5_mmT6_P12ihipStream_tbEUlT_E0_NS1_11comp_targetILNS1_3genE4ELNS1_11target_archE910ELNS1_3gpuE8ELNS1_3repE0EEENS1_30default_config_static_selectorELNS0_4arch9wavefront6targetE0EEEvS10_
	.p2align	8
	.type	_ZN7rocprim17ROCPRIM_400000_NS6detail17trampoline_kernelINS0_14default_configENS1_21merge_config_selectorINS0_5tupleIJxxEEENS0_10empty_typeEEEZNS1_10merge_implIS3_NS0_12zip_iteratorINS5_IJN6thrust23THRUST_200600_302600_NS6detail15normal_iteratorINSC_10device_ptrIKxEEEESI_EEEEESK_NSA_INS5_IJNSE_INSF_IxEEEESM_EEEEEPS7_SP_SP_NSC_11hip_rocprim7__merge17predicate_wrapperIxxNSC_7greaterIxEEEEEE10hipError_tPvRmT0_T1_T2_T3_T4_T5_mmT6_P12ihipStream_tbEUlT_E0_NS1_11comp_targetILNS1_3genE4ELNS1_11target_archE910ELNS1_3gpuE8ELNS1_3repE0EEENS1_30default_config_static_selectorELNS0_4arch9wavefront6targetE0EEEvS10_,@function
_ZN7rocprim17ROCPRIM_400000_NS6detail17trampoline_kernelINS0_14default_configENS1_21merge_config_selectorINS0_5tupleIJxxEEENS0_10empty_typeEEEZNS1_10merge_implIS3_NS0_12zip_iteratorINS5_IJN6thrust23THRUST_200600_302600_NS6detail15normal_iteratorINSC_10device_ptrIKxEEEESI_EEEEESK_NSA_INS5_IJNSE_INSF_IxEEEESM_EEEEEPS7_SP_SP_NSC_11hip_rocprim7__merge17predicate_wrapperIxxNSC_7greaterIxEEEEEE10hipError_tPvRmT0_T1_T2_T3_T4_T5_mmT6_P12ihipStream_tbEUlT_E0_NS1_11comp_targetILNS1_3genE4ELNS1_11target_archE910ELNS1_3gpuE8ELNS1_3repE0EEENS1_30default_config_static_selectorELNS0_4arch9wavefront6targetE0EEEvS10_: ; @_ZN7rocprim17ROCPRIM_400000_NS6detail17trampoline_kernelINS0_14default_configENS1_21merge_config_selectorINS0_5tupleIJxxEEENS0_10empty_typeEEEZNS1_10merge_implIS3_NS0_12zip_iteratorINS5_IJN6thrust23THRUST_200600_302600_NS6detail15normal_iteratorINSC_10device_ptrIKxEEEESI_EEEEESK_NSA_INS5_IJNSE_INSF_IxEEEESM_EEEEEPS7_SP_SP_NSC_11hip_rocprim7__merge17predicate_wrapperIxxNSC_7greaterIxEEEEEE10hipError_tPvRmT0_T1_T2_T3_T4_T5_mmT6_P12ihipStream_tbEUlT_E0_NS1_11comp_targetILNS1_3genE4ELNS1_11target_archE910ELNS1_3gpuE8ELNS1_3repE0EEENS1_30default_config_static_selectorELNS0_4arch9wavefront6targetE0EEEvS10_
; %bb.0:
	.section	.rodata,"a",@progbits
	.p2align	6, 0x0
	.amdhsa_kernel _ZN7rocprim17ROCPRIM_400000_NS6detail17trampoline_kernelINS0_14default_configENS1_21merge_config_selectorINS0_5tupleIJxxEEENS0_10empty_typeEEEZNS1_10merge_implIS3_NS0_12zip_iteratorINS5_IJN6thrust23THRUST_200600_302600_NS6detail15normal_iteratorINSC_10device_ptrIKxEEEESI_EEEEESK_NSA_INS5_IJNSE_INSF_IxEEEESM_EEEEEPS7_SP_SP_NSC_11hip_rocprim7__merge17predicate_wrapperIxxNSC_7greaterIxEEEEEE10hipError_tPvRmT0_T1_T2_T3_T4_T5_mmT6_P12ihipStream_tbEUlT_E0_NS1_11comp_targetILNS1_3genE4ELNS1_11target_archE910ELNS1_3gpuE8ELNS1_3repE0EEENS1_30default_config_static_selectorELNS0_4arch9wavefront6targetE0EEEvS10_
		.amdhsa_group_segment_fixed_size 0
		.amdhsa_private_segment_fixed_size 0
		.amdhsa_kernarg_size 112
		.amdhsa_user_sgpr_count 6
		.amdhsa_user_sgpr_private_segment_buffer 1
		.amdhsa_user_sgpr_dispatch_ptr 0
		.amdhsa_user_sgpr_queue_ptr 0
		.amdhsa_user_sgpr_kernarg_segment_ptr 1
		.amdhsa_user_sgpr_dispatch_id 0
		.amdhsa_user_sgpr_flat_scratch_init 0
		.amdhsa_user_sgpr_private_segment_size 0
		.amdhsa_wavefront_size32 1
		.amdhsa_uses_dynamic_stack 0
		.amdhsa_system_sgpr_private_segment_wavefront_offset 0
		.amdhsa_system_sgpr_workgroup_id_x 1
		.amdhsa_system_sgpr_workgroup_id_y 0
		.amdhsa_system_sgpr_workgroup_id_z 0
		.amdhsa_system_sgpr_workgroup_info 0
		.amdhsa_system_vgpr_workitem_id 0
		.amdhsa_next_free_vgpr 1
		.amdhsa_next_free_sgpr 1
		.amdhsa_reserve_vcc 0
		.amdhsa_reserve_flat_scratch 0
		.amdhsa_float_round_mode_32 0
		.amdhsa_float_round_mode_16_64 0
		.amdhsa_float_denorm_mode_32 3
		.amdhsa_float_denorm_mode_16_64 3
		.amdhsa_dx10_clamp 1
		.amdhsa_ieee_mode 1
		.amdhsa_fp16_overflow 0
		.amdhsa_workgroup_processor_mode 1
		.amdhsa_memory_ordered 1
		.amdhsa_forward_progress 1
		.amdhsa_shared_vgpr_count 0
		.amdhsa_exception_fp_ieee_invalid_op 0
		.amdhsa_exception_fp_denorm_src 0
		.amdhsa_exception_fp_ieee_div_zero 0
		.amdhsa_exception_fp_ieee_overflow 0
		.amdhsa_exception_fp_ieee_underflow 0
		.amdhsa_exception_fp_ieee_inexact 0
		.amdhsa_exception_int_div_zero 0
	.end_amdhsa_kernel
	.section	.text._ZN7rocprim17ROCPRIM_400000_NS6detail17trampoline_kernelINS0_14default_configENS1_21merge_config_selectorINS0_5tupleIJxxEEENS0_10empty_typeEEEZNS1_10merge_implIS3_NS0_12zip_iteratorINS5_IJN6thrust23THRUST_200600_302600_NS6detail15normal_iteratorINSC_10device_ptrIKxEEEESI_EEEEESK_NSA_INS5_IJNSE_INSF_IxEEEESM_EEEEEPS7_SP_SP_NSC_11hip_rocprim7__merge17predicate_wrapperIxxNSC_7greaterIxEEEEEE10hipError_tPvRmT0_T1_T2_T3_T4_T5_mmT6_P12ihipStream_tbEUlT_E0_NS1_11comp_targetILNS1_3genE4ELNS1_11target_archE910ELNS1_3gpuE8ELNS1_3repE0EEENS1_30default_config_static_selectorELNS0_4arch9wavefront6targetE0EEEvS10_,"axG",@progbits,_ZN7rocprim17ROCPRIM_400000_NS6detail17trampoline_kernelINS0_14default_configENS1_21merge_config_selectorINS0_5tupleIJxxEEENS0_10empty_typeEEEZNS1_10merge_implIS3_NS0_12zip_iteratorINS5_IJN6thrust23THRUST_200600_302600_NS6detail15normal_iteratorINSC_10device_ptrIKxEEEESI_EEEEESK_NSA_INS5_IJNSE_INSF_IxEEEESM_EEEEEPS7_SP_SP_NSC_11hip_rocprim7__merge17predicate_wrapperIxxNSC_7greaterIxEEEEEE10hipError_tPvRmT0_T1_T2_T3_T4_T5_mmT6_P12ihipStream_tbEUlT_E0_NS1_11comp_targetILNS1_3genE4ELNS1_11target_archE910ELNS1_3gpuE8ELNS1_3repE0EEENS1_30default_config_static_selectorELNS0_4arch9wavefront6targetE0EEEvS10_,comdat
.Lfunc_end418:
	.size	_ZN7rocprim17ROCPRIM_400000_NS6detail17trampoline_kernelINS0_14default_configENS1_21merge_config_selectorINS0_5tupleIJxxEEENS0_10empty_typeEEEZNS1_10merge_implIS3_NS0_12zip_iteratorINS5_IJN6thrust23THRUST_200600_302600_NS6detail15normal_iteratorINSC_10device_ptrIKxEEEESI_EEEEESK_NSA_INS5_IJNSE_INSF_IxEEEESM_EEEEEPS7_SP_SP_NSC_11hip_rocprim7__merge17predicate_wrapperIxxNSC_7greaterIxEEEEEE10hipError_tPvRmT0_T1_T2_T3_T4_T5_mmT6_P12ihipStream_tbEUlT_E0_NS1_11comp_targetILNS1_3genE4ELNS1_11target_archE910ELNS1_3gpuE8ELNS1_3repE0EEENS1_30default_config_static_selectorELNS0_4arch9wavefront6targetE0EEEvS10_, .Lfunc_end418-_ZN7rocprim17ROCPRIM_400000_NS6detail17trampoline_kernelINS0_14default_configENS1_21merge_config_selectorINS0_5tupleIJxxEEENS0_10empty_typeEEEZNS1_10merge_implIS3_NS0_12zip_iteratorINS5_IJN6thrust23THRUST_200600_302600_NS6detail15normal_iteratorINSC_10device_ptrIKxEEEESI_EEEEESK_NSA_INS5_IJNSE_INSF_IxEEEESM_EEEEEPS7_SP_SP_NSC_11hip_rocprim7__merge17predicate_wrapperIxxNSC_7greaterIxEEEEEE10hipError_tPvRmT0_T1_T2_T3_T4_T5_mmT6_P12ihipStream_tbEUlT_E0_NS1_11comp_targetILNS1_3genE4ELNS1_11target_archE910ELNS1_3gpuE8ELNS1_3repE0EEENS1_30default_config_static_selectorELNS0_4arch9wavefront6targetE0EEEvS10_
                                        ; -- End function
	.set _ZN7rocprim17ROCPRIM_400000_NS6detail17trampoline_kernelINS0_14default_configENS1_21merge_config_selectorINS0_5tupleIJxxEEENS0_10empty_typeEEEZNS1_10merge_implIS3_NS0_12zip_iteratorINS5_IJN6thrust23THRUST_200600_302600_NS6detail15normal_iteratorINSC_10device_ptrIKxEEEESI_EEEEESK_NSA_INS5_IJNSE_INSF_IxEEEESM_EEEEEPS7_SP_SP_NSC_11hip_rocprim7__merge17predicate_wrapperIxxNSC_7greaterIxEEEEEE10hipError_tPvRmT0_T1_T2_T3_T4_T5_mmT6_P12ihipStream_tbEUlT_E0_NS1_11comp_targetILNS1_3genE4ELNS1_11target_archE910ELNS1_3gpuE8ELNS1_3repE0EEENS1_30default_config_static_selectorELNS0_4arch9wavefront6targetE0EEEvS10_.num_vgpr, 0
	.set _ZN7rocprim17ROCPRIM_400000_NS6detail17trampoline_kernelINS0_14default_configENS1_21merge_config_selectorINS0_5tupleIJxxEEENS0_10empty_typeEEEZNS1_10merge_implIS3_NS0_12zip_iteratorINS5_IJN6thrust23THRUST_200600_302600_NS6detail15normal_iteratorINSC_10device_ptrIKxEEEESI_EEEEESK_NSA_INS5_IJNSE_INSF_IxEEEESM_EEEEEPS7_SP_SP_NSC_11hip_rocprim7__merge17predicate_wrapperIxxNSC_7greaterIxEEEEEE10hipError_tPvRmT0_T1_T2_T3_T4_T5_mmT6_P12ihipStream_tbEUlT_E0_NS1_11comp_targetILNS1_3genE4ELNS1_11target_archE910ELNS1_3gpuE8ELNS1_3repE0EEENS1_30default_config_static_selectorELNS0_4arch9wavefront6targetE0EEEvS10_.num_agpr, 0
	.set _ZN7rocprim17ROCPRIM_400000_NS6detail17trampoline_kernelINS0_14default_configENS1_21merge_config_selectorINS0_5tupleIJxxEEENS0_10empty_typeEEEZNS1_10merge_implIS3_NS0_12zip_iteratorINS5_IJN6thrust23THRUST_200600_302600_NS6detail15normal_iteratorINSC_10device_ptrIKxEEEESI_EEEEESK_NSA_INS5_IJNSE_INSF_IxEEEESM_EEEEEPS7_SP_SP_NSC_11hip_rocprim7__merge17predicate_wrapperIxxNSC_7greaterIxEEEEEE10hipError_tPvRmT0_T1_T2_T3_T4_T5_mmT6_P12ihipStream_tbEUlT_E0_NS1_11comp_targetILNS1_3genE4ELNS1_11target_archE910ELNS1_3gpuE8ELNS1_3repE0EEENS1_30default_config_static_selectorELNS0_4arch9wavefront6targetE0EEEvS10_.numbered_sgpr, 0
	.set _ZN7rocprim17ROCPRIM_400000_NS6detail17trampoline_kernelINS0_14default_configENS1_21merge_config_selectorINS0_5tupleIJxxEEENS0_10empty_typeEEEZNS1_10merge_implIS3_NS0_12zip_iteratorINS5_IJN6thrust23THRUST_200600_302600_NS6detail15normal_iteratorINSC_10device_ptrIKxEEEESI_EEEEESK_NSA_INS5_IJNSE_INSF_IxEEEESM_EEEEEPS7_SP_SP_NSC_11hip_rocprim7__merge17predicate_wrapperIxxNSC_7greaterIxEEEEEE10hipError_tPvRmT0_T1_T2_T3_T4_T5_mmT6_P12ihipStream_tbEUlT_E0_NS1_11comp_targetILNS1_3genE4ELNS1_11target_archE910ELNS1_3gpuE8ELNS1_3repE0EEENS1_30default_config_static_selectorELNS0_4arch9wavefront6targetE0EEEvS10_.num_named_barrier, 0
	.set _ZN7rocprim17ROCPRIM_400000_NS6detail17trampoline_kernelINS0_14default_configENS1_21merge_config_selectorINS0_5tupleIJxxEEENS0_10empty_typeEEEZNS1_10merge_implIS3_NS0_12zip_iteratorINS5_IJN6thrust23THRUST_200600_302600_NS6detail15normal_iteratorINSC_10device_ptrIKxEEEESI_EEEEESK_NSA_INS5_IJNSE_INSF_IxEEEESM_EEEEEPS7_SP_SP_NSC_11hip_rocprim7__merge17predicate_wrapperIxxNSC_7greaterIxEEEEEE10hipError_tPvRmT0_T1_T2_T3_T4_T5_mmT6_P12ihipStream_tbEUlT_E0_NS1_11comp_targetILNS1_3genE4ELNS1_11target_archE910ELNS1_3gpuE8ELNS1_3repE0EEENS1_30default_config_static_selectorELNS0_4arch9wavefront6targetE0EEEvS10_.private_seg_size, 0
	.set _ZN7rocprim17ROCPRIM_400000_NS6detail17trampoline_kernelINS0_14default_configENS1_21merge_config_selectorINS0_5tupleIJxxEEENS0_10empty_typeEEEZNS1_10merge_implIS3_NS0_12zip_iteratorINS5_IJN6thrust23THRUST_200600_302600_NS6detail15normal_iteratorINSC_10device_ptrIKxEEEESI_EEEEESK_NSA_INS5_IJNSE_INSF_IxEEEESM_EEEEEPS7_SP_SP_NSC_11hip_rocprim7__merge17predicate_wrapperIxxNSC_7greaterIxEEEEEE10hipError_tPvRmT0_T1_T2_T3_T4_T5_mmT6_P12ihipStream_tbEUlT_E0_NS1_11comp_targetILNS1_3genE4ELNS1_11target_archE910ELNS1_3gpuE8ELNS1_3repE0EEENS1_30default_config_static_selectorELNS0_4arch9wavefront6targetE0EEEvS10_.uses_vcc, 0
	.set _ZN7rocprim17ROCPRIM_400000_NS6detail17trampoline_kernelINS0_14default_configENS1_21merge_config_selectorINS0_5tupleIJxxEEENS0_10empty_typeEEEZNS1_10merge_implIS3_NS0_12zip_iteratorINS5_IJN6thrust23THRUST_200600_302600_NS6detail15normal_iteratorINSC_10device_ptrIKxEEEESI_EEEEESK_NSA_INS5_IJNSE_INSF_IxEEEESM_EEEEEPS7_SP_SP_NSC_11hip_rocprim7__merge17predicate_wrapperIxxNSC_7greaterIxEEEEEE10hipError_tPvRmT0_T1_T2_T3_T4_T5_mmT6_P12ihipStream_tbEUlT_E0_NS1_11comp_targetILNS1_3genE4ELNS1_11target_archE910ELNS1_3gpuE8ELNS1_3repE0EEENS1_30default_config_static_selectorELNS0_4arch9wavefront6targetE0EEEvS10_.uses_flat_scratch, 0
	.set _ZN7rocprim17ROCPRIM_400000_NS6detail17trampoline_kernelINS0_14default_configENS1_21merge_config_selectorINS0_5tupleIJxxEEENS0_10empty_typeEEEZNS1_10merge_implIS3_NS0_12zip_iteratorINS5_IJN6thrust23THRUST_200600_302600_NS6detail15normal_iteratorINSC_10device_ptrIKxEEEESI_EEEEESK_NSA_INS5_IJNSE_INSF_IxEEEESM_EEEEEPS7_SP_SP_NSC_11hip_rocprim7__merge17predicate_wrapperIxxNSC_7greaterIxEEEEEE10hipError_tPvRmT0_T1_T2_T3_T4_T5_mmT6_P12ihipStream_tbEUlT_E0_NS1_11comp_targetILNS1_3genE4ELNS1_11target_archE910ELNS1_3gpuE8ELNS1_3repE0EEENS1_30default_config_static_selectorELNS0_4arch9wavefront6targetE0EEEvS10_.has_dyn_sized_stack, 0
	.set _ZN7rocprim17ROCPRIM_400000_NS6detail17trampoline_kernelINS0_14default_configENS1_21merge_config_selectorINS0_5tupleIJxxEEENS0_10empty_typeEEEZNS1_10merge_implIS3_NS0_12zip_iteratorINS5_IJN6thrust23THRUST_200600_302600_NS6detail15normal_iteratorINSC_10device_ptrIKxEEEESI_EEEEESK_NSA_INS5_IJNSE_INSF_IxEEEESM_EEEEEPS7_SP_SP_NSC_11hip_rocprim7__merge17predicate_wrapperIxxNSC_7greaterIxEEEEEE10hipError_tPvRmT0_T1_T2_T3_T4_T5_mmT6_P12ihipStream_tbEUlT_E0_NS1_11comp_targetILNS1_3genE4ELNS1_11target_archE910ELNS1_3gpuE8ELNS1_3repE0EEENS1_30default_config_static_selectorELNS0_4arch9wavefront6targetE0EEEvS10_.has_recursion, 0
	.set _ZN7rocprim17ROCPRIM_400000_NS6detail17trampoline_kernelINS0_14default_configENS1_21merge_config_selectorINS0_5tupleIJxxEEENS0_10empty_typeEEEZNS1_10merge_implIS3_NS0_12zip_iteratorINS5_IJN6thrust23THRUST_200600_302600_NS6detail15normal_iteratorINSC_10device_ptrIKxEEEESI_EEEEESK_NSA_INS5_IJNSE_INSF_IxEEEESM_EEEEEPS7_SP_SP_NSC_11hip_rocprim7__merge17predicate_wrapperIxxNSC_7greaterIxEEEEEE10hipError_tPvRmT0_T1_T2_T3_T4_T5_mmT6_P12ihipStream_tbEUlT_E0_NS1_11comp_targetILNS1_3genE4ELNS1_11target_archE910ELNS1_3gpuE8ELNS1_3repE0EEENS1_30default_config_static_selectorELNS0_4arch9wavefront6targetE0EEEvS10_.has_indirect_call, 0
	.section	.AMDGPU.csdata,"",@progbits
; Kernel info:
; codeLenInByte = 0
; TotalNumSgprs: 0
; NumVgprs: 0
; ScratchSize: 0
; MemoryBound: 0
; FloatMode: 240
; IeeeMode: 1
; LDSByteSize: 0 bytes/workgroup (compile time only)
; SGPRBlocks: 0
; VGPRBlocks: 0
; NumSGPRsForWavesPerEU: 1
; NumVGPRsForWavesPerEU: 1
; Occupancy: 16
; WaveLimiterHint : 0
; COMPUTE_PGM_RSRC2:SCRATCH_EN: 0
; COMPUTE_PGM_RSRC2:USER_SGPR: 6
; COMPUTE_PGM_RSRC2:TRAP_HANDLER: 0
; COMPUTE_PGM_RSRC2:TGID_X_EN: 1
; COMPUTE_PGM_RSRC2:TGID_Y_EN: 0
; COMPUTE_PGM_RSRC2:TGID_Z_EN: 0
; COMPUTE_PGM_RSRC2:TIDIG_COMP_CNT: 0
	.section	.text._ZN7rocprim17ROCPRIM_400000_NS6detail17trampoline_kernelINS0_14default_configENS1_21merge_config_selectorINS0_5tupleIJxxEEENS0_10empty_typeEEEZNS1_10merge_implIS3_NS0_12zip_iteratorINS5_IJN6thrust23THRUST_200600_302600_NS6detail15normal_iteratorINSC_10device_ptrIKxEEEESI_EEEEESK_NSA_INS5_IJNSE_INSF_IxEEEESM_EEEEEPS7_SP_SP_NSC_11hip_rocprim7__merge17predicate_wrapperIxxNSC_7greaterIxEEEEEE10hipError_tPvRmT0_T1_T2_T3_T4_T5_mmT6_P12ihipStream_tbEUlT_E0_NS1_11comp_targetILNS1_3genE3ELNS1_11target_archE908ELNS1_3gpuE7ELNS1_3repE0EEENS1_30default_config_static_selectorELNS0_4arch9wavefront6targetE0EEEvS10_,"axG",@progbits,_ZN7rocprim17ROCPRIM_400000_NS6detail17trampoline_kernelINS0_14default_configENS1_21merge_config_selectorINS0_5tupleIJxxEEENS0_10empty_typeEEEZNS1_10merge_implIS3_NS0_12zip_iteratorINS5_IJN6thrust23THRUST_200600_302600_NS6detail15normal_iteratorINSC_10device_ptrIKxEEEESI_EEEEESK_NSA_INS5_IJNSE_INSF_IxEEEESM_EEEEEPS7_SP_SP_NSC_11hip_rocprim7__merge17predicate_wrapperIxxNSC_7greaterIxEEEEEE10hipError_tPvRmT0_T1_T2_T3_T4_T5_mmT6_P12ihipStream_tbEUlT_E0_NS1_11comp_targetILNS1_3genE3ELNS1_11target_archE908ELNS1_3gpuE7ELNS1_3repE0EEENS1_30default_config_static_selectorELNS0_4arch9wavefront6targetE0EEEvS10_,comdat
	.protected	_ZN7rocprim17ROCPRIM_400000_NS6detail17trampoline_kernelINS0_14default_configENS1_21merge_config_selectorINS0_5tupleIJxxEEENS0_10empty_typeEEEZNS1_10merge_implIS3_NS0_12zip_iteratorINS5_IJN6thrust23THRUST_200600_302600_NS6detail15normal_iteratorINSC_10device_ptrIKxEEEESI_EEEEESK_NSA_INS5_IJNSE_INSF_IxEEEESM_EEEEEPS7_SP_SP_NSC_11hip_rocprim7__merge17predicate_wrapperIxxNSC_7greaterIxEEEEEE10hipError_tPvRmT0_T1_T2_T3_T4_T5_mmT6_P12ihipStream_tbEUlT_E0_NS1_11comp_targetILNS1_3genE3ELNS1_11target_archE908ELNS1_3gpuE7ELNS1_3repE0EEENS1_30default_config_static_selectorELNS0_4arch9wavefront6targetE0EEEvS10_ ; -- Begin function _ZN7rocprim17ROCPRIM_400000_NS6detail17trampoline_kernelINS0_14default_configENS1_21merge_config_selectorINS0_5tupleIJxxEEENS0_10empty_typeEEEZNS1_10merge_implIS3_NS0_12zip_iteratorINS5_IJN6thrust23THRUST_200600_302600_NS6detail15normal_iteratorINSC_10device_ptrIKxEEEESI_EEEEESK_NSA_INS5_IJNSE_INSF_IxEEEESM_EEEEEPS7_SP_SP_NSC_11hip_rocprim7__merge17predicate_wrapperIxxNSC_7greaterIxEEEEEE10hipError_tPvRmT0_T1_T2_T3_T4_T5_mmT6_P12ihipStream_tbEUlT_E0_NS1_11comp_targetILNS1_3genE3ELNS1_11target_archE908ELNS1_3gpuE7ELNS1_3repE0EEENS1_30default_config_static_selectorELNS0_4arch9wavefront6targetE0EEEvS10_
	.globl	_ZN7rocprim17ROCPRIM_400000_NS6detail17trampoline_kernelINS0_14default_configENS1_21merge_config_selectorINS0_5tupleIJxxEEENS0_10empty_typeEEEZNS1_10merge_implIS3_NS0_12zip_iteratorINS5_IJN6thrust23THRUST_200600_302600_NS6detail15normal_iteratorINSC_10device_ptrIKxEEEESI_EEEEESK_NSA_INS5_IJNSE_INSF_IxEEEESM_EEEEEPS7_SP_SP_NSC_11hip_rocprim7__merge17predicate_wrapperIxxNSC_7greaterIxEEEEEE10hipError_tPvRmT0_T1_T2_T3_T4_T5_mmT6_P12ihipStream_tbEUlT_E0_NS1_11comp_targetILNS1_3genE3ELNS1_11target_archE908ELNS1_3gpuE7ELNS1_3repE0EEENS1_30default_config_static_selectorELNS0_4arch9wavefront6targetE0EEEvS10_
	.p2align	8
	.type	_ZN7rocprim17ROCPRIM_400000_NS6detail17trampoline_kernelINS0_14default_configENS1_21merge_config_selectorINS0_5tupleIJxxEEENS0_10empty_typeEEEZNS1_10merge_implIS3_NS0_12zip_iteratorINS5_IJN6thrust23THRUST_200600_302600_NS6detail15normal_iteratorINSC_10device_ptrIKxEEEESI_EEEEESK_NSA_INS5_IJNSE_INSF_IxEEEESM_EEEEEPS7_SP_SP_NSC_11hip_rocprim7__merge17predicate_wrapperIxxNSC_7greaterIxEEEEEE10hipError_tPvRmT0_T1_T2_T3_T4_T5_mmT6_P12ihipStream_tbEUlT_E0_NS1_11comp_targetILNS1_3genE3ELNS1_11target_archE908ELNS1_3gpuE7ELNS1_3repE0EEENS1_30default_config_static_selectorELNS0_4arch9wavefront6targetE0EEEvS10_,@function
_ZN7rocprim17ROCPRIM_400000_NS6detail17trampoline_kernelINS0_14default_configENS1_21merge_config_selectorINS0_5tupleIJxxEEENS0_10empty_typeEEEZNS1_10merge_implIS3_NS0_12zip_iteratorINS5_IJN6thrust23THRUST_200600_302600_NS6detail15normal_iteratorINSC_10device_ptrIKxEEEESI_EEEEESK_NSA_INS5_IJNSE_INSF_IxEEEESM_EEEEEPS7_SP_SP_NSC_11hip_rocprim7__merge17predicate_wrapperIxxNSC_7greaterIxEEEEEE10hipError_tPvRmT0_T1_T2_T3_T4_T5_mmT6_P12ihipStream_tbEUlT_E0_NS1_11comp_targetILNS1_3genE3ELNS1_11target_archE908ELNS1_3gpuE7ELNS1_3repE0EEENS1_30default_config_static_selectorELNS0_4arch9wavefront6targetE0EEEvS10_: ; @_ZN7rocprim17ROCPRIM_400000_NS6detail17trampoline_kernelINS0_14default_configENS1_21merge_config_selectorINS0_5tupleIJxxEEENS0_10empty_typeEEEZNS1_10merge_implIS3_NS0_12zip_iteratorINS5_IJN6thrust23THRUST_200600_302600_NS6detail15normal_iteratorINSC_10device_ptrIKxEEEESI_EEEEESK_NSA_INS5_IJNSE_INSF_IxEEEESM_EEEEEPS7_SP_SP_NSC_11hip_rocprim7__merge17predicate_wrapperIxxNSC_7greaterIxEEEEEE10hipError_tPvRmT0_T1_T2_T3_T4_T5_mmT6_P12ihipStream_tbEUlT_E0_NS1_11comp_targetILNS1_3genE3ELNS1_11target_archE908ELNS1_3gpuE7ELNS1_3repE0EEENS1_30default_config_static_selectorELNS0_4arch9wavefront6targetE0EEEvS10_
; %bb.0:
	.section	.rodata,"a",@progbits
	.p2align	6, 0x0
	.amdhsa_kernel _ZN7rocprim17ROCPRIM_400000_NS6detail17trampoline_kernelINS0_14default_configENS1_21merge_config_selectorINS0_5tupleIJxxEEENS0_10empty_typeEEEZNS1_10merge_implIS3_NS0_12zip_iteratorINS5_IJN6thrust23THRUST_200600_302600_NS6detail15normal_iteratorINSC_10device_ptrIKxEEEESI_EEEEESK_NSA_INS5_IJNSE_INSF_IxEEEESM_EEEEEPS7_SP_SP_NSC_11hip_rocprim7__merge17predicate_wrapperIxxNSC_7greaterIxEEEEEE10hipError_tPvRmT0_T1_T2_T3_T4_T5_mmT6_P12ihipStream_tbEUlT_E0_NS1_11comp_targetILNS1_3genE3ELNS1_11target_archE908ELNS1_3gpuE7ELNS1_3repE0EEENS1_30default_config_static_selectorELNS0_4arch9wavefront6targetE0EEEvS10_
		.amdhsa_group_segment_fixed_size 0
		.amdhsa_private_segment_fixed_size 0
		.amdhsa_kernarg_size 112
		.amdhsa_user_sgpr_count 6
		.amdhsa_user_sgpr_private_segment_buffer 1
		.amdhsa_user_sgpr_dispatch_ptr 0
		.amdhsa_user_sgpr_queue_ptr 0
		.amdhsa_user_sgpr_kernarg_segment_ptr 1
		.amdhsa_user_sgpr_dispatch_id 0
		.amdhsa_user_sgpr_flat_scratch_init 0
		.amdhsa_user_sgpr_private_segment_size 0
		.amdhsa_wavefront_size32 1
		.amdhsa_uses_dynamic_stack 0
		.amdhsa_system_sgpr_private_segment_wavefront_offset 0
		.amdhsa_system_sgpr_workgroup_id_x 1
		.amdhsa_system_sgpr_workgroup_id_y 0
		.amdhsa_system_sgpr_workgroup_id_z 0
		.amdhsa_system_sgpr_workgroup_info 0
		.amdhsa_system_vgpr_workitem_id 0
		.amdhsa_next_free_vgpr 1
		.amdhsa_next_free_sgpr 1
		.amdhsa_reserve_vcc 0
		.amdhsa_reserve_flat_scratch 0
		.amdhsa_float_round_mode_32 0
		.amdhsa_float_round_mode_16_64 0
		.amdhsa_float_denorm_mode_32 3
		.amdhsa_float_denorm_mode_16_64 3
		.amdhsa_dx10_clamp 1
		.amdhsa_ieee_mode 1
		.amdhsa_fp16_overflow 0
		.amdhsa_workgroup_processor_mode 1
		.amdhsa_memory_ordered 1
		.amdhsa_forward_progress 1
		.amdhsa_shared_vgpr_count 0
		.amdhsa_exception_fp_ieee_invalid_op 0
		.amdhsa_exception_fp_denorm_src 0
		.amdhsa_exception_fp_ieee_div_zero 0
		.amdhsa_exception_fp_ieee_overflow 0
		.amdhsa_exception_fp_ieee_underflow 0
		.amdhsa_exception_fp_ieee_inexact 0
		.amdhsa_exception_int_div_zero 0
	.end_amdhsa_kernel
	.section	.text._ZN7rocprim17ROCPRIM_400000_NS6detail17trampoline_kernelINS0_14default_configENS1_21merge_config_selectorINS0_5tupleIJxxEEENS0_10empty_typeEEEZNS1_10merge_implIS3_NS0_12zip_iteratorINS5_IJN6thrust23THRUST_200600_302600_NS6detail15normal_iteratorINSC_10device_ptrIKxEEEESI_EEEEESK_NSA_INS5_IJNSE_INSF_IxEEEESM_EEEEEPS7_SP_SP_NSC_11hip_rocprim7__merge17predicate_wrapperIxxNSC_7greaterIxEEEEEE10hipError_tPvRmT0_T1_T2_T3_T4_T5_mmT6_P12ihipStream_tbEUlT_E0_NS1_11comp_targetILNS1_3genE3ELNS1_11target_archE908ELNS1_3gpuE7ELNS1_3repE0EEENS1_30default_config_static_selectorELNS0_4arch9wavefront6targetE0EEEvS10_,"axG",@progbits,_ZN7rocprim17ROCPRIM_400000_NS6detail17trampoline_kernelINS0_14default_configENS1_21merge_config_selectorINS0_5tupleIJxxEEENS0_10empty_typeEEEZNS1_10merge_implIS3_NS0_12zip_iteratorINS5_IJN6thrust23THRUST_200600_302600_NS6detail15normal_iteratorINSC_10device_ptrIKxEEEESI_EEEEESK_NSA_INS5_IJNSE_INSF_IxEEEESM_EEEEEPS7_SP_SP_NSC_11hip_rocprim7__merge17predicate_wrapperIxxNSC_7greaterIxEEEEEE10hipError_tPvRmT0_T1_T2_T3_T4_T5_mmT6_P12ihipStream_tbEUlT_E0_NS1_11comp_targetILNS1_3genE3ELNS1_11target_archE908ELNS1_3gpuE7ELNS1_3repE0EEENS1_30default_config_static_selectorELNS0_4arch9wavefront6targetE0EEEvS10_,comdat
.Lfunc_end419:
	.size	_ZN7rocprim17ROCPRIM_400000_NS6detail17trampoline_kernelINS0_14default_configENS1_21merge_config_selectorINS0_5tupleIJxxEEENS0_10empty_typeEEEZNS1_10merge_implIS3_NS0_12zip_iteratorINS5_IJN6thrust23THRUST_200600_302600_NS6detail15normal_iteratorINSC_10device_ptrIKxEEEESI_EEEEESK_NSA_INS5_IJNSE_INSF_IxEEEESM_EEEEEPS7_SP_SP_NSC_11hip_rocprim7__merge17predicate_wrapperIxxNSC_7greaterIxEEEEEE10hipError_tPvRmT0_T1_T2_T3_T4_T5_mmT6_P12ihipStream_tbEUlT_E0_NS1_11comp_targetILNS1_3genE3ELNS1_11target_archE908ELNS1_3gpuE7ELNS1_3repE0EEENS1_30default_config_static_selectorELNS0_4arch9wavefront6targetE0EEEvS10_, .Lfunc_end419-_ZN7rocprim17ROCPRIM_400000_NS6detail17trampoline_kernelINS0_14default_configENS1_21merge_config_selectorINS0_5tupleIJxxEEENS0_10empty_typeEEEZNS1_10merge_implIS3_NS0_12zip_iteratorINS5_IJN6thrust23THRUST_200600_302600_NS6detail15normal_iteratorINSC_10device_ptrIKxEEEESI_EEEEESK_NSA_INS5_IJNSE_INSF_IxEEEESM_EEEEEPS7_SP_SP_NSC_11hip_rocprim7__merge17predicate_wrapperIxxNSC_7greaterIxEEEEEE10hipError_tPvRmT0_T1_T2_T3_T4_T5_mmT6_P12ihipStream_tbEUlT_E0_NS1_11comp_targetILNS1_3genE3ELNS1_11target_archE908ELNS1_3gpuE7ELNS1_3repE0EEENS1_30default_config_static_selectorELNS0_4arch9wavefront6targetE0EEEvS10_
                                        ; -- End function
	.set _ZN7rocprim17ROCPRIM_400000_NS6detail17trampoline_kernelINS0_14default_configENS1_21merge_config_selectorINS0_5tupleIJxxEEENS0_10empty_typeEEEZNS1_10merge_implIS3_NS0_12zip_iteratorINS5_IJN6thrust23THRUST_200600_302600_NS6detail15normal_iteratorINSC_10device_ptrIKxEEEESI_EEEEESK_NSA_INS5_IJNSE_INSF_IxEEEESM_EEEEEPS7_SP_SP_NSC_11hip_rocprim7__merge17predicate_wrapperIxxNSC_7greaterIxEEEEEE10hipError_tPvRmT0_T1_T2_T3_T4_T5_mmT6_P12ihipStream_tbEUlT_E0_NS1_11comp_targetILNS1_3genE3ELNS1_11target_archE908ELNS1_3gpuE7ELNS1_3repE0EEENS1_30default_config_static_selectorELNS0_4arch9wavefront6targetE0EEEvS10_.num_vgpr, 0
	.set _ZN7rocprim17ROCPRIM_400000_NS6detail17trampoline_kernelINS0_14default_configENS1_21merge_config_selectorINS0_5tupleIJxxEEENS0_10empty_typeEEEZNS1_10merge_implIS3_NS0_12zip_iteratorINS5_IJN6thrust23THRUST_200600_302600_NS6detail15normal_iteratorINSC_10device_ptrIKxEEEESI_EEEEESK_NSA_INS5_IJNSE_INSF_IxEEEESM_EEEEEPS7_SP_SP_NSC_11hip_rocprim7__merge17predicate_wrapperIxxNSC_7greaterIxEEEEEE10hipError_tPvRmT0_T1_T2_T3_T4_T5_mmT6_P12ihipStream_tbEUlT_E0_NS1_11comp_targetILNS1_3genE3ELNS1_11target_archE908ELNS1_3gpuE7ELNS1_3repE0EEENS1_30default_config_static_selectorELNS0_4arch9wavefront6targetE0EEEvS10_.num_agpr, 0
	.set _ZN7rocprim17ROCPRIM_400000_NS6detail17trampoline_kernelINS0_14default_configENS1_21merge_config_selectorINS0_5tupleIJxxEEENS0_10empty_typeEEEZNS1_10merge_implIS3_NS0_12zip_iteratorINS5_IJN6thrust23THRUST_200600_302600_NS6detail15normal_iteratorINSC_10device_ptrIKxEEEESI_EEEEESK_NSA_INS5_IJNSE_INSF_IxEEEESM_EEEEEPS7_SP_SP_NSC_11hip_rocprim7__merge17predicate_wrapperIxxNSC_7greaterIxEEEEEE10hipError_tPvRmT0_T1_T2_T3_T4_T5_mmT6_P12ihipStream_tbEUlT_E0_NS1_11comp_targetILNS1_3genE3ELNS1_11target_archE908ELNS1_3gpuE7ELNS1_3repE0EEENS1_30default_config_static_selectorELNS0_4arch9wavefront6targetE0EEEvS10_.numbered_sgpr, 0
	.set _ZN7rocprim17ROCPRIM_400000_NS6detail17trampoline_kernelINS0_14default_configENS1_21merge_config_selectorINS0_5tupleIJxxEEENS0_10empty_typeEEEZNS1_10merge_implIS3_NS0_12zip_iteratorINS5_IJN6thrust23THRUST_200600_302600_NS6detail15normal_iteratorINSC_10device_ptrIKxEEEESI_EEEEESK_NSA_INS5_IJNSE_INSF_IxEEEESM_EEEEEPS7_SP_SP_NSC_11hip_rocprim7__merge17predicate_wrapperIxxNSC_7greaterIxEEEEEE10hipError_tPvRmT0_T1_T2_T3_T4_T5_mmT6_P12ihipStream_tbEUlT_E0_NS1_11comp_targetILNS1_3genE3ELNS1_11target_archE908ELNS1_3gpuE7ELNS1_3repE0EEENS1_30default_config_static_selectorELNS0_4arch9wavefront6targetE0EEEvS10_.num_named_barrier, 0
	.set _ZN7rocprim17ROCPRIM_400000_NS6detail17trampoline_kernelINS0_14default_configENS1_21merge_config_selectorINS0_5tupleIJxxEEENS0_10empty_typeEEEZNS1_10merge_implIS3_NS0_12zip_iteratorINS5_IJN6thrust23THRUST_200600_302600_NS6detail15normal_iteratorINSC_10device_ptrIKxEEEESI_EEEEESK_NSA_INS5_IJNSE_INSF_IxEEEESM_EEEEEPS7_SP_SP_NSC_11hip_rocprim7__merge17predicate_wrapperIxxNSC_7greaterIxEEEEEE10hipError_tPvRmT0_T1_T2_T3_T4_T5_mmT6_P12ihipStream_tbEUlT_E0_NS1_11comp_targetILNS1_3genE3ELNS1_11target_archE908ELNS1_3gpuE7ELNS1_3repE0EEENS1_30default_config_static_selectorELNS0_4arch9wavefront6targetE0EEEvS10_.private_seg_size, 0
	.set _ZN7rocprim17ROCPRIM_400000_NS6detail17trampoline_kernelINS0_14default_configENS1_21merge_config_selectorINS0_5tupleIJxxEEENS0_10empty_typeEEEZNS1_10merge_implIS3_NS0_12zip_iteratorINS5_IJN6thrust23THRUST_200600_302600_NS6detail15normal_iteratorINSC_10device_ptrIKxEEEESI_EEEEESK_NSA_INS5_IJNSE_INSF_IxEEEESM_EEEEEPS7_SP_SP_NSC_11hip_rocprim7__merge17predicate_wrapperIxxNSC_7greaterIxEEEEEE10hipError_tPvRmT0_T1_T2_T3_T4_T5_mmT6_P12ihipStream_tbEUlT_E0_NS1_11comp_targetILNS1_3genE3ELNS1_11target_archE908ELNS1_3gpuE7ELNS1_3repE0EEENS1_30default_config_static_selectorELNS0_4arch9wavefront6targetE0EEEvS10_.uses_vcc, 0
	.set _ZN7rocprim17ROCPRIM_400000_NS6detail17trampoline_kernelINS0_14default_configENS1_21merge_config_selectorINS0_5tupleIJxxEEENS0_10empty_typeEEEZNS1_10merge_implIS3_NS0_12zip_iteratorINS5_IJN6thrust23THRUST_200600_302600_NS6detail15normal_iteratorINSC_10device_ptrIKxEEEESI_EEEEESK_NSA_INS5_IJNSE_INSF_IxEEEESM_EEEEEPS7_SP_SP_NSC_11hip_rocprim7__merge17predicate_wrapperIxxNSC_7greaterIxEEEEEE10hipError_tPvRmT0_T1_T2_T3_T4_T5_mmT6_P12ihipStream_tbEUlT_E0_NS1_11comp_targetILNS1_3genE3ELNS1_11target_archE908ELNS1_3gpuE7ELNS1_3repE0EEENS1_30default_config_static_selectorELNS0_4arch9wavefront6targetE0EEEvS10_.uses_flat_scratch, 0
	.set _ZN7rocprim17ROCPRIM_400000_NS6detail17trampoline_kernelINS0_14default_configENS1_21merge_config_selectorINS0_5tupleIJxxEEENS0_10empty_typeEEEZNS1_10merge_implIS3_NS0_12zip_iteratorINS5_IJN6thrust23THRUST_200600_302600_NS6detail15normal_iteratorINSC_10device_ptrIKxEEEESI_EEEEESK_NSA_INS5_IJNSE_INSF_IxEEEESM_EEEEEPS7_SP_SP_NSC_11hip_rocprim7__merge17predicate_wrapperIxxNSC_7greaterIxEEEEEE10hipError_tPvRmT0_T1_T2_T3_T4_T5_mmT6_P12ihipStream_tbEUlT_E0_NS1_11comp_targetILNS1_3genE3ELNS1_11target_archE908ELNS1_3gpuE7ELNS1_3repE0EEENS1_30default_config_static_selectorELNS0_4arch9wavefront6targetE0EEEvS10_.has_dyn_sized_stack, 0
	.set _ZN7rocprim17ROCPRIM_400000_NS6detail17trampoline_kernelINS0_14default_configENS1_21merge_config_selectorINS0_5tupleIJxxEEENS0_10empty_typeEEEZNS1_10merge_implIS3_NS0_12zip_iteratorINS5_IJN6thrust23THRUST_200600_302600_NS6detail15normal_iteratorINSC_10device_ptrIKxEEEESI_EEEEESK_NSA_INS5_IJNSE_INSF_IxEEEESM_EEEEEPS7_SP_SP_NSC_11hip_rocprim7__merge17predicate_wrapperIxxNSC_7greaterIxEEEEEE10hipError_tPvRmT0_T1_T2_T3_T4_T5_mmT6_P12ihipStream_tbEUlT_E0_NS1_11comp_targetILNS1_3genE3ELNS1_11target_archE908ELNS1_3gpuE7ELNS1_3repE0EEENS1_30default_config_static_selectorELNS0_4arch9wavefront6targetE0EEEvS10_.has_recursion, 0
	.set _ZN7rocprim17ROCPRIM_400000_NS6detail17trampoline_kernelINS0_14default_configENS1_21merge_config_selectorINS0_5tupleIJxxEEENS0_10empty_typeEEEZNS1_10merge_implIS3_NS0_12zip_iteratorINS5_IJN6thrust23THRUST_200600_302600_NS6detail15normal_iteratorINSC_10device_ptrIKxEEEESI_EEEEESK_NSA_INS5_IJNSE_INSF_IxEEEESM_EEEEEPS7_SP_SP_NSC_11hip_rocprim7__merge17predicate_wrapperIxxNSC_7greaterIxEEEEEE10hipError_tPvRmT0_T1_T2_T3_T4_T5_mmT6_P12ihipStream_tbEUlT_E0_NS1_11comp_targetILNS1_3genE3ELNS1_11target_archE908ELNS1_3gpuE7ELNS1_3repE0EEENS1_30default_config_static_selectorELNS0_4arch9wavefront6targetE0EEEvS10_.has_indirect_call, 0
	.section	.AMDGPU.csdata,"",@progbits
; Kernel info:
; codeLenInByte = 0
; TotalNumSgprs: 0
; NumVgprs: 0
; ScratchSize: 0
; MemoryBound: 0
; FloatMode: 240
; IeeeMode: 1
; LDSByteSize: 0 bytes/workgroup (compile time only)
; SGPRBlocks: 0
; VGPRBlocks: 0
; NumSGPRsForWavesPerEU: 1
; NumVGPRsForWavesPerEU: 1
; Occupancy: 16
; WaveLimiterHint : 0
; COMPUTE_PGM_RSRC2:SCRATCH_EN: 0
; COMPUTE_PGM_RSRC2:USER_SGPR: 6
; COMPUTE_PGM_RSRC2:TRAP_HANDLER: 0
; COMPUTE_PGM_RSRC2:TGID_X_EN: 1
; COMPUTE_PGM_RSRC2:TGID_Y_EN: 0
; COMPUTE_PGM_RSRC2:TGID_Z_EN: 0
; COMPUTE_PGM_RSRC2:TIDIG_COMP_CNT: 0
	.section	.text._ZN7rocprim17ROCPRIM_400000_NS6detail17trampoline_kernelINS0_14default_configENS1_21merge_config_selectorINS0_5tupleIJxxEEENS0_10empty_typeEEEZNS1_10merge_implIS3_NS0_12zip_iteratorINS5_IJN6thrust23THRUST_200600_302600_NS6detail15normal_iteratorINSC_10device_ptrIKxEEEESI_EEEEESK_NSA_INS5_IJNSE_INSF_IxEEEESM_EEEEEPS7_SP_SP_NSC_11hip_rocprim7__merge17predicate_wrapperIxxNSC_7greaterIxEEEEEE10hipError_tPvRmT0_T1_T2_T3_T4_T5_mmT6_P12ihipStream_tbEUlT_E0_NS1_11comp_targetILNS1_3genE2ELNS1_11target_archE906ELNS1_3gpuE6ELNS1_3repE0EEENS1_30default_config_static_selectorELNS0_4arch9wavefront6targetE0EEEvS10_,"axG",@progbits,_ZN7rocprim17ROCPRIM_400000_NS6detail17trampoline_kernelINS0_14default_configENS1_21merge_config_selectorINS0_5tupleIJxxEEENS0_10empty_typeEEEZNS1_10merge_implIS3_NS0_12zip_iteratorINS5_IJN6thrust23THRUST_200600_302600_NS6detail15normal_iteratorINSC_10device_ptrIKxEEEESI_EEEEESK_NSA_INS5_IJNSE_INSF_IxEEEESM_EEEEEPS7_SP_SP_NSC_11hip_rocprim7__merge17predicate_wrapperIxxNSC_7greaterIxEEEEEE10hipError_tPvRmT0_T1_T2_T3_T4_T5_mmT6_P12ihipStream_tbEUlT_E0_NS1_11comp_targetILNS1_3genE2ELNS1_11target_archE906ELNS1_3gpuE6ELNS1_3repE0EEENS1_30default_config_static_selectorELNS0_4arch9wavefront6targetE0EEEvS10_,comdat
	.protected	_ZN7rocprim17ROCPRIM_400000_NS6detail17trampoline_kernelINS0_14default_configENS1_21merge_config_selectorINS0_5tupleIJxxEEENS0_10empty_typeEEEZNS1_10merge_implIS3_NS0_12zip_iteratorINS5_IJN6thrust23THRUST_200600_302600_NS6detail15normal_iteratorINSC_10device_ptrIKxEEEESI_EEEEESK_NSA_INS5_IJNSE_INSF_IxEEEESM_EEEEEPS7_SP_SP_NSC_11hip_rocprim7__merge17predicate_wrapperIxxNSC_7greaterIxEEEEEE10hipError_tPvRmT0_T1_T2_T3_T4_T5_mmT6_P12ihipStream_tbEUlT_E0_NS1_11comp_targetILNS1_3genE2ELNS1_11target_archE906ELNS1_3gpuE6ELNS1_3repE0EEENS1_30default_config_static_selectorELNS0_4arch9wavefront6targetE0EEEvS10_ ; -- Begin function _ZN7rocprim17ROCPRIM_400000_NS6detail17trampoline_kernelINS0_14default_configENS1_21merge_config_selectorINS0_5tupleIJxxEEENS0_10empty_typeEEEZNS1_10merge_implIS3_NS0_12zip_iteratorINS5_IJN6thrust23THRUST_200600_302600_NS6detail15normal_iteratorINSC_10device_ptrIKxEEEESI_EEEEESK_NSA_INS5_IJNSE_INSF_IxEEEESM_EEEEEPS7_SP_SP_NSC_11hip_rocprim7__merge17predicate_wrapperIxxNSC_7greaterIxEEEEEE10hipError_tPvRmT0_T1_T2_T3_T4_T5_mmT6_P12ihipStream_tbEUlT_E0_NS1_11comp_targetILNS1_3genE2ELNS1_11target_archE906ELNS1_3gpuE6ELNS1_3repE0EEENS1_30default_config_static_selectorELNS0_4arch9wavefront6targetE0EEEvS10_
	.globl	_ZN7rocprim17ROCPRIM_400000_NS6detail17trampoline_kernelINS0_14default_configENS1_21merge_config_selectorINS0_5tupleIJxxEEENS0_10empty_typeEEEZNS1_10merge_implIS3_NS0_12zip_iteratorINS5_IJN6thrust23THRUST_200600_302600_NS6detail15normal_iteratorINSC_10device_ptrIKxEEEESI_EEEEESK_NSA_INS5_IJNSE_INSF_IxEEEESM_EEEEEPS7_SP_SP_NSC_11hip_rocprim7__merge17predicate_wrapperIxxNSC_7greaterIxEEEEEE10hipError_tPvRmT0_T1_T2_T3_T4_T5_mmT6_P12ihipStream_tbEUlT_E0_NS1_11comp_targetILNS1_3genE2ELNS1_11target_archE906ELNS1_3gpuE6ELNS1_3repE0EEENS1_30default_config_static_selectorELNS0_4arch9wavefront6targetE0EEEvS10_
	.p2align	8
	.type	_ZN7rocprim17ROCPRIM_400000_NS6detail17trampoline_kernelINS0_14default_configENS1_21merge_config_selectorINS0_5tupleIJxxEEENS0_10empty_typeEEEZNS1_10merge_implIS3_NS0_12zip_iteratorINS5_IJN6thrust23THRUST_200600_302600_NS6detail15normal_iteratorINSC_10device_ptrIKxEEEESI_EEEEESK_NSA_INS5_IJNSE_INSF_IxEEEESM_EEEEEPS7_SP_SP_NSC_11hip_rocprim7__merge17predicate_wrapperIxxNSC_7greaterIxEEEEEE10hipError_tPvRmT0_T1_T2_T3_T4_T5_mmT6_P12ihipStream_tbEUlT_E0_NS1_11comp_targetILNS1_3genE2ELNS1_11target_archE906ELNS1_3gpuE6ELNS1_3repE0EEENS1_30default_config_static_selectorELNS0_4arch9wavefront6targetE0EEEvS10_,@function
_ZN7rocprim17ROCPRIM_400000_NS6detail17trampoline_kernelINS0_14default_configENS1_21merge_config_selectorINS0_5tupleIJxxEEENS0_10empty_typeEEEZNS1_10merge_implIS3_NS0_12zip_iteratorINS5_IJN6thrust23THRUST_200600_302600_NS6detail15normal_iteratorINSC_10device_ptrIKxEEEESI_EEEEESK_NSA_INS5_IJNSE_INSF_IxEEEESM_EEEEEPS7_SP_SP_NSC_11hip_rocprim7__merge17predicate_wrapperIxxNSC_7greaterIxEEEEEE10hipError_tPvRmT0_T1_T2_T3_T4_T5_mmT6_P12ihipStream_tbEUlT_E0_NS1_11comp_targetILNS1_3genE2ELNS1_11target_archE906ELNS1_3gpuE6ELNS1_3repE0EEENS1_30default_config_static_selectorELNS0_4arch9wavefront6targetE0EEEvS10_: ; @_ZN7rocprim17ROCPRIM_400000_NS6detail17trampoline_kernelINS0_14default_configENS1_21merge_config_selectorINS0_5tupleIJxxEEENS0_10empty_typeEEEZNS1_10merge_implIS3_NS0_12zip_iteratorINS5_IJN6thrust23THRUST_200600_302600_NS6detail15normal_iteratorINSC_10device_ptrIKxEEEESI_EEEEESK_NSA_INS5_IJNSE_INSF_IxEEEESM_EEEEEPS7_SP_SP_NSC_11hip_rocprim7__merge17predicate_wrapperIxxNSC_7greaterIxEEEEEE10hipError_tPvRmT0_T1_T2_T3_T4_T5_mmT6_P12ihipStream_tbEUlT_E0_NS1_11comp_targetILNS1_3genE2ELNS1_11target_archE906ELNS1_3gpuE6ELNS1_3repE0EEENS1_30default_config_static_selectorELNS0_4arch9wavefront6targetE0EEEvS10_
; %bb.0:
	.section	.rodata,"a",@progbits
	.p2align	6, 0x0
	.amdhsa_kernel _ZN7rocprim17ROCPRIM_400000_NS6detail17trampoline_kernelINS0_14default_configENS1_21merge_config_selectorINS0_5tupleIJxxEEENS0_10empty_typeEEEZNS1_10merge_implIS3_NS0_12zip_iteratorINS5_IJN6thrust23THRUST_200600_302600_NS6detail15normal_iteratorINSC_10device_ptrIKxEEEESI_EEEEESK_NSA_INS5_IJNSE_INSF_IxEEEESM_EEEEEPS7_SP_SP_NSC_11hip_rocprim7__merge17predicate_wrapperIxxNSC_7greaterIxEEEEEE10hipError_tPvRmT0_T1_T2_T3_T4_T5_mmT6_P12ihipStream_tbEUlT_E0_NS1_11comp_targetILNS1_3genE2ELNS1_11target_archE906ELNS1_3gpuE6ELNS1_3repE0EEENS1_30default_config_static_selectorELNS0_4arch9wavefront6targetE0EEEvS10_
		.amdhsa_group_segment_fixed_size 0
		.amdhsa_private_segment_fixed_size 0
		.amdhsa_kernarg_size 112
		.amdhsa_user_sgpr_count 6
		.amdhsa_user_sgpr_private_segment_buffer 1
		.amdhsa_user_sgpr_dispatch_ptr 0
		.amdhsa_user_sgpr_queue_ptr 0
		.amdhsa_user_sgpr_kernarg_segment_ptr 1
		.amdhsa_user_sgpr_dispatch_id 0
		.amdhsa_user_sgpr_flat_scratch_init 0
		.amdhsa_user_sgpr_private_segment_size 0
		.amdhsa_wavefront_size32 1
		.amdhsa_uses_dynamic_stack 0
		.amdhsa_system_sgpr_private_segment_wavefront_offset 0
		.amdhsa_system_sgpr_workgroup_id_x 1
		.amdhsa_system_sgpr_workgroup_id_y 0
		.amdhsa_system_sgpr_workgroup_id_z 0
		.amdhsa_system_sgpr_workgroup_info 0
		.amdhsa_system_vgpr_workitem_id 0
		.amdhsa_next_free_vgpr 1
		.amdhsa_next_free_sgpr 1
		.amdhsa_reserve_vcc 0
		.amdhsa_reserve_flat_scratch 0
		.amdhsa_float_round_mode_32 0
		.amdhsa_float_round_mode_16_64 0
		.amdhsa_float_denorm_mode_32 3
		.amdhsa_float_denorm_mode_16_64 3
		.amdhsa_dx10_clamp 1
		.amdhsa_ieee_mode 1
		.amdhsa_fp16_overflow 0
		.amdhsa_workgroup_processor_mode 1
		.amdhsa_memory_ordered 1
		.amdhsa_forward_progress 1
		.amdhsa_shared_vgpr_count 0
		.amdhsa_exception_fp_ieee_invalid_op 0
		.amdhsa_exception_fp_denorm_src 0
		.amdhsa_exception_fp_ieee_div_zero 0
		.amdhsa_exception_fp_ieee_overflow 0
		.amdhsa_exception_fp_ieee_underflow 0
		.amdhsa_exception_fp_ieee_inexact 0
		.amdhsa_exception_int_div_zero 0
	.end_amdhsa_kernel
	.section	.text._ZN7rocprim17ROCPRIM_400000_NS6detail17trampoline_kernelINS0_14default_configENS1_21merge_config_selectorINS0_5tupleIJxxEEENS0_10empty_typeEEEZNS1_10merge_implIS3_NS0_12zip_iteratorINS5_IJN6thrust23THRUST_200600_302600_NS6detail15normal_iteratorINSC_10device_ptrIKxEEEESI_EEEEESK_NSA_INS5_IJNSE_INSF_IxEEEESM_EEEEEPS7_SP_SP_NSC_11hip_rocprim7__merge17predicate_wrapperIxxNSC_7greaterIxEEEEEE10hipError_tPvRmT0_T1_T2_T3_T4_T5_mmT6_P12ihipStream_tbEUlT_E0_NS1_11comp_targetILNS1_3genE2ELNS1_11target_archE906ELNS1_3gpuE6ELNS1_3repE0EEENS1_30default_config_static_selectorELNS0_4arch9wavefront6targetE0EEEvS10_,"axG",@progbits,_ZN7rocprim17ROCPRIM_400000_NS6detail17trampoline_kernelINS0_14default_configENS1_21merge_config_selectorINS0_5tupleIJxxEEENS0_10empty_typeEEEZNS1_10merge_implIS3_NS0_12zip_iteratorINS5_IJN6thrust23THRUST_200600_302600_NS6detail15normal_iteratorINSC_10device_ptrIKxEEEESI_EEEEESK_NSA_INS5_IJNSE_INSF_IxEEEESM_EEEEEPS7_SP_SP_NSC_11hip_rocprim7__merge17predicate_wrapperIxxNSC_7greaterIxEEEEEE10hipError_tPvRmT0_T1_T2_T3_T4_T5_mmT6_P12ihipStream_tbEUlT_E0_NS1_11comp_targetILNS1_3genE2ELNS1_11target_archE906ELNS1_3gpuE6ELNS1_3repE0EEENS1_30default_config_static_selectorELNS0_4arch9wavefront6targetE0EEEvS10_,comdat
.Lfunc_end420:
	.size	_ZN7rocprim17ROCPRIM_400000_NS6detail17trampoline_kernelINS0_14default_configENS1_21merge_config_selectorINS0_5tupleIJxxEEENS0_10empty_typeEEEZNS1_10merge_implIS3_NS0_12zip_iteratorINS5_IJN6thrust23THRUST_200600_302600_NS6detail15normal_iteratorINSC_10device_ptrIKxEEEESI_EEEEESK_NSA_INS5_IJNSE_INSF_IxEEEESM_EEEEEPS7_SP_SP_NSC_11hip_rocprim7__merge17predicate_wrapperIxxNSC_7greaterIxEEEEEE10hipError_tPvRmT0_T1_T2_T3_T4_T5_mmT6_P12ihipStream_tbEUlT_E0_NS1_11comp_targetILNS1_3genE2ELNS1_11target_archE906ELNS1_3gpuE6ELNS1_3repE0EEENS1_30default_config_static_selectorELNS0_4arch9wavefront6targetE0EEEvS10_, .Lfunc_end420-_ZN7rocprim17ROCPRIM_400000_NS6detail17trampoline_kernelINS0_14default_configENS1_21merge_config_selectorINS0_5tupleIJxxEEENS0_10empty_typeEEEZNS1_10merge_implIS3_NS0_12zip_iteratorINS5_IJN6thrust23THRUST_200600_302600_NS6detail15normal_iteratorINSC_10device_ptrIKxEEEESI_EEEEESK_NSA_INS5_IJNSE_INSF_IxEEEESM_EEEEEPS7_SP_SP_NSC_11hip_rocprim7__merge17predicate_wrapperIxxNSC_7greaterIxEEEEEE10hipError_tPvRmT0_T1_T2_T3_T4_T5_mmT6_P12ihipStream_tbEUlT_E0_NS1_11comp_targetILNS1_3genE2ELNS1_11target_archE906ELNS1_3gpuE6ELNS1_3repE0EEENS1_30default_config_static_selectorELNS0_4arch9wavefront6targetE0EEEvS10_
                                        ; -- End function
	.set _ZN7rocprim17ROCPRIM_400000_NS6detail17trampoline_kernelINS0_14default_configENS1_21merge_config_selectorINS0_5tupleIJxxEEENS0_10empty_typeEEEZNS1_10merge_implIS3_NS0_12zip_iteratorINS5_IJN6thrust23THRUST_200600_302600_NS6detail15normal_iteratorINSC_10device_ptrIKxEEEESI_EEEEESK_NSA_INS5_IJNSE_INSF_IxEEEESM_EEEEEPS7_SP_SP_NSC_11hip_rocprim7__merge17predicate_wrapperIxxNSC_7greaterIxEEEEEE10hipError_tPvRmT0_T1_T2_T3_T4_T5_mmT6_P12ihipStream_tbEUlT_E0_NS1_11comp_targetILNS1_3genE2ELNS1_11target_archE906ELNS1_3gpuE6ELNS1_3repE0EEENS1_30default_config_static_selectorELNS0_4arch9wavefront6targetE0EEEvS10_.num_vgpr, 0
	.set _ZN7rocprim17ROCPRIM_400000_NS6detail17trampoline_kernelINS0_14default_configENS1_21merge_config_selectorINS0_5tupleIJxxEEENS0_10empty_typeEEEZNS1_10merge_implIS3_NS0_12zip_iteratorINS5_IJN6thrust23THRUST_200600_302600_NS6detail15normal_iteratorINSC_10device_ptrIKxEEEESI_EEEEESK_NSA_INS5_IJNSE_INSF_IxEEEESM_EEEEEPS7_SP_SP_NSC_11hip_rocprim7__merge17predicate_wrapperIxxNSC_7greaterIxEEEEEE10hipError_tPvRmT0_T1_T2_T3_T4_T5_mmT6_P12ihipStream_tbEUlT_E0_NS1_11comp_targetILNS1_3genE2ELNS1_11target_archE906ELNS1_3gpuE6ELNS1_3repE0EEENS1_30default_config_static_selectorELNS0_4arch9wavefront6targetE0EEEvS10_.num_agpr, 0
	.set _ZN7rocprim17ROCPRIM_400000_NS6detail17trampoline_kernelINS0_14default_configENS1_21merge_config_selectorINS0_5tupleIJxxEEENS0_10empty_typeEEEZNS1_10merge_implIS3_NS0_12zip_iteratorINS5_IJN6thrust23THRUST_200600_302600_NS6detail15normal_iteratorINSC_10device_ptrIKxEEEESI_EEEEESK_NSA_INS5_IJNSE_INSF_IxEEEESM_EEEEEPS7_SP_SP_NSC_11hip_rocprim7__merge17predicate_wrapperIxxNSC_7greaterIxEEEEEE10hipError_tPvRmT0_T1_T2_T3_T4_T5_mmT6_P12ihipStream_tbEUlT_E0_NS1_11comp_targetILNS1_3genE2ELNS1_11target_archE906ELNS1_3gpuE6ELNS1_3repE0EEENS1_30default_config_static_selectorELNS0_4arch9wavefront6targetE0EEEvS10_.numbered_sgpr, 0
	.set _ZN7rocprim17ROCPRIM_400000_NS6detail17trampoline_kernelINS0_14default_configENS1_21merge_config_selectorINS0_5tupleIJxxEEENS0_10empty_typeEEEZNS1_10merge_implIS3_NS0_12zip_iteratorINS5_IJN6thrust23THRUST_200600_302600_NS6detail15normal_iteratorINSC_10device_ptrIKxEEEESI_EEEEESK_NSA_INS5_IJNSE_INSF_IxEEEESM_EEEEEPS7_SP_SP_NSC_11hip_rocprim7__merge17predicate_wrapperIxxNSC_7greaterIxEEEEEE10hipError_tPvRmT0_T1_T2_T3_T4_T5_mmT6_P12ihipStream_tbEUlT_E0_NS1_11comp_targetILNS1_3genE2ELNS1_11target_archE906ELNS1_3gpuE6ELNS1_3repE0EEENS1_30default_config_static_selectorELNS0_4arch9wavefront6targetE0EEEvS10_.num_named_barrier, 0
	.set _ZN7rocprim17ROCPRIM_400000_NS6detail17trampoline_kernelINS0_14default_configENS1_21merge_config_selectorINS0_5tupleIJxxEEENS0_10empty_typeEEEZNS1_10merge_implIS3_NS0_12zip_iteratorINS5_IJN6thrust23THRUST_200600_302600_NS6detail15normal_iteratorINSC_10device_ptrIKxEEEESI_EEEEESK_NSA_INS5_IJNSE_INSF_IxEEEESM_EEEEEPS7_SP_SP_NSC_11hip_rocprim7__merge17predicate_wrapperIxxNSC_7greaterIxEEEEEE10hipError_tPvRmT0_T1_T2_T3_T4_T5_mmT6_P12ihipStream_tbEUlT_E0_NS1_11comp_targetILNS1_3genE2ELNS1_11target_archE906ELNS1_3gpuE6ELNS1_3repE0EEENS1_30default_config_static_selectorELNS0_4arch9wavefront6targetE0EEEvS10_.private_seg_size, 0
	.set _ZN7rocprim17ROCPRIM_400000_NS6detail17trampoline_kernelINS0_14default_configENS1_21merge_config_selectorINS0_5tupleIJxxEEENS0_10empty_typeEEEZNS1_10merge_implIS3_NS0_12zip_iteratorINS5_IJN6thrust23THRUST_200600_302600_NS6detail15normal_iteratorINSC_10device_ptrIKxEEEESI_EEEEESK_NSA_INS5_IJNSE_INSF_IxEEEESM_EEEEEPS7_SP_SP_NSC_11hip_rocprim7__merge17predicate_wrapperIxxNSC_7greaterIxEEEEEE10hipError_tPvRmT0_T1_T2_T3_T4_T5_mmT6_P12ihipStream_tbEUlT_E0_NS1_11comp_targetILNS1_3genE2ELNS1_11target_archE906ELNS1_3gpuE6ELNS1_3repE0EEENS1_30default_config_static_selectorELNS0_4arch9wavefront6targetE0EEEvS10_.uses_vcc, 0
	.set _ZN7rocprim17ROCPRIM_400000_NS6detail17trampoline_kernelINS0_14default_configENS1_21merge_config_selectorINS0_5tupleIJxxEEENS0_10empty_typeEEEZNS1_10merge_implIS3_NS0_12zip_iteratorINS5_IJN6thrust23THRUST_200600_302600_NS6detail15normal_iteratorINSC_10device_ptrIKxEEEESI_EEEEESK_NSA_INS5_IJNSE_INSF_IxEEEESM_EEEEEPS7_SP_SP_NSC_11hip_rocprim7__merge17predicate_wrapperIxxNSC_7greaterIxEEEEEE10hipError_tPvRmT0_T1_T2_T3_T4_T5_mmT6_P12ihipStream_tbEUlT_E0_NS1_11comp_targetILNS1_3genE2ELNS1_11target_archE906ELNS1_3gpuE6ELNS1_3repE0EEENS1_30default_config_static_selectorELNS0_4arch9wavefront6targetE0EEEvS10_.uses_flat_scratch, 0
	.set _ZN7rocprim17ROCPRIM_400000_NS6detail17trampoline_kernelINS0_14default_configENS1_21merge_config_selectorINS0_5tupleIJxxEEENS0_10empty_typeEEEZNS1_10merge_implIS3_NS0_12zip_iteratorINS5_IJN6thrust23THRUST_200600_302600_NS6detail15normal_iteratorINSC_10device_ptrIKxEEEESI_EEEEESK_NSA_INS5_IJNSE_INSF_IxEEEESM_EEEEEPS7_SP_SP_NSC_11hip_rocprim7__merge17predicate_wrapperIxxNSC_7greaterIxEEEEEE10hipError_tPvRmT0_T1_T2_T3_T4_T5_mmT6_P12ihipStream_tbEUlT_E0_NS1_11comp_targetILNS1_3genE2ELNS1_11target_archE906ELNS1_3gpuE6ELNS1_3repE0EEENS1_30default_config_static_selectorELNS0_4arch9wavefront6targetE0EEEvS10_.has_dyn_sized_stack, 0
	.set _ZN7rocprim17ROCPRIM_400000_NS6detail17trampoline_kernelINS0_14default_configENS1_21merge_config_selectorINS0_5tupleIJxxEEENS0_10empty_typeEEEZNS1_10merge_implIS3_NS0_12zip_iteratorINS5_IJN6thrust23THRUST_200600_302600_NS6detail15normal_iteratorINSC_10device_ptrIKxEEEESI_EEEEESK_NSA_INS5_IJNSE_INSF_IxEEEESM_EEEEEPS7_SP_SP_NSC_11hip_rocprim7__merge17predicate_wrapperIxxNSC_7greaterIxEEEEEE10hipError_tPvRmT0_T1_T2_T3_T4_T5_mmT6_P12ihipStream_tbEUlT_E0_NS1_11comp_targetILNS1_3genE2ELNS1_11target_archE906ELNS1_3gpuE6ELNS1_3repE0EEENS1_30default_config_static_selectorELNS0_4arch9wavefront6targetE0EEEvS10_.has_recursion, 0
	.set _ZN7rocprim17ROCPRIM_400000_NS6detail17trampoline_kernelINS0_14default_configENS1_21merge_config_selectorINS0_5tupleIJxxEEENS0_10empty_typeEEEZNS1_10merge_implIS3_NS0_12zip_iteratorINS5_IJN6thrust23THRUST_200600_302600_NS6detail15normal_iteratorINSC_10device_ptrIKxEEEESI_EEEEESK_NSA_INS5_IJNSE_INSF_IxEEEESM_EEEEEPS7_SP_SP_NSC_11hip_rocprim7__merge17predicate_wrapperIxxNSC_7greaterIxEEEEEE10hipError_tPvRmT0_T1_T2_T3_T4_T5_mmT6_P12ihipStream_tbEUlT_E0_NS1_11comp_targetILNS1_3genE2ELNS1_11target_archE906ELNS1_3gpuE6ELNS1_3repE0EEENS1_30default_config_static_selectorELNS0_4arch9wavefront6targetE0EEEvS10_.has_indirect_call, 0
	.section	.AMDGPU.csdata,"",@progbits
; Kernel info:
; codeLenInByte = 0
; TotalNumSgprs: 0
; NumVgprs: 0
; ScratchSize: 0
; MemoryBound: 0
; FloatMode: 240
; IeeeMode: 1
; LDSByteSize: 0 bytes/workgroup (compile time only)
; SGPRBlocks: 0
; VGPRBlocks: 0
; NumSGPRsForWavesPerEU: 1
; NumVGPRsForWavesPerEU: 1
; Occupancy: 16
; WaveLimiterHint : 0
; COMPUTE_PGM_RSRC2:SCRATCH_EN: 0
; COMPUTE_PGM_RSRC2:USER_SGPR: 6
; COMPUTE_PGM_RSRC2:TRAP_HANDLER: 0
; COMPUTE_PGM_RSRC2:TGID_X_EN: 1
; COMPUTE_PGM_RSRC2:TGID_Y_EN: 0
; COMPUTE_PGM_RSRC2:TGID_Z_EN: 0
; COMPUTE_PGM_RSRC2:TIDIG_COMP_CNT: 0
	.section	.text._ZN7rocprim17ROCPRIM_400000_NS6detail17trampoline_kernelINS0_14default_configENS1_21merge_config_selectorINS0_5tupleIJxxEEENS0_10empty_typeEEEZNS1_10merge_implIS3_NS0_12zip_iteratorINS5_IJN6thrust23THRUST_200600_302600_NS6detail15normal_iteratorINSC_10device_ptrIKxEEEESI_EEEEESK_NSA_INS5_IJNSE_INSF_IxEEEESM_EEEEEPS7_SP_SP_NSC_11hip_rocprim7__merge17predicate_wrapperIxxNSC_7greaterIxEEEEEE10hipError_tPvRmT0_T1_T2_T3_T4_T5_mmT6_P12ihipStream_tbEUlT_E0_NS1_11comp_targetILNS1_3genE10ELNS1_11target_archE1201ELNS1_3gpuE5ELNS1_3repE0EEENS1_30default_config_static_selectorELNS0_4arch9wavefront6targetE0EEEvS10_,"axG",@progbits,_ZN7rocprim17ROCPRIM_400000_NS6detail17trampoline_kernelINS0_14default_configENS1_21merge_config_selectorINS0_5tupleIJxxEEENS0_10empty_typeEEEZNS1_10merge_implIS3_NS0_12zip_iteratorINS5_IJN6thrust23THRUST_200600_302600_NS6detail15normal_iteratorINSC_10device_ptrIKxEEEESI_EEEEESK_NSA_INS5_IJNSE_INSF_IxEEEESM_EEEEEPS7_SP_SP_NSC_11hip_rocprim7__merge17predicate_wrapperIxxNSC_7greaterIxEEEEEE10hipError_tPvRmT0_T1_T2_T3_T4_T5_mmT6_P12ihipStream_tbEUlT_E0_NS1_11comp_targetILNS1_3genE10ELNS1_11target_archE1201ELNS1_3gpuE5ELNS1_3repE0EEENS1_30default_config_static_selectorELNS0_4arch9wavefront6targetE0EEEvS10_,comdat
	.protected	_ZN7rocprim17ROCPRIM_400000_NS6detail17trampoline_kernelINS0_14default_configENS1_21merge_config_selectorINS0_5tupleIJxxEEENS0_10empty_typeEEEZNS1_10merge_implIS3_NS0_12zip_iteratorINS5_IJN6thrust23THRUST_200600_302600_NS6detail15normal_iteratorINSC_10device_ptrIKxEEEESI_EEEEESK_NSA_INS5_IJNSE_INSF_IxEEEESM_EEEEEPS7_SP_SP_NSC_11hip_rocprim7__merge17predicate_wrapperIxxNSC_7greaterIxEEEEEE10hipError_tPvRmT0_T1_T2_T3_T4_T5_mmT6_P12ihipStream_tbEUlT_E0_NS1_11comp_targetILNS1_3genE10ELNS1_11target_archE1201ELNS1_3gpuE5ELNS1_3repE0EEENS1_30default_config_static_selectorELNS0_4arch9wavefront6targetE0EEEvS10_ ; -- Begin function _ZN7rocprim17ROCPRIM_400000_NS6detail17trampoline_kernelINS0_14default_configENS1_21merge_config_selectorINS0_5tupleIJxxEEENS0_10empty_typeEEEZNS1_10merge_implIS3_NS0_12zip_iteratorINS5_IJN6thrust23THRUST_200600_302600_NS6detail15normal_iteratorINSC_10device_ptrIKxEEEESI_EEEEESK_NSA_INS5_IJNSE_INSF_IxEEEESM_EEEEEPS7_SP_SP_NSC_11hip_rocprim7__merge17predicate_wrapperIxxNSC_7greaterIxEEEEEE10hipError_tPvRmT0_T1_T2_T3_T4_T5_mmT6_P12ihipStream_tbEUlT_E0_NS1_11comp_targetILNS1_3genE10ELNS1_11target_archE1201ELNS1_3gpuE5ELNS1_3repE0EEENS1_30default_config_static_selectorELNS0_4arch9wavefront6targetE0EEEvS10_
	.globl	_ZN7rocprim17ROCPRIM_400000_NS6detail17trampoline_kernelINS0_14default_configENS1_21merge_config_selectorINS0_5tupleIJxxEEENS0_10empty_typeEEEZNS1_10merge_implIS3_NS0_12zip_iteratorINS5_IJN6thrust23THRUST_200600_302600_NS6detail15normal_iteratorINSC_10device_ptrIKxEEEESI_EEEEESK_NSA_INS5_IJNSE_INSF_IxEEEESM_EEEEEPS7_SP_SP_NSC_11hip_rocprim7__merge17predicate_wrapperIxxNSC_7greaterIxEEEEEE10hipError_tPvRmT0_T1_T2_T3_T4_T5_mmT6_P12ihipStream_tbEUlT_E0_NS1_11comp_targetILNS1_3genE10ELNS1_11target_archE1201ELNS1_3gpuE5ELNS1_3repE0EEENS1_30default_config_static_selectorELNS0_4arch9wavefront6targetE0EEEvS10_
	.p2align	8
	.type	_ZN7rocprim17ROCPRIM_400000_NS6detail17trampoline_kernelINS0_14default_configENS1_21merge_config_selectorINS0_5tupleIJxxEEENS0_10empty_typeEEEZNS1_10merge_implIS3_NS0_12zip_iteratorINS5_IJN6thrust23THRUST_200600_302600_NS6detail15normal_iteratorINSC_10device_ptrIKxEEEESI_EEEEESK_NSA_INS5_IJNSE_INSF_IxEEEESM_EEEEEPS7_SP_SP_NSC_11hip_rocprim7__merge17predicate_wrapperIxxNSC_7greaterIxEEEEEE10hipError_tPvRmT0_T1_T2_T3_T4_T5_mmT6_P12ihipStream_tbEUlT_E0_NS1_11comp_targetILNS1_3genE10ELNS1_11target_archE1201ELNS1_3gpuE5ELNS1_3repE0EEENS1_30default_config_static_selectorELNS0_4arch9wavefront6targetE0EEEvS10_,@function
_ZN7rocprim17ROCPRIM_400000_NS6detail17trampoline_kernelINS0_14default_configENS1_21merge_config_selectorINS0_5tupleIJxxEEENS0_10empty_typeEEEZNS1_10merge_implIS3_NS0_12zip_iteratorINS5_IJN6thrust23THRUST_200600_302600_NS6detail15normal_iteratorINSC_10device_ptrIKxEEEESI_EEEEESK_NSA_INS5_IJNSE_INSF_IxEEEESM_EEEEEPS7_SP_SP_NSC_11hip_rocprim7__merge17predicate_wrapperIxxNSC_7greaterIxEEEEEE10hipError_tPvRmT0_T1_T2_T3_T4_T5_mmT6_P12ihipStream_tbEUlT_E0_NS1_11comp_targetILNS1_3genE10ELNS1_11target_archE1201ELNS1_3gpuE5ELNS1_3repE0EEENS1_30default_config_static_selectorELNS0_4arch9wavefront6targetE0EEEvS10_: ; @_ZN7rocprim17ROCPRIM_400000_NS6detail17trampoline_kernelINS0_14default_configENS1_21merge_config_selectorINS0_5tupleIJxxEEENS0_10empty_typeEEEZNS1_10merge_implIS3_NS0_12zip_iteratorINS5_IJN6thrust23THRUST_200600_302600_NS6detail15normal_iteratorINSC_10device_ptrIKxEEEESI_EEEEESK_NSA_INS5_IJNSE_INSF_IxEEEESM_EEEEEPS7_SP_SP_NSC_11hip_rocprim7__merge17predicate_wrapperIxxNSC_7greaterIxEEEEEE10hipError_tPvRmT0_T1_T2_T3_T4_T5_mmT6_P12ihipStream_tbEUlT_E0_NS1_11comp_targetILNS1_3genE10ELNS1_11target_archE1201ELNS1_3gpuE5ELNS1_3repE0EEENS1_30default_config_static_selectorELNS0_4arch9wavefront6targetE0EEEvS10_
; %bb.0:
	.section	.rodata,"a",@progbits
	.p2align	6, 0x0
	.amdhsa_kernel _ZN7rocprim17ROCPRIM_400000_NS6detail17trampoline_kernelINS0_14default_configENS1_21merge_config_selectorINS0_5tupleIJxxEEENS0_10empty_typeEEEZNS1_10merge_implIS3_NS0_12zip_iteratorINS5_IJN6thrust23THRUST_200600_302600_NS6detail15normal_iteratorINSC_10device_ptrIKxEEEESI_EEEEESK_NSA_INS5_IJNSE_INSF_IxEEEESM_EEEEEPS7_SP_SP_NSC_11hip_rocprim7__merge17predicate_wrapperIxxNSC_7greaterIxEEEEEE10hipError_tPvRmT0_T1_T2_T3_T4_T5_mmT6_P12ihipStream_tbEUlT_E0_NS1_11comp_targetILNS1_3genE10ELNS1_11target_archE1201ELNS1_3gpuE5ELNS1_3repE0EEENS1_30default_config_static_selectorELNS0_4arch9wavefront6targetE0EEEvS10_
		.amdhsa_group_segment_fixed_size 0
		.amdhsa_private_segment_fixed_size 0
		.amdhsa_kernarg_size 112
		.amdhsa_user_sgpr_count 6
		.amdhsa_user_sgpr_private_segment_buffer 1
		.amdhsa_user_sgpr_dispatch_ptr 0
		.amdhsa_user_sgpr_queue_ptr 0
		.amdhsa_user_sgpr_kernarg_segment_ptr 1
		.amdhsa_user_sgpr_dispatch_id 0
		.amdhsa_user_sgpr_flat_scratch_init 0
		.amdhsa_user_sgpr_private_segment_size 0
		.amdhsa_wavefront_size32 1
		.amdhsa_uses_dynamic_stack 0
		.amdhsa_system_sgpr_private_segment_wavefront_offset 0
		.amdhsa_system_sgpr_workgroup_id_x 1
		.amdhsa_system_sgpr_workgroup_id_y 0
		.amdhsa_system_sgpr_workgroup_id_z 0
		.amdhsa_system_sgpr_workgroup_info 0
		.amdhsa_system_vgpr_workitem_id 0
		.amdhsa_next_free_vgpr 1
		.amdhsa_next_free_sgpr 1
		.amdhsa_reserve_vcc 0
		.amdhsa_reserve_flat_scratch 0
		.amdhsa_float_round_mode_32 0
		.amdhsa_float_round_mode_16_64 0
		.amdhsa_float_denorm_mode_32 3
		.amdhsa_float_denorm_mode_16_64 3
		.amdhsa_dx10_clamp 1
		.amdhsa_ieee_mode 1
		.amdhsa_fp16_overflow 0
		.amdhsa_workgroup_processor_mode 1
		.amdhsa_memory_ordered 1
		.amdhsa_forward_progress 1
		.amdhsa_shared_vgpr_count 0
		.amdhsa_exception_fp_ieee_invalid_op 0
		.amdhsa_exception_fp_denorm_src 0
		.amdhsa_exception_fp_ieee_div_zero 0
		.amdhsa_exception_fp_ieee_overflow 0
		.amdhsa_exception_fp_ieee_underflow 0
		.amdhsa_exception_fp_ieee_inexact 0
		.amdhsa_exception_int_div_zero 0
	.end_amdhsa_kernel
	.section	.text._ZN7rocprim17ROCPRIM_400000_NS6detail17trampoline_kernelINS0_14default_configENS1_21merge_config_selectorINS0_5tupleIJxxEEENS0_10empty_typeEEEZNS1_10merge_implIS3_NS0_12zip_iteratorINS5_IJN6thrust23THRUST_200600_302600_NS6detail15normal_iteratorINSC_10device_ptrIKxEEEESI_EEEEESK_NSA_INS5_IJNSE_INSF_IxEEEESM_EEEEEPS7_SP_SP_NSC_11hip_rocprim7__merge17predicate_wrapperIxxNSC_7greaterIxEEEEEE10hipError_tPvRmT0_T1_T2_T3_T4_T5_mmT6_P12ihipStream_tbEUlT_E0_NS1_11comp_targetILNS1_3genE10ELNS1_11target_archE1201ELNS1_3gpuE5ELNS1_3repE0EEENS1_30default_config_static_selectorELNS0_4arch9wavefront6targetE0EEEvS10_,"axG",@progbits,_ZN7rocprim17ROCPRIM_400000_NS6detail17trampoline_kernelINS0_14default_configENS1_21merge_config_selectorINS0_5tupleIJxxEEENS0_10empty_typeEEEZNS1_10merge_implIS3_NS0_12zip_iteratorINS5_IJN6thrust23THRUST_200600_302600_NS6detail15normal_iteratorINSC_10device_ptrIKxEEEESI_EEEEESK_NSA_INS5_IJNSE_INSF_IxEEEESM_EEEEEPS7_SP_SP_NSC_11hip_rocprim7__merge17predicate_wrapperIxxNSC_7greaterIxEEEEEE10hipError_tPvRmT0_T1_T2_T3_T4_T5_mmT6_P12ihipStream_tbEUlT_E0_NS1_11comp_targetILNS1_3genE10ELNS1_11target_archE1201ELNS1_3gpuE5ELNS1_3repE0EEENS1_30default_config_static_selectorELNS0_4arch9wavefront6targetE0EEEvS10_,comdat
.Lfunc_end421:
	.size	_ZN7rocprim17ROCPRIM_400000_NS6detail17trampoline_kernelINS0_14default_configENS1_21merge_config_selectorINS0_5tupleIJxxEEENS0_10empty_typeEEEZNS1_10merge_implIS3_NS0_12zip_iteratorINS5_IJN6thrust23THRUST_200600_302600_NS6detail15normal_iteratorINSC_10device_ptrIKxEEEESI_EEEEESK_NSA_INS5_IJNSE_INSF_IxEEEESM_EEEEEPS7_SP_SP_NSC_11hip_rocprim7__merge17predicate_wrapperIxxNSC_7greaterIxEEEEEE10hipError_tPvRmT0_T1_T2_T3_T4_T5_mmT6_P12ihipStream_tbEUlT_E0_NS1_11comp_targetILNS1_3genE10ELNS1_11target_archE1201ELNS1_3gpuE5ELNS1_3repE0EEENS1_30default_config_static_selectorELNS0_4arch9wavefront6targetE0EEEvS10_, .Lfunc_end421-_ZN7rocprim17ROCPRIM_400000_NS6detail17trampoline_kernelINS0_14default_configENS1_21merge_config_selectorINS0_5tupleIJxxEEENS0_10empty_typeEEEZNS1_10merge_implIS3_NS0_12zip_iteratorINS5_IJN6thrust23THRUST_200600_302600_NS6detail15normal_iteratorINSC_10device_ptrIKxEEEESI_EEEEESK_NSA_INS5_IJNSE_INSF_IxEEEESM_EEEEEPS7_SP_SP_NSC_11hip_rocprim7__merge17predicate_wrapperIxxNSC_7greaterIxEEEEEE10hipError_tPvRmT0_T1_T2_T3_T4_T5_mmT6_P12ihipStream_tbEUlT_E0_NS1_11comp_targetILNS1_3genE10ELNS1_11target_archE1201ELNS1_3gpuE5ELNS1_3repE0EEENS1_30default_config_static_selectorELNS0_4arch9wavefront6targetE0EEEvS10_
                                        ; -- End function
	.set _ZN7rocprim17ROCPRIM_400000_NS6detail17trampoline_kernelINS0_14default_configENS1_21merge_config_selectorINS0_5tupleIJxxEEENS0_10empty_typeEEEZNS1_10merge_implIS3_NS0_12zip_iteratorINS5_IJN6thrust23THRUST_200600_302600_NS6detail15normal_iteratorINSC_10device_ptrIKxEEEESI_EEEEESK_NSA_INS5_IJNSE_INSF_IxEEEESM_EEEEEPS7_SP_SP_NSC_11hip_rocprim7__merge17predicate_wrapperIxxNSC_7greaterIxEEEEEE10hipError_tPvRmT0_T1_T2_T3_T4_T5_mmT6_P12ihipStream_tbEUlT_E0_NS1_11comp_targetILNS1_3genE10ELNS1_11target_archE1201ELNS1_3gpuE5ELNS1_3repE0EEENS1_30default_config_static_selectorELNS0_4arch9wavefront6targetE0EEEvS10_.num_vgpr, 0
	.set _ZN7rocprim17ROCPRIM_400000_NS6detail17trampoline_kernelINS0_14default_configENS1_21merge_config_selectorINS0_5tupleIJxxEEENS0_10empty_typeEEEZNS1_10merge_implIS3_NS0_12zip_iteratorINS5_IJN6thrust23THRUST_200600_302600_NS6detail15normal_iteratorINSC_10device_ptrIKxEEEESI_EEEEESK_NSA_INS5_IJNSE_INSF_IxEEEESM_EEEEEPS7_SP_SP_NSC_11hip_rocprim7__merge17predicate_wrapperIxxNSC_7greaterIxEEEEEE10hipError_tPvRmT0_T1_T2_T3_T4_T5_mmT6_P12ihipStream_tbEUlT_E0_NS1_11comp_targetILNS1_3genE10ELNS1_11target_archE1201ELNS1_3gpuE5ELNS1_3repE0EEENS1_30default_config_static_selectorELNS0_4arch9wavefront6targetE0EEEvS10_.num_agpr, 0
	.set _ZN7rocprim17ROCPRIM_400000_NS6detail17trampoline_kernelINS0_14default_configENS1_21merge_config_selectorINS0_5tupleIJxxEEENS0_10empty_typeEEEZNS1_10merge_implIS3_NS0_12zip_iteratorINS5_IJN6thrust23THRUST_200600_302600_NS6detail15normal_iteratorINSC_10device_ptrIKxEEEESI_EEEEESK_NSA_INS5_IJNSE_INSF_IxEEEESM_EEEEEPS7_SP_SP_NSC_11hip_rocprim7__merge17predicate_wrapperIxxNSC_7greaterIxEEEEEE10hipError_tPvRmT0_T1_T2_T3_T4_T5_mmT6_P12ihipStream_tbEUlT_E0_NS1_11comp_targetILNS1_3genE10ELNS1_11target_archE1201ELNS1_3gpuE5ELNS1_3repE0EEENS1_30default_config_static_selectorELNS0_4arch9wavefront6targetE0EEEvS10_.numbered_sgpr, 0
	.set _ZN7rocprim17ROCPRIM_400000_NS6detail17trampoline_kernelINS0_14default_configENS1_21merge_config_selectorINS0_5tupleIJxxEEENS0_10empty_typeEEEZNS1_10merge_implIS3_NS0_12zip_iteratorINS5_IJN6thrust23THRUST_200600_302600_NS6detail15normal_iteratorINSC_10device_ptrIKxEEEESI_EEEEESK_NSA_INS5_IJNSE_INSF_IxEEEESM_EEEEEPS7_SP_SP_NSC_11hip_rocprim7__merge17predicate_wrapperIxxNSC_7greaterIxEEEEEE10hipError_tPvRmT0_T1_T2_T3_T4_T5_mmT6_P12ihipStream_tbEUlT_E0_NS1_11comp_targetILNS1_3genE10ELNS1_11target_archE1201ELNS1_3gpuE5ELNS1_3repE0EEENS1_30default_config_static_selectorELNS0_4arch9wavefront6targetE0EEEvS10_.num_named_barrier, 0
	.set _ZN7rocprim17ROCPRIM_400000_NS6detail17trampoline_kernelINS0_14default_configENS1_21merge_config_selectorINS0_5tupleIJxxEEENS0_10empty_typeEEEZNS1_10merge_implIS3_NS0_12zip_iteratorINS5_IJN6thrust23THRUST_200600_302600_NS6detail15normal_iteratorINSC_10device_ptrIKxEEEESI_EEEEESK_NSA_INS5_IJNSE_INSF_IxEEEESM_EEEEEPS7_SP_SP_NSC_11hip_rocprim7__merge17predicate_wrapperIxxNSC_7greaterIxEEEEEE10hipError_tPvRmT0_T1_T2_T3_T4_T5_mmT6_P12ihipStream_tbEUlT_E0_NS1_11comp_targetILNS1_3genE10ELNS1_11target_archE1201ELNS1_3gpuE5ELNS1_3repE0EEENS1_30default_config_static_selectorELNS0_4arch9wavefront6targetE0EEEvS10_.private_seg_size, 0
	.set _ZN7rocprim17ROCPRIM_400000_NS6detail17trampoline_kernelINS0_14default_configENS1_21merge_config_selectorINS0_5tupleIJxxEEENS0_10empty_typeEEEZNS1_10merge_implIS3_NS0_12zip_iteratorINS5_IJN6thrust23THRUST_200600_302600_NS6detail15normal_iteratorINSC_10device_ptrIKxEEEESI_EEEEESK_NSA_INS5_IJNSE_INSF_IxEEEESM_EEEEEPS7_SP_SP_NSC_11hip_rocprim7__merge17predicate_wrapperIxxNSC_7greaterIxEEEEEE10hipError_tPvRmT0_T1_T2_T3_T4_T5_mmT6_P12ihipStream_tbEUlT_E0_NS1_11comp_targetILNS1_3genE10ELNS1_11target_archE1201ELNS1_3gpuE5ELNS1_3repE0EEENS1_30default_config_static_selectorELNS0_4arch9wavefront6targetE0EEEvS10_.uses_vcc, 0
	.set _ZN7rocprim17ROCPRIM_400000_NS6detail17trampoline_kernelINS0_14default_configENS1_21merge_config_selectorINS0_5tupleIJxxEEENS0_10empty_typeEEEZNS1_10merge_implIS3_NS0_12zip_iteratorINS5_IJN6thrust23THRUST_200600_302600_NS6detail15normal_iteratorINSC_10device_ptrIKxEEEESI_EEEEESK_NSA_INS5_IJNSE_INSF_IxEEEESM_EEEEEPS7_SP_SP_NSC_11hip_rocprim7__merge17predicate_wrapperIxxNSC_7greaterIxEEEEEE10hipError_tPvRmT0_T1_T2_T3_T4_T5_mmT6_P12ihipStream_tbEUlT_E0_NS1_11comp_targetILNS1_3genE10ELNS1_11target_archE1201ELNS1_3gpuE5ELNS1_3repE0EEENS1_30default_config_static_selectorELNS0_4arch9wavefront6targetE0EEEvS10_.uses_flat_scratch, 0
	.set _ZN7rocprim17ROCPRIM_400000_NS6detail17trampoline_kernelINS0_14default_configENS1_21merge_config_selectorINS0_5tupleIJxxEEENS0_10empty_typeEEEZNS1_10merge_implIS3_NS0_12zip_iteratorINS5_IJN6thrust23THRUST_200600_302600_NS6detail15normal_iteratorINSC_10device_ptrIKxEEEESI_EEEEESK_NSA_INS5_IJNSE_INSF_IxEEEESM_EEEEEPS7_SP_SP_NSC_11hip_rocprim7__merge17predicate_wrapperIxxNSC_7greaterIxEEEEEE10hipError_tPvRmT0_T1_T2_T3_T4_T5_mmT6_P12ihipStream_tbEUlT_E0_NS1_11comp_targetILNS1_3genE10ELNS1_11target_archE1201ELNS1_3gpuE5ELNS1_3repE0EEENS1_30default_config_static_selectorELNS0_4arch9wavefront6targetE0EEEvS10_.has_dyn_sized_stack, 0
	.set _ZN7rocprim17ROCPRIM_400000_NS6detail17trampoline_kernelINS0_14default_configENS1_21merge_config_selectorINS0_5tupleIJxxEEENS0_10empty_typeEEEZNS1_10merge_implIS3_NS0_12zip_iteratorINS5_IJN6thrust23THRUST_200600_302600_NS6detail15normal_iteratorINSC_10device_ptrIKxEEEESI_EEEEESK_NSA_INS5_IJNSE_INSF_IxEEEESM_EEEEEPS7_SP_SP_NSC_11hip_rocprim7__merge17predicate_wrapperIxxNSC_7greaterIxEEEEEE10hipError_tPvRmT0_T1_T2_T3_T4_T5_mmT6_P12ihipStream_tbEUlT_E0_NS1_11comp_targetILNS1_3genE10ELNS1_11target_archE1201ELNS1_3gpuE5ELNS1_3repE0EEENS1_30default_config_static_selectorELNS0_4arch9wavefront6targetE0EEEvS10_.has_recursion, 0
	.set _ZN7rocprim17ROCPRIM_400000_NS6detail17trampoline_kernelINS0_14default_configENS1_21merge_config_selectorINS0_5tupleIJxxEEENS0_10empty_typeEEEZNS1_10merge_implIS3_NS0_12zip_iteratorINS5_IJN6thrust23THRUST_200600_302600_NS6detail15normal_iteratorINSC_10device_ptrIKxEEEESI_EEEEESK_NSA_INS5_IJNSE_INSF_IxEEEESM_EEEEEPS7_SP_SP_NSC_11hip_rocprim7__merge17predicate_wrapperIxxNSC_7greaterIxEEEEEE10hipError_tPvRmT0_T1_T2_T3_T4_T5_mmT6_P12ihipStream_tbEUlT_E0_NS1_11comp_targetILNS1_3genE10ELNS1_11target_archE1201ELNS1_3gpuE5ELNS1_3repE0EEENS1_30default_config_static_selectorELNS0_4arch9wavefront6targetE0EEEvS10_.has_indirect_call, 0
	.section	.AMDGPU.csdata,"",@progbits
; Kernel info:
; codeLenInByte = 0
; TotalNumSgprs: 0
; NumVgprs: 0
; ScratchSize: 0
; MemoryBound: 0
; FloatMode: 240
; IeeeMode: 1
; LDSByteSize: 0 bytes/workgroup (compile time only)
; SGPRBlocks: 0
; VGPRBlocks: 0
; NumSGPRsForWavesPerEU: 1
; NumVGPRsForWavesPerEU: 1
; Occupancy: 16
; WaveLimiterHint : 0
; COMPUTE_PGM_RSRC2:SCRATCH_EN: 0
; COMPUTE_PGM_RSRC2:USER_SGPR: 6
; COMPUTE_PGM_RSRC2:TRAP_HANDLER: 0
; COMPUTE_PGM_RSRC2:TGID_X_EN: 1
; COMPUTE_PGM_RSRC2:TGID_Y_EN: 0
; COMPUTE_PGM_RSRC2:TGID_Z_EN: 0
; COMPUTE_PGM_RSRC2:TIDIG_COMP_CNT: 0
	.section	.text._ZN7rocprim17ROCPRIM_400000_NS6detail17trampoline_kernelINS0_14default_configENS1_21merge_config_selectorINS0_5tupleIJxxEEENS0_10empty_typeEEEZNS1_10merge_implIS3_NS0_12zip_iteratorINS5_IJN6thrust23THRUST_200600_302600_NS6detail15normal_iteratorINSC_10device_ptrIKxEEEESI_EEEEESK_NSA_INS5_IJNSE_INSF_IxEEEESM_EEEEEPS7_SP_SP_NSC_11hip_rocprim7__merge17predicate_wrapperIxxNSC_7greaterIxEEEEEE10hipError_tPvRmT0_T1_T2_T3_T4_T5_mmT6_P12ihipStream_tbEUlT_E0_NS1_11comp_targetILNS1_3genE10ELNS1_11target_archE1200ELNS1_3gpuE4ELNS1_3repE0EEENS1_30default_config_static_selectorELNS0_4arch9wavefront6targetE0EEEvS10_,"axG",@progbits,_ZN7rocprim17ROCPRIM_400000_NS6detail17trampoline_kernelINS0_14default_configENS1_21merge_config_selectorINS0_5tupleIJxxEEENS0_10empty_typeEEEZNS1_10merge_implIS3_NS0_12zip_iteratorINS5_IJN6thrust23THRUST_200600_302600_NS6detail15normal_iteratorINSC_10device_ptrIKxEEEESI_EEEEESK_NSA_INS5_IJNSE_INSF_IxEEEESM_EEEEEPS7_SP_SP_NSC_11hip_rocprim7__merge17predicate_wrapperIxxNSC_7greaterIxEEEEEE10hipError_tPvRmT0_T1_T2_T3_T4_T5_mmT6_P12ihipStream_tbEUlT_E0_NS1_11comp_targetILNS1_3genE10ELNS1_11target_archE1200ELNS1_3gpuE4ELNS1_3repE0EEENS1_30default_config_static_selectorELNS0_4arch9wavefront6targetE0EEEvS10_,comdat
	.protected	_ZN7rocprim17ROCPRIM_400000_NS6detail17trampoline_kernelINS0_14default_configENS1_21merge_config_selectorINS0_5tupleIJxxEEENS0_10empty_typeEEEZNS1_10merge_implIS3_NS0_12zip_iteratorINS5_IJN6thrust23THRUST_200600_302600_NS6detail15normal_iteratorINSC_10device_ptrIKxEEEESI_EEEEESK_NSA_INS5_IJNSE_INSF_IxEEEESM_EEEEEPS7_SP_SP_NSC_11hip_rocprim7__merge17predicate_wrapperIxxNSC_7greaterIxEEEEEE10hipError_tPvRmT0_T1_T2_T3_T4_T5_mmT6_P12ihipStream_tbEUlT_E0_NS1_11comp_targetILNS1_3genE10ELNS1_11target_archE1200ELNS1_3gpuE4ELNS1_3repE0EEENS1_30default_config_static_selectorELNS0_4arch9wavefront6targetE0EEEvS10_ ; -- Begin function _ZN7rocprim17ROCPRIM_400000_NS6detail17trampoline_kernelINS0_14default_configENS1_21merge_config_selectorINS0_5tupleIJxxEEENS0_10empty_typeEEEZNS1_10merge_implIS3_NS0_12zip_iteratorINS5_IJN6thrust23THRUST_200600_302600_NS6detail15normal_iteratorINSC_10device_ptrIKxEEEESI_EEEEESK_NSA_INS5_IJNSE_INSF_IxEEEESM_EEEEEPS7_SP_SP_NSC_11hip_rocprim7__merge17predicate_wrapperIxxNSC_7greaterIxEEEEEE10hipError_tPvRmT0_T1_T2_T3_T4_T5_mmT6_P12ihipStream_tbEUlT_E0_NS1_11comp_targetILNS1_3genE10ELNS1_11target_archE1200ELNS1_3gpuE4ELNS1_3repE0EEENS1_30default_config_static_selectorELNS0_4arch9wavefront6targetE0EEEvS10_
	.globl	_ZN7rocprim17ROCPRIM_400000_NS6detail17trampoline_kernelINS0_14default_configENS1_21merge_config_selectorINS0_5tupleIJxxEEENS0_10empty_typeEEEZNS1_10merge_implIS3_NS0_12zip_iteratorINS5_IJN6thrust23THRUST_200600_302600_NS6detail15normal_iteratorINSC_10device_ptrIKxEEEESI_EEEEESK_NSA_INS5_IJNSE_INSF_IxEEEESM_EEEEEPS7_SP_SP_NSC_11hip_rocprim7__merge17predicate_wrapperIxxNSC_7greaterIxEEEEEE10hipError_tPvRmT0_T1_T2_T3_T4_T5_mmT6_P12ihipStream_tbEUlT_E0_NS1_11comp_targetILNS1_3genE10ELNS1_11target_archE1200ELNS1_3gpuE4ELNS1_3repE0EEENS1_30default_config_static_selectorELNS0_4arch9wavefront6targetE0EEEvS10_
	.p2align	8
	.type	_ZN7rocprim17ROCPRIM_400000_NS6detail17trampoline_kernelINS0_14default_configENS1_21merge_config_selectorINS0_5tupleIJxxEEENS0_10empty_typeEEEZNS1_10merge_implIS3_NS0_12zip_iteratorINS5_IJN6thrust23THRUST_200600_302600_NS6detail15normal_iteratorINSC_10device_ptrIKxEEEESI_EEEEESK_NSA_INS5_IJNSE_INSF_IxEEEESM_EEEEEPS7_SP_SP_NSC_11hip_rocprim7__merge17predicate_wrapperIxxNSC_7greaterIxEEEEEE10hipError_tPvRmT0_T1_T2_T3_T4_T5_mmT6_P12ihipStream_tbEUlT_E0_NS1_11comp_targetILNS1_3genE10ELNS1_11target_archE1200ELNS1_3gpuE4ELNS1_3repE0EEENS1_30default_config_static_selectorELNS0_4arch9wavefront6targetE0EEEvS10_,@function
_ZN7rocprim17ROCPRIM_400000_NS6detail17trampoline_kernelINS0_14default_configENS1_21merge_config_selectorINS0_5tupleIJxxEEENS0_10empty_typeEEEZNS1_10merge_implIS3_NS0_12zip_iteratorINS5_IJN6thrust23THRUST_200600_302600_NS6detail15normal_iteratorINSC_10device_ptrIKxEEEESI_EEEEESK_NSA_INS5_IJNSE_INSF_IxEEEESM_EEEEEPS7_SP_SP_NSC_11hip_rocprim7__merge17predicate_wrapperIxxNSC_7greaterIxEEEEEE10hipError_tPvRmT0_T1_T2_T3_T4_T5_mmT6_P12ihipStream_tbEUlT_E0_NS1_11comp_targetILNS1_3genE10ELNS1_11target_archE1200ELNS1_3gpuE4ELNS1_3repE0EEENS1_30default_config_static_selectorELNS0_4arch9wavefront6targetE0EEEvS10_: ; @_ZN7rocprim17ROCPRIM_400000_NS6detail17trampoline_kernelINS0_14default_configENS1_21merge_config_selectorINS0_5tupleIJxxEEENS0_10empty_typeEEEZNS1_10merge_implIS3_NS0_12zip_iteratorINS5_IJN6thrust23THRUST_200600_302600_NS6detail15normal_iteratorINSC_10device_ptrIKxEEEESI_EEEEESK_NSA_INS5_IJNSE_INSF_IxEEEESM_EEEEEPS7_SP_SP_NSC_11hip_rocprim7__merge17predicate_wrapperIxxNSC_7greaterIxEEEEEE10hipError_tPvRmT0_T1_T2_T3_T4_T5_mmT6_P12ihipStream_tbEUlT_E0_NS1_11comp_targetILNS1_3genE10ELNS1_11target_archE1200ELNS1_3gpuE4ELNS1_3repE0EEENS1_30default_config_static_selectorELNS0_4arch9wavefront6targetE0EEEvS10_
; %bb.0:
	.section	.rodata,"a",@progbits
	.p2align	6, 0x0
	.amdhsa_kernel _ZN7rocprim17ROCPRIM_400000_NS6detail17trampoline_kernelINS0_14default_configENS1_21merge_config_selectorINS0_5tupleIJxxEEENS0_10empty_typeEEEZNS1_10merge_implIS3_NS0_12zip_iteratorINS5_IJN6thrust23THRUST_200600_302600_NS6detail15normal_iteratorINSC_10device_ptrIKxEEEESI_EEEEESK_NSA_INS5_IJNSE_INSF_IxEEEESM_EEEEEPS7_SP_SP_NSC_11hip_rocprim7__merge17predicate_wrapperIxxNSC_7greaterIxEEEEEE10hipError_tPvRmT0_T1_T2_T3_T4_T5_mmT6_P12ihipStream_tbEUlT_E0_NS1_11comp_targetILNS1_3genE10ELNS1_11target_archE1200ELNS1_3gpuE4ELNS1_3repE0EEENS1_30default_config_static_selectorELNS0_4arch9wavefront6targetE0EEEvS10_
		.amdhsa_group_segment_fixed_size 0
		.amdhsa_private_segment_fixed_size 0
		.amdhsa_kernarg_size 112
		.amdhsa_user_sgpr_count 6
		.amdhsa_user_sgpr_private_segment_buffer 1
		.amdhsa_user_sgpr_dispatch_ptr 0
		.amdhsa_user_sgpr_queue_ptr 0
		.amdhsa_user_sgpr_kernarg_segment_ptr 1
		.amdhsa_user_sgpr_dispatch_id 0
		.amdhsa_user_sgpr_flat_scratch_init 0
		.amdhsa_user_sgpr_private_segment_size 0
		.amdhsa_wavefront_size32 1
		.amdhsa_uses_dynamic_stack 0
		.amdhsa_system_sgpr_private_segment_wavefront_offset 0
		.amdhsa_system_sgpr_workgroup_id_x 1
		.amdhsa_system_sgpr_workgroup_id_y 0
		.amdhsa_system_sgpr_workgroup_id_z 0
		.amdhsa_system_sgpr_workgroup_info 0
		.amdhsa_system_vgpr_workitem_id 0
		.amdhsa_next_free_vgpr 1
		.amdhsa_next_free_sgpr 1
		.amdhsa_reserve_vcc 0
		.amdhsa_reserve_flat_scratch 0
		.amdhsa_float_round_mode_32 0
		.amdhsa_float_round_mode_16_64 0
		.amdhsa_float_denorm_mode_32 3
		.amdhsa_float_denorm_mode_16_64 3
		.amdhsa_dx10_clamp 1
		.amdhsa_ieee_mode 1
		.amdhsa_fp16_overflow 0
		.amdhsa_workgroup_processor_mode 1
		.amdhsa_memory_ordered 1
		.amdhsa_forward_progress 1
		.amdhsa_shared_vgpr_count 0
		.amdhsa_exception_fp_ieee_invalid_op 0
		.amdhsa_exception_fp_denorm_src 0
		.amdhsa_exception_fp_ieee_div_zero 0
		.amdhsa_exception_fp_ieee_overflow 0
		.amdhsa_exception_fp_ieee_underflow 0
		.amdhsa_exception_fp_ieee_inexact 0
		.amdhsa_exception_int_div_zero 0
	.end_amdhsa_kernel
	.section	.text._ZN7rocprim17ROCPRIM_400000_NS6detail17trampoline_kernelINS0_14default_configENS1_21merge_config_selectorINS0_5tupleIJxxEEENS0_10empty_typeEEEZNS1_10merge_implIS3_NS0_12zip_iteratorINS5_IJN6thrust23THRUST_200600_302600_NS6detail15normal_iteratorINSC_10device_ptrIKxEEEESI_EEEEESK_NSA_INS5_IJNSE_INSF_IxEEEESM_EEEEEPS7_SP_SP_NSC_11hip_rocprim7__merge17predicate_wrapperIxxNSC_7greaterIxEEEEEE10hipError_tPvRmT0_T1_T2_T3_T4_T5_mmT6_P12ihipStream_tbEUlT_E0_NS1_11comp_targetILNS1_3genE10ELNS1_11target_archE1200ELNS1_3gpuE4ELNS1_3repE0EEENS1_30default_config_static_selectorELNS0_4arch9wavefront6targetE0EEEvS10_,"axG",@progbits,_ZN7rocprim17ROCPRIM_400000_NS6detail17trampoline_kernelINS0_14default_configENS1_21merge_config_selectorINS0_5tupleIJxxEEENS0_10empty_typeEEEZNS1_10merge_implIS3_NS0_12zip_iteratorINS5_IJN6thrust23THRUST_200600_302600_NS6detail15normal_iteratorINSC_10device_ptrIKxEEEESI_EEEEESK_NSA_INS5_IJNSE_INSF_IxEEEESM_EEEEEPS7_SP_SP_NSC_11hip_rocprim7__merge17predicate_wrapperIxxNSC_7greaterIxEEEEEE10hipError_tPvRmT0_T1_T2_T3_T4_T5_mmT6_P12ihipStream_tbEUlT_E0_NS1_11comp_targetILNS1_3genE10ELNS1_11target_archE1200ELNS1_3gpuE4ELNS1_3repE0EEENS1_30default_config_static_selectorELNS0_4arch9wavefront6targetE0EEEvS10_,comdat
.Lfunc_end422:
	.size	_ZN7rocprim17ROCPRIM_400000_NS6detail17trampoline_kernelINS0_14default_configENS1_21merge_config_selectorINS0_5tupleIJxxEEENS0_10empty_typeEEEZNS1_10merge_implIS3_NS0_12zip_iteratorINS5_IJN6thrust23THRUST_200600_302600_NS6detail15normal_iteratorINSC_10device_ptrIKxEEEESI_EEEEESK_NSA_INS5_IJNSE_INSF_IxEEEESM_EEEEEPS7_SP_SP_NSC_11hip_rocprim7__merge17predicate_wrapperIxxNSC_7greaterIxEEEEEE10hipError_tPvRmT0_T1_T2_T3_T4_T5_mmT6_P12ihipStream_tbEUlT_E0_NS1_11comp_targetILNS1_3genE10ELNS1_11target_archE1200ELNS1_3gpuE4ELNS1_3repE0EEENS1_30default_config_static_selectorELNS0_4arch9wavefront6targetE0EEEvS10_, .Lfunc_end422-_ZN7rocprim17ROCPRIM_400000_NS6detail17trampoline_kernelINS0_14default_configENS1_21merge_config_selectorINS0_5tupleIJxxEEENS0_10empty_typeEEEZNS1_10merge_implIS3_NS0_12zip_iteratorINS5_IJN6thrust23THRUST_200600_302600_NS6detail15normal_iteratorINSC_10device_ptrIKxEEEESI_EEEEESK_NSA_INS5_IJNSE_INSF_IxEEEESM_EEEEEPS7_SP_SP_NSC_11hip_rocprim7__merge17predicate_wrapperIxxNSC_7greaterIxEEEEEE10hipError_tPvRmT0_T1_T2_T3_T4_T5_mmT6_P12ihipStream_tbEUlT_E0_NS1_11comp_targetILNS1_3genE10ELNS1_11target_archE1200ELNS1_3gpuE4ELNS1_3repE0EEENS1_30default_config_static_selectorELNS0_4arch9wavefront6targetE0EEEvS10_
                                        ; -- End function
	.set _ZN7rocprim17ROCPRIM_400000_NS6detail17trampoline_kernelINS0_14default_configENS1_21merge_config_selectorINS0_5tupleIJxxEEENS0_10empty_typeEEEZNS1_10merge_implIS3_NS0_12zip_iteratorINS5_IJN6thrust23THRUST_200600_302600_NS6detail15normal_iteratorINSC_10device_ptrIKxEEEESI_EEEEESK_NSA_INS5_IJNSE_INSF_IxEEEESM_EEEEEPS7_SP_SP_NSC_11hip_rocprim7__merge17predicate_wrapperIxxNSC_7greaterIxEEEEEE10hipError_tPvRmT0_T1_T2_T3_T4_T5_mmT6_P12ihipStream_tbEUlT_E0_NS1_11comp_targetILNS1_3genE10ELNS1_11target_archE1200ELNS1_3gpuE4ELNS1_3repE0EEENS1_30default_config_static_selectorELNS0_4arch9wavefront6targetE0EEEvS10_.num_vgpr, 0
	.set _ZN7rocprim17ROCPRIM_400000_NS6detail17trampoline_kernelINS0_14default_configENS1_21merge_config_selectorINS0_5tupleIJxxEEENS0_10empty_typeEEEZNS1_10merge_implIS3_NS0_12zip_iteratorINS5_IJN6thrust23THRUST_200600_302600_NS6detail15normal_iteratorINSC_10device_ptrIKxEEEESI_EEEEESK_NSA_INS5_IJNSE_INSF_IxEEEESM_EEEEEPS7_SP_SP_NSC_11hip_rocprim7__merge17predicate_wrapperIxxNSC_7greaterIxEEEEEE10hipError_tPvRmT0_T1_T2_T3_T4_T5_mmT6_P12ihipStream_tbEUlT_E0_NS1_11comp_targetILNS1_3genE10ELNS1_11target_archE1200ELNS1_3gpuE4ELNS1_3repE0EEENS1_30default_config_static_selectorELNS0_4arch9wavefront6targetE0EEEvS10_.num_agpr, 0
	.set _ZN7rocprim17ROCPRIM_400000_NS6detail17trampoline_kernelINS0_14default_configENS1_21merge_config_selectorINS0_5tupleIJxxEEENS0_10empty_typeEEEZNS1_10merge_implIS3_NS0_12zip_iteratorINS5_IJN6thrust23THRUST_200600_302600_NS6detail15normal_iteratorINSC_10device_ptrIKxEEEESI_EEEEESK_NSA_INS5_IJNSE_INSF_IxEEEESM_EEEEEPS7_SP_SP_NSC_11hip_rocprim7__merge17predicate_wrapperIxxNSC_7greaterIxEEEEEE10hipError_tPvRmT0_T1_T2_T3_T4_T5_mmT6_P12ihipStream_tbEUlT_E0_NS1_11comp_targetILNS1_3genE10ELNS1_11target_archE1200ELNS1_3gpuE4ELNS1_3repE0EEENS1_30default_config_static_selectorELNS0_4arch9wavefront6targetE0EEEvS10_.numbered_sgpr, 0
	.set _ZN7rocprim17ROCPRIM_400000_NS6detail17trampoline_kernelINS0_14default_configENS1_21merge_config_selectorINS0_5tupleIJxxEEENS0_10empty_typeEEEZNS1_10merge_implIS3_NS0_12zip_iteratorINS5_IJN6thrust23THRUST_200600_302600_NS6detail15normal_iteratorINSC_10device_ptrIKxEEEESI_EEEEESK_NSA_INS5_IJNSE_INSF_IxEEEESM_EEEEEPS7_SP_SP_NSC_11hip_rocprim7__merge17predicate_wrapperIxxNSC_7greaterIxEEEEEE10hipError_tPvRmT0_T1_T2_T3_T4_T5_mmT6_P12ihipStream_tbEUlT_E0_NS1_11comp_targetILNS1_3genE10ELNS1_11target_archE1200ELNS1_3gpuE4ELNS1_3repE0EEENS1_30default_config_static_selectorELNS0_4arch9wavefront6targetE0EEEvS10_.num_named_barrier, 0
	.set _ZN7rocprim17ROCPRIM_400000_NS6detail17trampoline_kernelINS0_14default_configENS1_21merge_config_selectorINS0_5tupleIJxxEEENS0_10empty_typeEEEZNS1_10merge_implIS3_NS0_12zip_iteratorINS5_IJN6thrust23THRUST_200600_302600_NS6detail15normal_iteratorINSC_10device_ptrIKxEEEESI_EEEEESK_NSA_INS5_IJNSE_INSF_IxEEEESM_EEEEEPS7_SP_SP_NSC_11hip_rocprim7__merge17predicate_wrapperIxxNSC_7greaterIxEEEEEE10hipError_tPvRmT0_T1_T2_T3_T4_T5_mmT6_P12ihipStream_tbEUlT_E0_NS1_11comp_targetILNS1_3genE10ELNS1_11target_archE1200ELNS1_3gpuE4ELNS1_3repE0EEENS1_30default_config_static_selectorELNS0_4arch9wavefront6targetE0EEEvS10_.private_seg_size, 0
	.set _ZN7rocprim17ROCPRIM_400000_NS6detail17trampoline_kernelINS0_14default_configENS1_21merge_config_selectorINS0_5tupleIJxxEEENS0_10empty_typeEEEZNS1_10merge_implIS3_NS0_12zip_iteratorINS5_IJN6thrust23THRUST_200600_302600_NS6detail15normal_iteratorINSC_10device_ptrIKxEEEESI_EEEEESK_NSA_INS5_IJNSE_INSF_IxEEEESM_EEEEEPS7_SP_SP_NSC_11hip_rocprim7__merge17predicate_wrapperIxxNSC_7greaterIxEEEEEE10hipError_tPvRmT0_T1_T2_T3_T4_T5_mmT6_P12ihipStream_tbEUlT_E0_NS1_11comp_targetILNS1_3genE10ELNS1_11target_archE1200ELNS1_3gpuE4ELNS1_3repE0EEENS1_30default_config_static_selectorELNS0_4arch9wavefront6targetE0EEEvS10_.uses_vcc, 0
	.set _ZN7rocprim17ROCPRIM_400000_NS6detail17trampoline_kernelINS0_14default_configENS1_21merge_config_selectorINS0_5tupleIJxxEEENS0_10empty_typeEEEZNS1_10merge_implIS3_NS0_12zip_iteratorINS5_IJN6thrust23THRUST_200600_302600_NS6detail15normal_iteratorINSC_10device_ptrIKxEEEESI_EEEEESK_NSA_INS5_IJNSE_INSF_IxEEEESM_EEEEEPS7_SP_SP_NSC_11hip_rocprim7__merge17predicate_wrapperIxxNSC_7greaterIxEEEEEE10hipError_tPvRmT0_T1_T2_T3_T4_T5_mmT6_P12ihipStream_tbEUlT_E0_NS1_11comp_targetILNS1_3genE10ELNS1_11target_archE1200ELNS1_3gpuE4ELNS1_3repE0EEENS1_30default_config_static_selectorELNS0_4arch9wavefront6targetE0EEEvS10_.uses_flat_scratch, 0
	.set _ZN7rocprim17ROCPRIM_400000_NS6detail17trampoline_kernelINS0_14default_configENS1_21merge_config_selectorINS0_5tupleIJxxEEENS0_10empty_typeEEEZNS1_10merge_implIS3_NS0_12zip_iteratorINS5_IJN6thrust23THRUST_200600_302600_NS6detail15normal_iteratorINSC_10device_ptrIKxEEEESI_EEEEESK_NSA_INS5_IJNSE_INSF_IxEEEESM_EEEEEPS7_SP_SP_NSC_11hip_rocprim7__merge17predicate_wrapperIxxNSC_7greaterIxEEEEEE10hipError_tPvRmT0_T1_T2_T3_T4_T5_mmT6_P12ihipStream_tbEUlT_E0_NS1_11comp_targetILNS1_3genE10ELNS1_11target_archE1200ELNS1_3gpuE4ELNS1_3repE0EEENS1_30default_config_static_selectorELNS0_4arch9wavefront6targetE0EEEvS10_.has_dyn_sized_stack, 0
	.set _ZN7rocprim17ROCPRIM_400000_NS6detail17trampoline_kernelINS0_14default_configENS1_21merge_config_selectorINS0_5tupleIJxxEEENS0_10empty_typeEEEZNS1_10merge_implIS3_NS0_12zip_iteratorINS5_IJN6thrust23THRUST_200600_302600_NS6detail15normal_iteratorINSC_10device_ptrIKxEEEESI_EEEEESK_NSA_INS5_IJNSE_INSF_IxEEEESM_EEEEEPS7_SP_SP_NSC_11hip_rocprim7__merge17predicate_wrapperIxxNSC_7greaterIxEEEEEE10hipError_tPvRmT0_T1_T2_T3_T4_T5_mmT6_P12ihipStream_tbEUlT_E0_NS1_11comp_targetILNS1_3genE10ELNS1_11target_archE1200ELNS1_3gpuE4ELNS1_3repE0EEENS1_30default_config_static_selectorELNS0_4arch9wavefront6targetE0EEEvS10_.has_recursion, 0
	.set _ZN7rocprim17ROCPRIM_400000_NS6detail17trampoline_kernelINS0_14default_configENS1_21merge_config_selectorINS0_5tupleIJxxEEENS0_10empty_typeEEEZNS1_10merge_implIS3_NS0_12zip_iteratorINS5_IJN6thrust23THRUST_200600_302600_NS6detail15normal_iteratorINSC_10device_ptrIKxEEEESI_EEEEESK_NSA_INS5_IJNSE_INSF_IxEEEESM_EEEEEPS7_SP_SP_NSC_11hip_rocprim7__merge17predicate_wrapperIxxNSC_7greaterIxEEEEEE10hipError_tPvRmT0_T1_T2_T3_T4_T5_mmT6_P12ihipStream_tbEUlT_E0_NS1_11comp_targetILNS1_3genE10ELNS1_11target_archE1200ELNS1_3gpuE4ELNS1_3repE0EEENS1_30default_config_static_selectorELNS0_4arch9wavefront6targetE0EEEvS10_.has_indirect_call, 0
	.section	.AMDGPU.csdata,"",@progbits
; Kernel info:
; codeLenInByte = 0
; TotalNumSgprs: 0
; NumVgprs: 0
; ScratchSize: 0
; MemoryBound: 0
; FloatMode: 240
; IeeeMode: 1
; LDSByteSize: 0 bytes/workgroup (compile time only)
; SGPRBlocks: 0
; VGPRBlocks: 0
; NumSGPRsForWavesPerEU: 1
; NumVGPRsForWavesPerEU: 1
; Occupancy: 16
; WaveLimiterHint : 0
; COMPUTE_PGM_RSRC2:SCRATCH_EN: 0
; COMPUTE_PGM_RSRC2:USER_SGPR: 6
; COMPUTE_PGM_RSRC2:TRAP_HANDLER: 0
; COMPUTE_PGM_RSRC2:TGID_X_EN: 1
; COMPUTE_PGM_RSRC2:TGID_Y_EN: 0
; COMPUTE_PGM_RSRC2:TGID_Z_EN: 0
; COMPUTE_PGM_RSRC2:TIDIG_COMP_CNT: 0
	.section	.text._ZN7rocprim17ROCPRIM_400000_NS6detail17trampoline_kernelINS0_14default_configENS1_21merge_config_selectorINS0_5tupleIJxxEEENS0_10empty_typeEEEZNS1_10merge_implIS3_NS0_12zip_iteratorINS5_IJN6thrust23THRUST_200600_302600_NS6detail15normal_iteratorINSC_10device_ptrIKxEEEESI_EEEEESK_NSA_INS5_IJNSE_INSF_IxEEEESM_EEEEEPS7_SP_SP_NSC_11hip_rocprim7__merge17predicate_wrapperIxxNSC_7greaterIxEEEEEE10hipError_tPvRmT0_T1_T2_T3_T4_T5_mmT6_P12ihipStream_tbEUlT_E0_NS1_11comp_targetILNS1_3genE9ELNS1_11target_archE1100ELNS1_3gpuE3ELNS1_3repE0EEENS1_30default_config_static_selectorELNS0_4arch9wavefront6targetE0EEEvS10_,"axG",@progbits,_ZN7rocprim17ROCPRIM_400000_NS6detail17trampoline_kernelINS0_14default_configENS1_21merge_config_selectorINS0_5tupleIJxxEEENS0_10empty_typeEEEZNS1_10merge_implIS3_NS0_12zip_iteratorINS5_IJN6thrust23THRUST_200600_302600_NS6detail15normal_iteratorINSC_10device_ptrIKxEEEESI_EEEEESK_NSA_INS5_IJNSE_INSF_IxEEEESM_EEEEEPS7_SP_SP_NSC_11hip_rocprim7__merge17predicate_wrapperIxxNSC_7greaterIxEEEEEE10hipError_tPvRmT0_T1_T2_T3_T4_T5_mmT6_P12ihipStream_tbEUlT_E0_NS1_11comp_targetILNS1_3genE9ELNS1_11target_archE1100ELNS1_3gpuE3ELNS1_3repE0EEENS1_30default_config_static_selectorELNS0_4arch9wavefront6targetE0EEEvS10_,comdat
	.protected	_ZN7rocprim17ROCPRIM_400000_NS6detail17trampoline_kernelINS0_14default_configENS1_21merge_config_selectorINS0_5tupleIJxxEEENS0_10empty_typeEEEZNS1_10merge_implIS3_NS0_12zip_iteratorINS5_IJN6thrust23THRUST_200600_302600_NS6detail15normal_iteratorINSC_10device_ptrIKxEEEESI_EEEEESK_NSA_INS5_IJNSE_INSF_IxEEEESM_EEEEEPS7_SP_SP_NSC_11hip_rocprim7__merge17predicate_wrapperIxxNSC_7greaterIxEEEEEE10hipError_tPvRmT0_T1_T2_T3_T4_T5_mmT6_P12ihipStream_tbEUlT_E0_NS1_11comp_targetILNS1_3genE9ELNS1_11target_archE1100ELNS1_3gpuE3ELNS1_3repE0EEENS1_30default_config_static_selectorELNS0_4arch9wavefront6targetE0EEEvS10_ ; -- Begin function _ZN7rocprim17ROCPRIM_400000_NS6detail17trampoline_kernelINS0_14default_configENS1_21merge_config_selectorINS0_5tupleIJxxEEENS0_10empty_typeEEEZNS1_10merge_implIS3_NS0_12zip_iteratorINS5_IJN6thrust23THRUST_200600_302600_NS6detail15normal_iteratorINSC_10device_ptrIKxEEEESI_EEEEESK_NSA_INS5_IJNSE_INSF_IxEEEESM_EEEEEPS7_SP_SP_NSC_11hip_rocprim7__merge17predicate_wrapperIxxNSC_7greaterIxEEEEEE10hipError_tPvRmT0_T1_T2_T3_T4_T5_mmT6_P12ihipStream_tbEUlT_E0_NS1_11comp_targetILNS1_3genE9ELNS1_11target_archE1100ELNS1_3gpuE3ELNS1_3repE0EEENS1_30default_config_static_selectorELNS0_4arch9wavefront6targetE0EEEvS10_
	.globl	_ZN7rocprim17ROCPRIM_400000_NS6detail17trampoline_kernelINS0_14default_configENS1_21merge_config_selectorINS0_5tupleIJxxEEENS0_10empty_typeEEEZNS1_10merge_implIS3_NS0_12zip_iteratorINS5_IJN6thrust23THRUST_200600_302600_NS6detail15normal_iteratorINSC_10device_ptrIKxEEEESI_EEEEESK_NSA_INS5_IJNSE_INSF_IxEEEESM_EEEEEPS7_SP_SP_NSC_11hip_rocprim7__merge17predicate_wrapperIxxNSC_7greaterIxEEEEEE10hipError_tPvRmT0_T1_T2_T3_T4_T5_mmT6_P12ihipStream_tbEUlT_E0_NS1_11comp_targetILNS1_3genE9ELNS1_11target_archE1100ELNS1_3gpuE3ELNS1_3repE0EEENS1_30default_config_static_selectorELNS0_4arch9wavefront6targetE0EEEvS10_
	.p2align	8
	.type	_ZN7rocprim17ROCPRIM_400000_NS6detail17trampoline_kernelINS0_14default_configENS1_21merge_config_selectorINS0_5tupleIJxxEEENS0_10empty_typeEEEZNS1_10merge_implIS3_NS0_12zip_iteratorINS5_IJN6thrust23THRUST_200600_302600_NS6detail15normal_iteratorINSC_10device_ptrIKxEEEESI_EEEEESK_NSA_INS5_IJNSE_INSF_IxEEEESM_EEEEEPS7_SP_SP_NSC_11hip_rocprim7__merge17predicate_wrapperIxxNSC_7greaterIxEEEEEE10hipError_tPvRmT0_T1_T2_T3_T4_T5_mmT6_P12ihipStream_tbEUlT_E0_NS1_11comp_targetILNS1_3genE9ELNS1_11target_archE1100ELNS1_3gpuE3ELNS1_3repE0EEENS1_30default_config_static_selectorELNS0_4arch9wavefront6targetE0EEEvS10_,@function
_ZN7rocprim17ROCPRIM_400000_NS6detail17trampoline_kernelINS0_14default_configENS1_21merge_config_selectorINS0_5tupleIJxxEEENS0_10empty_typeEEEZNS1_10merge_implIS3_NS0_12zip_iteratorINS5_IJN6thrust23THRUST_200600_302600_NS6detail15normal_iteratorINSC_10device_ptrIKxEEEESI_EEEEESK_NSA_INS5_IJNSE_INSF_IxEEEESM_EEEEEPS7_SP_SP_NSC_11hip_rocprim7__merge17predicate_wrapperIxxNSC_7greaterIxEEEEEE10hipError_tPvRmT0_T1_T2_T3_T4_T5_mmT6_P12ihipStream_tbEUlT_E0_NS1_11comp_targetILNS1_3genE9ELNS1_11target_archE1100ELNS1_3gpuE3ELNS1_3repE0EEENS1_30default_config_static_selectorELNS0_4arch9wavefront6targetE0EEEvS10_: ; @_ZN7rocprim17ROCPRIM_400000_NS6detail17trampoline_kernelINS0_14default_configENS1_21merge_config_selectorINS0_5tupleIJxxEEENS0_10empty_typeEEEZNS1_10merge_implIS3_NS0_12zip_iteratorINS5_IJN6thrust23THRUST_200600_302600_NS6detail15normal_iteratorINSC_10device_ptrIKxEEEESI_EEEEESK_NSA_INS5_IJNSE_INSF_IxEEEESM_EEEEEPS7_SP_SP_NSC_11hip_rocprim7__merge17predicate_wrapperIxxNSC_7greaterIxEEEEEE10hipError_tPvRmT0_T1_T2_T3_T4_T5_mmT6_P12ihipStream_tbEUlT_E0_NS1_11comp_targetILNS1_3genE9ELNS1_11target_archE1100ELNS1_3gpuE3ELNS1_3repE0EEENS1_30default_config_static_selectorELNS0_4arch9wavefront6targetE0EEEvS10_
; %bb.0:
	.section	.rodata,"a",@progbits
	.p2align	6, 0x0
	.amdhsa_kernel _ZN7rocprim17ROCPRIM_400000_NS6detail17trampoline_kernelINS0_14default_configENS1_21merge_config_selectorINS0_5tupleIJxxEEENS0_10empty_typeEEEZNS1_10merge_implIS3_NS0_12zip_iteratorINS5_IJN6thrust23THRUST_200600_302600_NS6detail15normal_iteratorINSC_10device_ptrIKxEEEESI_EEEEESK_NSA_INS5_IJNSE_INSF_IxEEEESM_EEEEEPS7_SP_SP_NSC_11hip_rocprim7__merge17predicate_wrapperIxxNSC_7greaterIxEEEEEE10hipError_tPvRmT0_T1_T2_T3_T4_T5_mmT6_P12ihipStream_tbEUlT_E0_NS1_11comp_targetILNS1_3genE9ELNS1_11target_archE1100ELNS1_3gpuE3ELNS1_3repE0EEENS1_30default_config_static_selectorELNS0_4arch9wavefront6targetE0EEEvS10_
		.amdhsa_group_segment_fixed_size 0
		.amdhsa_private_segment_fixed_size 0
		.amdhsa_kernarg_size 112
		.amdhsa_user_sgpr_count 6
		.amdhsa_user_sgpr_private_segment_buffer 1
		.amdhsa_user_sgpr_dispatch_ptr 0
		.amdhsa_user_sgpr_queue_ptr 0
		.amdhsa_user_sgpr_kernarg_segment_ptr 1
		.amdhsa_user_sgpr_dispatch_id 0
		.amdhsa_user_sgpr_flat_scratch_init 0
		.amdhsa_user_sgpr_private_segment_size 0
		.amdhsa_wavefront_size32 1
		.amdhsa_uses_dynamic_stack 0
		.amdhsa_system_sgpr_private_segment_wavefront_offset 0
		.amdhsa_system_sgpr_workgroup_id_x 1
		.amdhsa_system_sgpr_workgroup_id_y 0
		.amdhsa_system_sgpr_workgroup_id_z 0
		.amdhsa_system_sgpr_workgroup_info 0
		.amdhsa_system_vgpr_workitem_id 0
		.amdhsa_next_free_vgpr 1
		.amdhsa_next_free_sgpr 1
		.amdhsa_reserve_vcc 0
		.amdhsa_reserve_flat_scratch 0
		.amdhsa_float_round_mode_32 0
		.amdhsa_float_round_mode_16_64 0
		.amdhsa_float_denorm_mode_32 3
		.amdhsa_float_denorm_mode_16_64 3
		.amdhsa_dx10_clamp 1
		.amdhsa_ieee_mode 1
		.amdhsa_fp16_overflow 0
		.amdhsa_workgroup_processor_mode 1
		.amdhsa_memory_ordered 1
		.amdhsa_forward_progress 1
		.amdhsa_shared_vgpr_count 0
		.amdhsa_exception_fp_ieee_invalid_op 0
		.amdhsa_exception_fp_denorm_src 0
		.amdhsa_exception_fp_ieee_div_zero 0
		.amdhsa_exception_fp_ieee_overflow 0
		.amdhsa_exception_fp_ieee_underflow 0
		.amdhsa_exception_fp_ieee_inexact 0
		.amdhsa_exception_int_div_zero 0
	.end_amdhsa_kernel
	.section	.text._ZN7rocprim17ROCPRIM_400000_NS6detail17trampoline_kernelINS0_14default_configENS1_21merge_config_selectorINS0_5tupleIJxxEEENS0_10empty_typeEEEZNS1_10merge_implIS3_NS0_12zip_iteratorINS5_IJN6thrust23THRUST_200600_302600_NS6detail15normal_iteratorINSC_10device_ptrIKxEEEESI_EEEEESK_NSA_INS5_IJNSE_INSF_IxEEEESM_EEEEEPS7_SP_SP_NSC_11hip_rocprim7__merge17predicate_wrapperIxxNSC_7greaterIxEEEEEE10hipError_tPvRmT0_T1_T2_T3_T4_T5_mmT6_P12ihipStream_tbEUlT_E0_NS1_11comp_targetILNS1_3genE9ELNS1_11target_archE1100ELNS1_3gpuE3ELNS1_3repE0EEENS1_30default_config_static_selectorELNS0_4arch9wavefront6targetE0EEEvS10_,"axG",@progbits,_ZN7rocprim17ROCPRIM_400000_NS6detail17trampoline_kernelINS0_14default_configENS1_21merge_config_selectorINS0_5tupleIJxxEEENS0_10empty_typeEEEZNS1_10merge_implIS3_NS0_12zip_iteratorINS5_IJN6thrust23THRUST_200600_302600_NS6detail15normal_iteratorINSC_10device_ptrIKxEEEESI_EEEEESK_NSA_INS5_IJNSE_INSF_IxEEEESM_EEEEEPS7_SP_SP_NSC_11hip_rocprim7__merge17predicate_wrapperIxxNSC_7greaterIxEEEEEE10hipError_tPvRmT0_T1_T2_T3_T4_T5_mmT6_P12ihipStream_tbEUlT_E0_NS1_11comp_targetILNS1_3genE9ELNS1_11target_archE1100ELNS1_3gpuE3ELNS1_3repE0EEENS1_30default_config_static_selectorELNS0_4arch9wavefront6targetE0EEEvS10_,comdat
.Lfunc_end423:
	.size	_ZN7rocprim17ROCPRIM_400000_NS6detail17trampoline_kernelINS0_14default_configENS1_21merge_config_selectorINS0_5tupleIJxxEEENS0_10empty_typeEEEZNS1_10merge_implIS3_NS0_12zip_iteratorINS5_IJN6thrust23THRUST_200600_302600_NS6detail15normal_iteratorINSC_10device_ptrIKxEEEESI_EEEEESK_NSA_INS5_IJNSE_INSF_IxEEEESM_EEEEEPS7_SP_SP_NSC_11hip_rocprim7__merge17predicate_wrapperIxxNSC_7greaterIxEEEEEE10hipError_tPvRmT0_T1_T2_T3_T4_T5_mmT6_P12ihipStream_tbEUlT_E0_NS1_11comp_targetILNS1_3genE9ELNS1_11target_archE1100ELNS1_3gpuE3ELNS1_3repE0EEENS1_30default_config_static_selectorELNS0_4arch9wavefront6targetE0EEEvS10_, .Lfunc_end423-_ZN7rocprim17ROCPRIM_400000_NS6detail17trampoline_kernelINS0_14default_configENS1_21merge_config_selectorINS0_5tupleIJxxEEENS0_10empty_typeEEEZNS1_10merge_implIS3_NS0_12zip_iteratorINS5_IJN6thrust23THRUST_200600_302600_NS6detail15normal_iteratorINSC_10device_ptrIKxEEEESI_EEEEESK_NSA_INS5_IJNSE_INSF_IxEEEESM_EEEEEPS7_SP_SP_NSC_11hip_rocprim7__merge17predicate_wrapperIxxNSC_7greaterIxEEEEEE10hipError_tPvRmT0_T1_T2_T3_T4_T5_mmT6_P12ihipStream_tbEUlT_E0_NS1_11comp_targetILNS1_3genE9ELNS1_11target_archE1100ELNS1_3gpuE3ELNS1_3repE0EEENS1_30default_config_static_selectorELNS0_4arch9wavefront6targetE0EEEvS10_
                                        ; -- End function
	.set _ZN7rocprim17ROCPRIM_400000_NS6detail17trampoline_kernelINS0_14default_configENS1_21merge_config_selectorINS0_5tupleIJxxEEENS0_10empty_typeEEEZNS1_10merge_implIS3_NS0_12zip_iteratorINS5_IJN6thrust23THRUST_200600_302600_NS6detail15normal_iteratorINSC_10device_ptrIKxEEEESI_EEEEESK_NSA_INS5_IJNSE_INSF_IxEEEESM_EEEEEPS7_SP_SP_NSC_11hip_rocprim7__merge17predicate_wrapperIxxNSC_7greaterIxEEEEEE10hipError_tPvRmT0_T1_T2_T3_T4_T5_mmT6_P12ihipStream_tbEUlT_E0_NS1_11comp_targetILNS1_3genE9ELNS1_11target_archE1100ELNS1_3gpuE3ELNS1_3repE0EEENS1_30default_config_static_selectorELNS0_4arch9wavefront6targetE0EEEvS10_.num_vgpr, 0
	.set _ZN7rocprim17ROCPRIM_400000_NS6detail17trampoline_kernelINS0_14default_configENS1_21merge_config_selectorINS0_5tupleIJxxEEENS0_10empty_typeEEEZNS1_10merge_implIS3_NS0_12zip_iteratorINS5_IJN6thrust23THRUST_200600_302600_NS6detail15normal_iteratorINSC_10device_ptrIKxEEEESI_EEEEESK_NSA_INS5_IJNSE_INSF_IxEEEESM_EEEEEPS7_SP_SP_NSC_11hip_rocprim7__merge17predicate_wrapperIxxNSC_7greaterIxEEEEEE10hipError_tPvRmT0_T1_T2_T3_T4_T5_mmT6_P12ihipStream_tbEUlT_E0_NS1_11comp_targetILNS1_3genE9ELNS1_11target_archE1100ELNS1_3gpuE3ELNS1_3repE0EEENS1_30default_config_static_selectorELNS0_4arch9wavefront6targetE0EEEvS10_.num_agpr, 0
	.set _ZN7rocprim17ROCPRIM_400000_NS6detail17trampoline_kernelINS0_14default_configENS1_21merge_config_selectorINS0_5tupleIJxxEEENS0_10empty_typeEEEZNS1_10merge_implIS3_NS0_12zip_iteratorINS5_IJN6thrust23THRUST_200600_302600_NS6detail15normal_iteratorINSC_10device_ptrIKxEEEESI_EEEEESK_NSA_INS5_IJNSE_INSF_IxEEEESM_EEEEEPS7_SP_SP_NSC_11hip_rocprim7__merge17predicate_wrapperIxxNSC_7greaterIxEEEEEE10hipError_tPvRmT0_T1_T2_T3_T4_T5_mmT6_P12ihipStream_tbEUlT_E0_NS1_11comp_targetILNS1_3genE9ELNS1_11target_archE1100ELNS1_3gpuE3ELNS1_3repE0EEENS1_30default_config_static_selectorELNS0_4arch9wavefront6targetE0EEEvS10_.numbered_sgpr, 0
	.set _ZN7rocprim17ROCPRIM_400000_NS6detail17trampoline_kernelINS0_14default_configENS1_21merge_config_selectorINS0_5tupleIJxxEEENS0_10empty_typeEEEZNS1_10merge_implIS3_NS0_12zip_iteratorINS5_IJN6thrust23THRUST_200600_302600_NS6detail15normal_iteratorINSC_10device_ptrIKxEEEESI_EEEEESK_NSA_INS5_IJNSE_INSF_IxEEEESM_EEEEEPS7_SP_SP_NSC_11hip_rocprim7__merge17predicate_wrapperIxxNSC_7greaterIxEEEEEE10hipError_tPvRmT0_T1_T2_T3_T4_T5_mmT6_P12ihipStream_tbEUlT_E0_NS1_11comp_targetILNS1_3genE9ELNS1_11target_archE1100ELNS1_3gpuE3ELNS1_3repE0EEENS1_30default_config_static_selectorELNS0_4arch9wavefront6targetE0EEEvS10_.num_named_barrier, 0
	.set _ZN7rocprim17ROCPRIM_400000_NS6detail17trampoline_kernelINS0_14default_configENS1_21merge_config_selectorINS0_5tupleIJxxEEENS0_10empty_typeEEEZNS1_10merge_implIS3_NS0_12zip_iteratorINS5_IJN6thrust23THRUST_200600_302600_NS6detail15normal_iteratorINSC_10device_ptrIKxEEEESI_EEEEESK_NSA_INS5_IJNSE_INSF_IxEEEESM_EEEEEPS7_SP_SP_NSC_11hip_rocprim7__merge17predicate_wrapperIxxNSC_7greaterIxEEEEEE10hipError_tPvRmT0_T1_T2_T3_T4_T5_mmT6_P12ihipStream_tbEUlT_E0_NS1_11comp_targetILNS1_3genE9ELNS1_11target_archE1100ELNS1_3gpuE3ELNS1_3repE0EEENS1_30default_config_static_selectorELNS0_4arch9wavefront6targetE0EEEvS10_.private_seg_size, 0
	.set _ZN7rocprim17ROCPRIM_400000_NS6detail17trampoline_kernelINS0_14default_configENS1_21merge_config_selectorINS0_5tupleIJxxEEENS0_10empty_typeEEEZNS1_10merge_implIS3_NS0_12zip_iteratorINS5_IJN6thrust23THRUST_200600_302600_NS6detail15normal_iteratorINSC_10device_ptrIKxEEEESI_EEEEESK_NSA_INS5_IJNSE_INSF_IxEEEESM_EEEEEPS7_SP_SP_NSC_11hip_rocprim7__merge17predicate_wrapperIxxNSC_7greaterIxEEEEEE10hipError_tPvRmT0_T1_T2_T3_T4_T5_mmT6_P12ihipStream_tbEUlT_E0_NS1_11comp_targetILNS1_3genE9ELNS1_11target_archE1100ELNS1_3gpuE3ELNS1_3repE0EEENS1_30default_config_static_selectorELNS0_4arch9wavefront6targetE0EEEvS10_.uses_vcc, 0
	.set _ZN7rocprim17ROCPRIM_400000_NS6detail17trampoline_kernelINS0_14default_configENS1_21merge_config_selectorINS0_5tupleIJxxEEENS0_10empty_typeEEEZNS1_10merge_implIS3_NS0_12zip_iteratorINS5_IJN6thrust23THRUST_200600_302600_NS6detail15normal_iteratorINSC_10device_ptrIKxEEEESI_EEEEESK_NSA_INS5_IJNSE_INSF_IxEEEESM_EEEEEPS7_SP_SP_NSC_11hip_rocprim7__merge17predicate_wrapperIxxNSC_7greaterIxEEEEEE10hipError_tPvRmT0_T1_T2_T3_T4_T5_mmT6_P12ihipStream_tbEUlT_E0_NS1_11comp_targetILNS1_3genE9ELNS1_11target_archE1100ELNS1_3gpuE3ELNS1_3repE0EEENS1_30default_config_static_selectorELNS0_4arch9wavefront6targetE0EEEvS10_.uses_flat_scratch, 0
	.set _ZN7rocprim17ROCPRIM_400000_NS6detail17trampoline_kernelINS0_14default_configENS1_21merge_config_selectorINS0_5tupleIJxxEEENS0_10empty_typeEEEZNS1_10merge_implIS3_NS0_12zip_iteratorINS5_IJN6thrust23THRUST_200600_302600_NS6detail15normal_iteratorINSC_10device_ptrIKxEEEESI_EEEEESK_NSA_INS5_IJNSE_INSF_IxEEEESM_EEEEEPS7_SP_SP_NSC_11hip_rocprim7__merge17predicate_wrapperIxxNSC_7greaterIxEEEEEE10hipError_tPvRmT0_T1_T2_T3_T4_T5_mmT6_P12ihipStream_tbEUlT_E0_NS1_11comp_targetILNS1_3genE9ELNS1_11target_archE1100ELNS1_3gpuE3ELNS1_3repE0EEENS1_30default_config_static_selectorELNS0_4arch9wavefront6targetE0EEEvS10_.has_dyn_sized_stack, 0
	.set _ZN7rocprim17ROCPRIM_400000_NS6detail17trampoline_kernelINS0_14default_configENS1_21merge_config_selectorINS0_5tupleIJxxEEENS0_10empty_typeEEEZNS1_10merge_implIS3_NS0_12zip_iteratorINS5_IJN6thrust23THRUST_200600_302600_NS6detail15normal_iteratorINSC_10device_ptrIKxEEEESI_EEEEESK_NSA_INS5_IJNSE_INSF_IxEEEESM_EEEEEPS7_SP_SP_NSC_11hip_rocprim7__merge17predicate_wrapperIxxNSC_7greaterIxEEEEEE10hipError_tPvRmT0_T1_T2_T3_T4_T5_mmT6_P12ihipStream_tbEUlT_E0_NS1_11comp_targetILNS1_3genE9ELNS1_11target_archE1100ELNS1_3gpuE3ELNS1_3repE0EEENS1_30default_config_static_selectorELNS0_4arch9wavefront6targetE0EEEvS10_.has_recursion, 0
	.set _ZN7rocprim17ROCPRIM_400000_NS6detail17trampoline_kernelINS0_14default_configENS1_21merge_config_selectorINS0_5tupleIJxxEEENS0_10empty_typeEEEZNS1_10merge_implIS3_NS0_12zip_iteratorINS5_IJN6thrust23THRUST_200600_302600_NS6detail15normal_iteratorINSC_10device_ptrIKxEEEESI_EEEEESK_NSA_INS5_IJNSE_INSF_IxEEEESM_EEEEEPS7_SP_SP_NSC_11hip_rocprim7__merge17predicate_wrapperIxxNSC_7greaterIxEEEEEE10hipError_tPvRmT0_T1_T2_T3_T4_T5_mmT6_P12ihipStream_tbEUlT_E0_NS1_11comp_targetILNS1_3genE9ELNS1_11target_archE1100ELNS1_3gpuE3ELNS1_3repE0EEENS1_30default_config_static_selectorELNS0_4arch9wavefront6targetE0EEEvS10_.has_indirect_call, 0
	.section	.AMDGPU.csdata,"",@progbits
; Kernel info:
; codeLenInByte = 0
; TotalNumSgprs: 0
; NumVgprs: 0
; ScratchSize: 0
; MemoryBound: 0
; FloatMode: 240
; IeeeMode: 1
; LDSByteSize: 0 bytes/workgroup (compile time only)
; SGPRBlocks: 0
; VGPRBlocks: 0
; NumSGPRsForWavesPerEU: 1
; NumVGPRsForWavesPerEU: 1
; Occupancy: 16
; WaveLimiterHint : 0
; COMPUTE_PGM_RSRC2:SCRATCH_EN: 0
; COMPUTE_PGM_RSRC2:USER_SGPR: 6
; COMPUTE_PGM_RSRC2:TRAP_HANDLER: 0
; COMPUTE_PGM_RSRC2:TGID_X_EN: 1
; COMPUTE_PGM_RSRC2:TGID_Y_EN: 0
; COMPUTE_PGM_RSRC2:TGID_Z_EN: 0
; COMPUTE_PGM_RSRC2:TIDIG_COMP_CNT: 0
	.section	.text._ZN7rocprim17ROCPRIM_400000_NS6detail17trampoline_kernelINS0_14default_configENS1_21merge_config_selectorINS0_5tupleIJxxEEENS0_10empty_typeEEEZNS1_10merge_implIS3_NS0_12zip_iteratorINS5_IJN6thrust23THRUST_200600_302600_NS6detail15normal_iteratorINSC_10device_ptrIKxEEEESI_EEEEESK_NSA_INS5_IJNSE_INSF_IxEEEESM_EEEEEPS7_SP_SP_NSC_11hip_rocprim7__merge17predicate_wrapperIxxNSC_7greaterIxEEEEEE10hipError_tPvRmT0_T1_T2_T3_T4_T5_mmT6_P12ihipStream_tbEUlT_E0_NS1_11comp_targetILNS1_3genE8ELNS1_11target_archE1030ELNS1_3gpuE2ELNS1_3repE0EEENS1_30default_config_static_selectorELNS0_4arch9wavefront6targetE0EEEvS10_,"axG",@progbits,_ZN7rocprim17ROCPRIM_400000_NS6detail17trampoline_kernelINS0_14default_configENS1_21merge_config_selectorINS0_5tupleIJxxEEENS0_10empty_typeEEEZNS1_10merge_implIS3_NS0_12zip_iteratorINS5_IJN6thrust23THRUST_200600_302600_NS6detail15normal_iteratorINSC_10device_ptrIKxEEEESI_EEEEESK_NSA_INS5_IJNSE_INSF_IxEEEESM_EEEEEPS7_SP_SP_NSC_11hip_rocprim7__merge17predicate_wrapperIxxNSC_7greaterIxEEEEEE10hipError_tPvRmT0_T1_T2_T3_T4_T5_mmT6_P12ihipStream_tbEUlT_E0_NS1_11comp_targetILNS1_3genE8ELNS1_11target_archE1030ELNS1_3gpuE2ELNS1_3repE0EEENS1_30default_config_static_selectorELNS0_4arch9wavefront6targetE0EEEvS10_,comdat
	.protected	_ZN7rocprim17ROCPRIM_400000_NS6detail17trampoline_kernelINS0_14default_configENS1_21merge_config_selectorINS0_5tupleIJxxEEENS0_10empty_typeEEEZNS1_10merge_implIS3_NS0_12zip_iteratorINS5_IJN6thrust23THRUST_200600_302600_NS6detail15normal_iteratorINSC_10device_ptrIKxEEEESI_EEEEESK_NSA_INS5_IJNSE_INSF_IxEEEESM_EEEEEPS7_SP_SP_NSC_11hip_rocprim7__merge17predicate_wrapperIxxNSC_7greaterIxEEEEEE10hipError_tPvRmT0_T1_T2_T3_T4_T5_mmT6_P12ihipStream_tbEUlT_E0_NS1_11comp_targetILNS1_3genE8ELNS1_11target_archE1030ELNS1_3gpuE2ELNS1_3repE0EEENS1_30default_config_static_selectorELNS0_4arch9wavefront6targetE0EEEvS10_ ; -- Begin function _ZN7rocprim17ROCPRIM_400000_NS6detail17trampoline_kernelINS0_14default_configENS1_21merge_config_selectorINS0_5tupleIJxxEEENS0_10empty_typeEEEZNS1_10merge_implIS3_NS0_12zip_iteratorINS5_IJN6thrust23THRUST_200600_302600_NS6detail15normal_iteratorINSC_10device_ptrIKxEEEESI_EEEEESK_NSA_INS5_IJNSE_INSF_IxEEEESM_EEEEEPS7_SP_SP_NSC_11hip_rocprim7__merge17predicate_wrapperIxxNSC_7greaterIxEEEEEE10hipError_tPvRmT0_T1_T2_T3_T4_T5_mmT6_P12ihipStream_tbEUlT_E0_NS1_11comp_targetILNS1_3genE8ELNS1_11target_archE1030ELNS1_3gpuE2ELNS1_3repE0EEENS1_30default_config_static_selectorELNS0_4arch9wavefront6targetE0EEEvS10_
	.globl	_ZN7rocprim17ROCPRIM_400000_NS6detail17trampoline_kernelINS0_14default_configENS1_21merge_config_selectorINS0_5tupleIJxxEEENS0_10empty_typeEEEZNS1_10merge_implIS3_NS0_12zip_iteratorINS5_IJN6thrust23THRUST_200600_302600_NS6detail15normal_iteratorINSC_10device_ptrIKxEEEESI_EEEEESK_NSA_INS5_IJNSE_INSF_IxEEEESM_EEEEEPS7_SP_SP_NSC_11hip_rocprim7__merge17predicate_wrapperIxxNSC_7greaterIxEEEEEE10hipError_tPvRmT0_T1_T2_T3_T4_T5_mmT6_P12ihipStream_tbEUlT_E0_NS1_11comp_targetILNS1_3genE8ELNS1_11target_archE1030ELNS1_3gpuE2ELNS1_3repE0EEENS1_30default_config_static_selectorELNS0_4arch9wavefront6targetE0EEEvS10_
	.p2align	8
	.type	_ZN7rocprim17ROCPRIM_400000_NS6detail17trampoline_kernelINS0_14default_configENS1_21merge_config_selectorINS0_5tupleIJxxEEENS0_10empty_typeEEEZNS1_10merge_implIS3_NS0_12zip_iteratorINS5_IJN6thrust23THRUST_200600_302600_NS6detail15normal_iteratorINSC_10device_ptrIKxEEEESI_EEEEESK_NSA_INS5_IJNSE_INSF_IxEEEESM_EEEEEPS7_SP_SP_NSC_11hip_rocprim7__merge17predicate_wrapperIxxNSC_7greaterIxEEEEEE10hipError_tPvRmT0_T1_T2_T3_T4_T5_mmT6_P12ihipStream_tbEUlT_E0_NS1_11comp_targetILNS1_3genE8ELNS1_11target_archE1030ELNS1_3gpuE2ELNS1_3repE0EEENS1_30default_config_static_selectorELNS0_4arch9wavefront6targetE0EEEvS10_,@function
_ZN7rocprim17ROCPRIM_400000_NS6detail17trampoline_kernelINS0_14default_configENS1_21merge_config_selectorINS0_5tupleIJxxEEENS0_10empty_typeEEEZNS1_10merge_implIS3_NS0_12zip_iteratorINS5_IJN6thrust23THRUST_200600_302600_NS6detail15normal_iteratorINSC_10device_ptrIKxEEEESI_EEEEESK_NSA_INS5_IJNSE_INSF_IxEEEESM_EEEEEPS7_SP_SP_NSC_11hip_rocprim7__merge17predicate_wrapperIxxNSC_7greaterIxEEEEEE10hipError_tPvRmT0_T1_T2_T3_T4_T5_mmT6_P12ihipStream_tbEUlT_E0_NS1_11comp_targetILNS1_3genE8ELNS1_11target_archE1030ELNS1_3gpuE2ELNS1_3repE0EEENS1_30default_config_static_selectorELNS0_4arch9wavefront6targetE0EEEvS10_: ; @_ZN7rocprim17ROCPRIM_400000_NS6detail17trampoline_kernelINS0_14default_configENS1_21merge_config_selectorINS0_5tupleIJxxEEENS0_10empty_typeEEEZNS1_10merge_implIS3_NS0_12zip_iteratorINS5_IJN6thrust23THRUST_200600_302600_NS6detail15normal_iteratorINSC_10device_ptrIKxEEEESI_EEEEESK_NSA_INS5_IJNSE_INSF_IxEEEESM_EEEEEPS7_SP_SP_NSC_11hip_rocprim7__merge17predicate_wrapperIxxNSC_7greaterIxEEEEEE10hipError_tPvRmT0_T1_T2_T3_T4_T5_mmT6_P12ihipStream_tbEUlT_E0_NS1_11comp_targetILNS1_3genE8ELNS1_11target_archE1030ELNS1_3gpuE2ELNS1_3repE0EEENS1_30default_config_static_selectorELNS0_4arch9wavefront6targetE0EEEvS10_
; %bb.0:
	s_clause 0x2
	s_load_dwordx4 s[0:3], s[4:5], 0x58
	s_load_dwordx8 s[8:15], s[4:5], 0x8
	s_load_dwordx4 s[16:19], s[4:5], 0x28
	s_mov_b32 s23, 0
	v_mov_b32_e32 v1, 0
	s_mov_b32 s25, s23
	s_waitcnt lgkmcnt(0)
	s_add_i32 s20, s2, s0
	s_add_i32 s0, s20, 0x7ff
	s_lshr_b32 s0, s0, 11
	s_min_u32 s1, s6, s0
	s_lshl_b32 s1, s1, 2
	s_load_dword s22, s[8:9], s1 offset:0x0
	s_add_i32 s1, s6, 1
	s_min_u32 s0, s1, s0
	s_lshl_b32 s0, s0, 2
	s_load_dword s9, s[8:9], s0 offset:0x0
	s_lshl_b32 s8, s6, 11
	s_add_i32 s0, s8, 0x800
	s_min_u32 s21, s20, s0
	s_waitcnt lgkmcnt(0)
	s_lshl_b64 s[2:3], s[22:23], 3
	s_sub_i32 s24, s8, s22
	s_add_u32 s0, s10, s2
	s_addc_u32 s1, s11, s3
	s_add_u32 s2, s12, s2
	s_addc_u32 s3, s13, s3
	s_lshl_b64 s[10:11], s[24:25], 3
	s_add_u32 s6, s14, s10
	s_addc_u32 s7, s15, s11
	s_add_u32 s10, s16, s10
	s_addc_u32 s11, s17, s11
	s_add_i32 s12, s24, s9
	s_sub_i32 s9, s9, s22
	s_sub_i32 s14, s21, s12
	s_mov_b32 s15, exec_lo
	s_add_u32 s12, s14, s9
	s_addc_u32 s13, 0, 0
	v_cmpx_le_u32_e64 s9, v0
	s_xor_b32 s15, exec_lo, s15
	s_cbranch_execz .LBB424_4
; %bb.1:
	s_mov_b32 s16, exec_lo
	v_cmpx_gt_u64_e64 s[12:13], v[0:1]
	s_cbranch_execz .LBB424_3
; %bb.2:
	v_subrev_nc_u32_e32 v1, s9, v0
	v_lshlrev_b32_e32 v5, 4, v0
	v_lshlrev_b32_e32 v3, 3, v1
	s_clause 0x1
	global_load_dwordx2 v[1:2], v3, s[6:7]
	global_load_dwordx2 v[3:4], v3, s[10:11]
	s_waitcnt vmcnt(0)
	ds_write_b128 v5, v[1:4]
.LBB424_3:
	s_or_b32 exec_lo, exec_lo, s16
.LBB424_4:
	s_or_saveexec_b32 s15, s15
	v_lshlrev_b32_e32 v41, 3, v0
	v_lshlrev_b32_e32 v42, 4, v0
	s_xor_b32 exec_lo, exec_lo, s15
	s_cbranch_execz .LBB424_6
; %bb.5:
	s_clause 0x1
	global_load_dwordx2 v[1:2], v41, s[0:1]
	global_load_dwordx2 v[3:4], v41, s[2:3]
	s_waitcnt vmcnt(0)
	ds_write_b128 v42, v[1:4]
.LBB424_6:
	s_or_b32 exec_lo, exec_lo, s15
	v_or_b32_e32 v33, 0x100, v0
	v_mov_b32_e32 v34, 0
	s_mov_b32 s15, exec_lo
	v_cmpx_le_u32_e64 s9, v33
	s_xor_b32 s15, exec_lo, s15
	s_cbranch_execz .LBB424_10
; %bb.7:
	s_mov_b32 s16, exec_lo
	v_cmpx_gt_u64_e64 s[12:13], v[33:34]
	s_cbranch_execz .LBB424_9
; %bb.8:
	v_subrev_nc_u32_e32 v1, s9, v33
	v_lshlrev_b32_e32 v3, 3, v1
	s_clause 0x1
	global_load_dwordx2 v[1:2], v3, s[6:7]
	global_load_dwordx2 v[3:4], v3, s[10:11]
	s_waitcnt vmcnt(0)
	ds_write_b128 v42, v[1:4] offset:4096
.LBB424_9:
	s_or_b32 exec_lo, exec_lo, s16
.LBB424_10:
	s_andn2_saveexec_b32 s15, s15
	s_cbranch_execz .LBB424_12
; %bb.11:
	v_lshlrev_b32_e32 v3, 3, v33
	s_clause 0x1
	global_load_dwordx2 v[1:2], v3, s[0:1]
	global_load_dwordx2 v[3:4], v3, s[2:3]
	s_waitcnt vmcnt(0)
	ds_write_b128 v42, v[1:4] offset:4096
.LBB424_12:
	s_or_b32 exec_lo, exec_lo, s15
	v_or_b32_e32 v34, 0x200, v0
	v_mov_b32_e32 v35, 0
	s_mov_b32 s15, exec_lo
	v_cmpx_le_u32_e64 s9, v34
	s_xor_b32 s15, exec_lo, s15
	s_cbranch_execz .LBB424_16
; %bb.13:
	s_mov_b32 s16, exec_lo
	v_cmpx_gt_u64_e64 s[12:13], v[34:35]
	s_cbranch_execz .LBB424_15
; %bb.14:
	v_subrev_nc_u32_e32 v1, s9, v34
	v_lshlrev_b32_e32 v3, 3, v1
	s_clause 0x1
	global_load_dwordx2 v[1:2], v3, s[6:7]
	global_load_dwordx2 v[3:4], v3, s[10:11]
	s_waitcnt vmcnt(0)
	ds_write_b128 v42, v[1:4] offset:8192
.LBB424_15:
	s_or_b32 exec_lo, exec_lo, s16
.LBB424_16:
	s_andn2_saveexec_b32 s15, s15
	s_cbranch_execz .LBB424_18
; %bb.17:
	v_lshlrev_b32_e32 v3, 3, v34
	s_clause 0x1
	global_load_dwordx2 v[1:2], v3, s[0:1]
	global_load_dwordx2 v[3:4], v3, s[2:3]
	s_waitcnt vmcnt(0)
	ds_write_b128 v42, v[1:4] offset:8192
.LBB424_18:
	;; [unrolled: 32-line block ×6, first 2 shown]
	s_or_b32 exec_lo, exec_lo, s15
	v_or_b32_e32 v39, 0x700, v0
	v_mov_b32_e32 v40, 0
	s_mov_b32 s15, exec_lo
	v_cmpx_le_u32_e64 s9, v39
	s_xor_b32 s15, exec_lo, s15
	s_cbranch_execz .LBB424_46
; %bb.43:
	v_cmp_gt_u64_e32 vcc_lo, s[12:13], v[39:40]
	s_and_saveexec_b32 s12, vcc_lo
	s_cbranch_execz .LBB424_45
; %bb.44:
	v_subrev_nc_u32_e32 v1, s9, v39
	v_lshlrev_b32_e32 v3, 3, v1
	s_clause 0x1
	global_load_dwordx2 v[1:2], v3, s[6:7]
	global_load_dwordx2 v[3:4], v3, s[10:11]
	s_waitcnt vmcnt(0)
	ds_write_b128 v42, v[1:4] offset:28672
.LBB424_45:
	s_or_b32 exec_lo, exec_lo, s12
.LBB424_46:
	s_or_saveexec_b32 s6, s15
	s_load_dwordx2 s[10:11], s[4:5], 0x38
	s_xor_b32 exec_lo, exec_lo, s6
	s_cbranch_execz .LBB424_48
; %bb.47:
	v_lshlrev_b32_e32 v3, 3, v39
	s_clause 0x1
	global_load_dwordx2 v[1:2], v3, s[0:1]
	global_load_dwordx2 v[3:4], v3, s[2:3]
	s_waitcnt vmcnt(0)
	ds_write_b128 v42, v[1:4] offset:28672
.LBB424_48:
	s_or_b32 exec_lo, exec_lo, s6
	v_sub_nc_u32_e64 v40, v41, s14 clamp
	v_min_u32_e32 v1, s9, v41
	s_mov_b32 s0, exec_lo
	s_waitcnt lgkmcnt(0)
	s_barrier
	buffer_gl0_inv
	v_cmpx_lt_u32_e64 v40, v1
	s_cbranch_execz .LBB424_52
; %bb.49:
	v_lshlrev_b32_e32 v2, 4, v41
	s_mov_b32 s1, 0
	v_lshl_add_u32 v2, s9, 4, v2
	.p2align	6
.LBB424_50:                             ; =>This Inner Loop Header: Depth=1
	v_add_nc_u32_e32 v3, v1, v40
	v_lshrrev_b32_e32 v7, 1, v3
	v_not_b32_e32 v3, v7
	v_lshlrev_b32_e32 v4, 4, v7
	v_lshl_add_u32 v5, v3, 4, v2
	ds_read_b64 v[3:4], v4
	ds_read_b64 v[5:6], v5
	s_waitcnt lgkmcnt(0)
	v_cmp_gt_i64_e32 vcc_lo, v[5:6], v[3:4]
	v_add_nc_u32_e32 v3, 1, v7
	v_cndmask_b32_e32 v1, v1, v7, vcc_lo
	v_cndmask_b32_e32 v40, v3, v40, vcc_lo
	v_cmp_ge_u32_e32 vcc_lo, v40, v1
	s_or_b32 s1, vcc_lo, s1
	s_andn2_b32 exec_lo, exec_lo, s1
	s_cbranch_execnz .LBB424_50
; %bb.51:
	s_or_b32 exec_lo, exec_lo, s1
.LBB424_52:
	s_or_b32 exec_lo, exec_lo, s0
	v_add_nc_u32_e32 v1, s9, v41
	s_add_i32 s14, s14, s9
	v_cmp_ge_u32_e32 vcc_lo, s9, v40
	v_mov_b32_e32 v11, 0
	v_mov_b32_e32 v3, 0
	v_sub_nc_u32_e32 v43, v1, v40
	v_mov_b32_e32 v7, 0
	v_mov_b32_e32 v23, 0
	v_mov_b32_e32 v27, 0
	v_mov_b32_e32 v15, 0
	v_cmp_ge_u32_e64 s0, s14, v43
	v_mov_b32_e32 v19, 0
	v_mov_b32_e32 v31, 0
	;; [unrolled: 1-line block ×26, first 2 shown]
	s_or_b32 s0, vcc_lo, s0
	s_and_saveexec_b32 s7, s0
	s_cbranch_execz .LBB424_58
; %bb.53:
	v_mov_b32_e32 v7, 0
	v_mov_b32_e32 v3, 0
	v_mov_b32_e32 v1, 0
	v_mov_b32_e32 v8, 0
	v_mov_b32_e32 v4, 0
	v_mov_b32_e32 v2, 0
	v_cmp_gt_u32_e32 vcc_lo, s9, v40
	s_and_saveexec_b32 s0, vcc_lo
; %bb.54:
	v_lshlrev_b32_e32 v1, 4, v40
	ds_read_b128 v[1:4], v1
; %bb.55:
	s_or_b32 exec_lo, exec_lo, s0
	v_mov_b32_e32 v5, 0
	v_cmp_le_u32_e64 s0, s14, v43
	v_mov_b32_e32 v6, 0
	s_mov_b32 s2, exec_lo
	v_cmpx_gt_u32_e64 s14, v43
; %bb.56:
	v_lshlrev_b32_e32 v5, 4, v43
	ds_read_b128 v[5:8], v5
; %bb.57:
	s_or_b32 exec_lo, exec_lo, s2
	s_waitcnt lgkmcnt(0)
	v_cmp_le_i64_e64 s1, v[5:6], v[1:2]
	v_mov_b32_e32 v61, s9
	s_and_b32 s1, vcc_lo, s1
	s_or_b32 vcc_lo, s0, s1
	v_cndmask_b32_e32 v9, v43, v40, vcc_lo
	v_cndmask_b32_e32 v10, s14, v61, vcc_lo
	v_add_nc_u32_e32 v9, 1, v9
	v_add_nc_u32_e32 v10, -1, v10
	v_min_u32_e32 v10, v9, v10
	v_lshlrev_b32_e32 v10, 4, v10
	ds_read_b128 v[11:14], v10
	v_cndmask_b32_e32 v10, v40, v9, vcc_lo
	v_cndmask_b32_e32 v9, v9, v43, vcc_lo
	v_cmp_gt_u32_e64 s1, s9, v10
	v_cmp_le_u32_e64 s2, s14, v9
	s_waitcnt lgkmcnt(0)
	v_cndmask_b32_e32 v32, v12, v6, vcc_lo
	v_cndmask_b32_e32 v31, v11, v5, vcc_lo
	;; [unrolled: 1-line block ×4, first 2 shown]
	v_cmp_le_i64_e64 s0, v[31:32], v[47:48]
	s_and_b32 s0, s1, s0
	s_or_b32 s0, s2, s0
	v_cndmask_b32_e64 v11, v9, v10, s0
	v_cndmask_b32_e64 v12, s14, v61, s0
	v_add_nc_u32_e32 v11, 1, v11
	v_add_nc_u32_e32 v12, -1, v12
	v_cndmask_b32_e64 v10, v10, v11, s0
	v_min_u32_e32 v12, v11, v12
	v_cndmask_b32_e64 v9, v11, v9, s0
	v_cmp_gt_u32_e64 s2, s9, v10
	v_lshlrev_b32_e32 v12, 4, v12
	v_cmp_le_u32_e64 s3, s14, v9
	ds_read_b128 v[15:18], v12
	s_waitcnt lgkmcnt(0)
	v_cndmask_b32_e64 v50, v16, v32, s0
	v_cndmask_b32_e64 v49, v15, v31, s0
	v_cndmask_b32_e64 v16, v48, v16, s0
	v_cndmask_b32_e64 v15, v47, v15, s0
	v_cmp_le_i64_e64 s1, v[49:50], v[15:16]
	s_and_b32 s1, s2, s1
	s_or_b32 s1, s3, s1
	v_cndmask_b32_e64 v11, v9, v10, s1
	v_cndmask_b32_e64 v12, s14, v61, s1
	v_add_nc_u32_e32 v11, 1, v11
	v_add_nc_u32_e32 v12, -1, v12
	v_cndmask_b32_e64 v10, v10, v11, s1
	v_min_u32_e32 v12, v11, v12
	v_cndmask_b32_e64 v9, v11, v9, s1
	v_cmp_gt_u32_e64 s3, s9, v10
	v_lshlrev_b32_e32 v12, 4, v12
	v_cmp_le_u32_e64 s4, s14, v9
	ds_read_b128 v[19:22], v12
	s_waitcnt lgkmcnt(0)
	v_cndmask_b32_e64 v52, v20, v50, s1
	v_cndmask_b32_e64 v51, v19, v49, s1
	v_cndmask_b32_e64 v20, v16, v20, s1
	v_cndmask_b32_e64 v19, v15, v19, s1
	;; [unrolled: 19-line block ×3, first 2 shown]
	v_cmp_le_i64_e64 s3, v[53:54], v[55:56]
	s_and_b32 s3, s4, s3
	s_or_b32 s3, s5, s3
	v_cndmask_b32_e64 v11, v9, v10, s3
	v_cndmask_b32_e64 v12, s14, v61, s3
	v_add_nc_u32_e32 v11, 1, v11
	v_add_nc_u32_e32 v12, -1, v12
	v_cndmask_b32_e64 v23, v10, v11, s3
	v_min_u32_e32 v12, v11, v12
	v_cndmask_b32_e64 v24, v11, v9, s3
	v_cndmask_b32_e32 v11, v7, v3, vcc_lo
	v_cmp_gt_u32_e64 s5, s9, v23
	v_lshlrev_b32_e32 v12, 4, v12
	v_cmp_le_u32_e64 s6, s14, v24
	ds_read_b128 v[27:30], v12
	v_cndmask_b32_e32 v12, v8, v4, vcc_lo
	s_waitcnt lgkmcnt(0)
	v_cndmask_b32_e64 v58, v28, v54, s3
	v_cndmask_b32_e64 v57, v27, v53, s3
	;; [unrolled: 1-line block ×4, first 2 shown]
	v_cmp_le_i64_e64 s4, v[57:58], v[59:60]
	s_and_b32 s4, s5, s4
	s_or_b32 s4, s6, s4
	v_cndmask_b32_e64 v9, v24, v23, s4
	v_cndmask_b32_e64 v10, s14, v61, s4
	v_add_nc_u32_e32 v27, 1, v9
	v_add_nc_u32_e32 v9, -1, v10
	v_cndmask_b32_e32 v10, v6, v2, vcc_lo
	v_cndmask_b32_e64 v2, v32, v48, s0
	v_cndmask_b32_e32 v6, v14, v8, vcc_lo
	v_cndmask_b32_e64 v40, v23, v27, s4
	v_min_u32_e32 v9, v27, v9
	v_cndmask_b32_e64 v62, v27, v24, s4
	v_cndmask_b32_e32 v8, v4, v14, vcc_lo
	v_cndmask_b32_e64 v14, v18, v6, s0
	v_cmp_gt_u32_e64 s5, s9, v40
	v_lshlrev_b32_e32 v9, 4, v9
	v_cmp_le_u32_e64 s6, s14, v62
	v_cndmask_b32_e64 v4, v6, v8, s0
	v_cndmask_b32_e64 v18, v8, v18, s0
	;; [unrolled: 1-line block ×3, first 2 shown]
	ds_read_b128 v[43:46], v9
	v_cndmask_b32_e32 v9, v5, v1, vcc_lo
	v_cndmask_b32_e64 v1, v31, v47, s0
	v_cndmask_b32_e32 v5, v13, v7, vcc_lo
	v_cndmask_b32_e32 v7, v3, v13, vcc_lo
	v_cndmask_b32_e64 v8, v14, v18, s1
	v_cndmask_b32_e64 v14, v22, v14, s1
	;; [unrolled: 1-line block ×14, first 2 shown]
	s_waitcnt lgkmcnt(0)
	v_cndmask_b32_e64 v32, v44, v58, s4
	v_cndmask_b32_e64 v31, v43, v57, s4
	;; [unrolled: 1-line block ×6, first 2 shown]
	v_cmp_le_i64_e32 vcc_lo, v[31:32], v[43:44]
	s_and_b32 s5, s5, vcc_lo
	s_or_b32 vcc_lo, s6, s5
	v_cndmask_b32_e32 v7, v62, v40, vcc_lo
	v_cndmask_b32_e32 v23, s14, v61, vcc_lo
	v_add_nc_u32_e32 v61, 1, v7
	v_add_nc_u32_e32 v15, -1, v23
	v_cndmask_b32_e64 v7, v13, v17, s1
	v_cndmask_b32_e64 v13, v21, v13, s1
	;; [unrolled: 1-line block ×4, first 2 shown]
	v_min_u32_e32 v15, v61, v15
	v_cndmask_b32_e64 v19, v16, v30, s3
	v_cndmask_b32_e32 v40, v40, v61, vcc_lo
	v_cndmask_b32_e64 v23, v13, v17, s2
	v_cndmask_b32_e64 v13, v25, v13, s2
	v_lshlrev_b32_e32 v15, 4, v15
	v_cndmask_b32_e64 v16, v18, v19, s4
	v_cndmask_b32_e32 v18, v32, v44, vcc_lo
	v_cndmask_b32_e64 v46, v19, v46, s4
	v_cmp_gt_u32_e64 s1, s9, v40
	ds_read_b128 v[47:50], v15
	v_cndmask_b32_e64 v15, v17, v25, s2
	v_cndmask_b32_e64 v17, v29, v13, s3
	;; [unrolled: 1-line block ×8, first 2 shown]
	v_cndmask_b32_e32 v17, v31, v43, vcc_lo
	v_cndmask_b32_e64 v45, v20, v45, s4
	v_cndmask_b32_e32 v20, v52, v46, vcc_lo
	v_cndmask_b32_e32 v19, v51, v45, vcc_lo
	s_waitcnt lgkmcnt(0)
	v_cndmask_b32_e32 v30, v48, v32, vcc_lo
	v_cndmask_b32_e32 v29, v47, v31, vcc_lo
	;; [unrolled: 1-line block ×8, first 2 shown]
	v_cmp_le_i64_e64 s0, v[29:30], v[31:32]
	v_cmp_le_u32_e64 s2, s14, v43
	v_cndmask_b32_e32 v43, v50, v52, vcc_lo
	s_and_b32 s0, s1, s0
	s_or_b32 vcc_lo, s2, s0
	v_cndmask_b32_e32 v30, v30, v32, vcc_lo
	v_cndmask_b32_e32 v29, v29, v31, vcc_lo
	;; [unrolled: 1-line block ×4, first 2 shown]
.LBB424_58:
	s_or_b32 exec_lo, exec_lo, s7
	v_lshlrev_b32_e32 v40, 2, v0
	s_mov_b32 s9, 0
	s_sub_i32 s4, s20, s8
	s_lshl_b64 s[2:3], s[8:9], 3
	v_and_b32_e32 v40, 0x3f0, v40
	s_add_u32 s0, s18, s2
	s_barrier
	buffer_gl0_inv
	s_addc_u32 s1, s19, s3
	v_lshl_add_u32 v40, v41, 4, v40
	s_add_u32 s2, s10, s2
	s_addc_u32 s3, s11, s3
	s_cmpk_gt_u32 s4, 0x7ff
	ds_write_b128 v40, v[9:12]
	ds_write_b128 v40, v[1:4] offset:16
	ds_write_b128 v40, v[5:8] offset:32
	;; [unrolled: 1-line block ×4, first 2 shown]
	v_lshrrev_b32_e32 v11, 1, v33
	v_lshrrev_b32_e32 v10, 1, v34
	;; [unrolled: 1-line block ×7, first 2 shown]
	ds_write_b128 v40, v[13:16] offset:80
	ds_write_b128 v40, v[17:20] offset:96
	;; [unrolled: 1-line block ×3, first 2 shown]
	s_waitcnt lgkmcnt(0)
	s_cbranch_scc0 .LBB424_60
; %bb.59:
	v_lshrrev_b32_e32 v1, 1, v0
	s_barrier
	buffer_gl0_inv
	v_and_b32_e32 v2, 0xf0, v11
	v_and_b32_e32 v3, 0x1f0, v10
	;; [unrolled: 1-line block ×7, first 2 shown]
	v_add_nc_u32_e32 v1, v1, v42
	v_and_b32_e32 v19, 0x3f0, v5
	v_add_co_u32 v32, s5, s0, v41
	v_add_nc_u32_e32 v43, v17, v42
	ds_read_b128 v[12:15], v1
	v_add_nc_u32_e32 v1, v2, v42
	v_add_nc_u32_e32 v2, v3, v42
	;; [unrolled: 1-line block ×6, first 2 shown]
	ds_read_b128 v[16:19], v2 offset:8192
	ds_read_b128 v[20:23], v3 offset:12288
	;; [unrolled: 1-line block ×7, first 2 shown]
	v_add_co_ci_u32_e64 v40, null, s1, 0, s5
	v_add_co_u32 v53, s5, s2, v41
	v_add_co_ci_u32_e64 v54, null, s3, 0, s5
	s_mov_b32 s9, -1
	s_waitcnt lgkmcnt(7)
	global_store_dwordx2 v41, v[12:13], s[0:1]
	global_store_dwordx2 v41, v[14:15], s[2:3]
	v_add_co_u32 v12, vcc_lo, v32, 0x1000
	v_add_co_ci_u32_e64 v13, null, 0, v40, vcc_lo
	v_add_co_u32 v14, vcc_lo, v53, 0x1000
	v_add_co_ci_u32_e64 v15, null, 0, v54, vcc_lo
	v_add_co_u32 v51, vcc_lo, v32, 0x2000
	v_add_co_ci_u32_e64 v52, null, 0, v40, vcc_lo
	s_waitcnt lgkmcnt(4)
	global_store_dwordx2 v[12:13], v[24:25], off offset:-2048
	global_store_dwordx2 v[14:15], v[26:27], off offset:-2048
	global_store_dwordx2 v[12:13], v[16:17], off
	global_store_dwordx2 v[14:15], v[18:19], off
	global_store_dwordx2 v[51:52], v[20:21], off offset:-2048
	v_add_co_u32 v12, vcc_lo, v53, 0x2000
	v_add_co_ci_u32_e64 v13, null, 0, v54, vcc_lo
	v_add_co_u32 v14, vcc_lo, v32, 0x3000
	v_add_co_ci_u32_e64 v15, null, 0, v40, vcc_lo
	;; [unrolled: 2-line block ×3, first 2 shown]
	global_store_dwordx2 v[12:13], v[22:23], off offset:-2048
	s_waitcnt lgkmcnt(3)
	global_store_dwordx2 v[51:52], v[28:29], off
	global_store_dwordx2 v[12:13], v[30:31], off
	s_waitcnt lgkmcnt(2)
	global_store_dwordx2 v[14:15], v[43:44], off offset:-2048
	global_store_dwordx2 v[16:17], v[45:46], off offset:-2048
	s_waitcnt lgkmcnt(1)
	global_store_dwordx2 v[14:15], v[47:48], off
	global_store_dwordx2 v[16:17], v[49:50], off
	s_cbranch_execz .LBB424_61
	s_branch .LBB424_70
.LBB424_60:
                                        ; implicit-def: $vgpr3_vgpr4
.LBB424_61:
	s_waitcnt lgkmcnt(0)
	v_and_b32_e32 v1, 0xf0, v11
	v_and_b32_e32 v2, 0x1f0, v10
	;; [unrolled: 1-line block ×5, first 2 shown]
	v_add_nc_u32_e32 v1, v1, v42
	v_add_nc_u32_e32 v2, v2, v42
	s_barrier
	s_waitcnt_vscnt null, 0x0
	buffer_gl0_inv
	v_add_nc_u32_e32 v3, v3, v42
	ds_read_b128 v[25:28], v1 offset:4096
	ds_read_b128 v[21:24], v2 offset:8192
	v_and_b32_e32 v1, 0x3f0, v6
	v_and_b32_e32 v2, 0x3f0, v5
	v_add_nc_u32_e32 v4, v4, v42
	v_add_nc_u32_e32 v5, v7, v42
	v_add_co_u32 v31, s5, s0, v41
	v_add_nc_u32_e32 v1, v1, v42
	v_add_nc_u32_e32 v2, v2, v42
	ds_read_b128 v[17:20], v3 offset:12288
	ds_read_b128 v[13:16], v4 offset:16384
	;; [unrolled: 1-line block ×5, first 2 shown]
	v_add_co_ci_u32_e64 v32, null, s1, 0, s5
	v_add_co_u32 v29, s5, s2, v41
	v_add_co_ci_u32_e64 v30, null, s3, 0, s5
	s_mov_b32 s5, exec_lo
	v_cmpx_gt_u32_e64 s4, v0
	s_cbranch_execnz .LBB424_73
; %bb.62:
	s_or_b32 exec_lo, exec_lo, s5
	s_mov_b32 s5, exec_lo
	v_cmpx_gt_u32_e64 s4, v33
	s_cbranch_execnz .LBB424_74
.LBB424_63:
	s_or_b32 exec_lo, exec_lo, s5
	s_mov_b32 s5, exec_lo
	v_cmpx_gt_u32_e64 s4, v34
	s_cbranch_execnz .LBB424_75
.LBB424_64:
	s_or_b32 exec_lo, exec_lo, s5
	s_mov_b32 s5, exec_lo
	v_cmpx_gt_u32_e64 s4, v35
	s_cbranch_execnz .LBB424_76
.LBB424_65:
	s_or_b32 exec_lo, exec_lo, s5
	s_mov_b32 s5, exec_lo
	v_cmpx_gt_u32_e64 s4, v36
	s_cbranch_execnz .LBB424_77
.LBB424_66:
	s_or_b32 exec_lo, exec_lo, s5
	s_mov_b32 s5, exec_lo
	v_cmpx_gt_u32_e64 s4, v37
	s_cbranch_execnz .LBB424_78
.LBB424_67:
	s_or_b32 exec_lo, exec_lo, s5
	s_mov_b32 s5, exec_lo
	v_cmpx_gt_u32_e64 s4, v38
	s_cbranch_execz .LBB424_69
.LBB424_68:
	s_waitcnt lgkmcnt(2)
	v_add_co_u32 v9, vcc_lo, 0x3000, v31
	v_add_co_ci_u32_e64 v10, null, 0, v32, vcc_lo
	v_add_co_u32 v11, vcc_lo, 0x3000, v29
	v_add_co_ci_u32_e64 v12, null, 0, v30, vcc_lo
	s_waitcnt lgkmcnt(1)
	global_store_dwordx2 v[9:10], v[5:6], off
	global_store_dwordx2 v[11:12], v[7:8], off
.LBB424_69:
	s_or_b32 exec_lo, exec_lo, s5
	v_cmp_gt_u32_e64 s9, s4, v39
.LBB424_70:
	s_and_saveexec_b32 s4, s9
	s_cbranch_execnz .LBB424_72
; %bb.71:
	s_endpgm
.LBB424_72:
	v_add_co_u32 v0, s0, s0, v41
	s_waitcnt lgkmcnt(1)
	v_add_co_ci_u32_e64 v6, null, s1, 0, s0
	v_add_co_u32 v7, s0, s2, v41
	v_add_co_ci_u32_e64 v8, null, s3, 0, s0
	v_add_co_u32 v5, vcc_lo, 0x3800, v0
	v_add_co_ci_u32_e64 v6, null, 0, v6, vcc_lo
	v_add_co_u32 v7, vcc_lo, 0x3800, v7
	v_add_co_ci_u32_e64 v8, null, 0, v8, vcc_lo
	s_waitcnt lgkmcnt(0)
	global_store_dwordx2 v[5:6], v[1:2], off
	global_store_dwordx2 v[7:8], v[3:4], off
	s_endpgm
.LBB424_73:
	v_lshrrev_b32_e32 v40, 1, v0
	v_and_b32_e32 v40, 0x70, v40
	v_lshl_add_u32 v0, v0, 4, v40
	ds_read_b128 v[42:45], v0
	s_waitcnt lgkmcnt(0)
	global_store_dwordx2 v[31:32], v[42:43], off
	global_store_dwordx2 v[29:30], v[44:45], off
	s_or_b32 exec_lo, exec_lo, s5
	s_mov_b32 s5, exec_lo
	v_cmpx_gt_u32_e64 s4, v33
	s_cbranch_execz .LBB424_63
.LBB424_74:
	v_add_co_u32 v42, vcc_lo, 0x800, v31
	v_add_co_ci_u32_e64 v43, null, 0, v32, vcc_lo
	v_add_co_u32 v44, vcc_lo, 0x800, v29
	v_add_co_ci_u32_e64 v45, null, 0, v30, vcc_lo
	s_waitcnt lgkmcnt(6)
	global_store_dwordx2 v[42:43], v[25:26], off
	global_store_dwordx2 v[44:45], v[27:28], off
	s_or_b32 exec_lo, exec_lo, s5
	s_mov_b32 s5, exec_lo
	v_cmpx_gt_u32_e64 s4, v34
	s_cbranch_execz .LBB424_64
.LBB424_75:
	s_waitcnt lgkmcnt(6)
	v_add_co_u32 v25, vcc_lo, 0x1000, v31
	v_add_co_ci_u32_e64 v26, null, 0, v32, vcc_lo
	v_add_co_u32 v27, vcc_lo, 0x1000, v29
	v_add_co_ci_u32_e64 v28, null, 0, v30, vcc_lo
	s_waitcnt lgkmcnt(5)
	global_store_dwordx2 v[25:26], v[21:22], off
	global_store_dwordx2 v[27:28], v[23:24], off
	s_or_b32 exec_lo, exec_lo, s5
	s_mov_b32 s5, exec_lo
	v_cmpx_gt_u32_e64 s4, v35
	s_cbranch_execz .LBB424_65
.LBB424_76:
	s_waitcnt lgkmcnt(5)
	v_add_co_u32 v21, vcc_lo, 0x1800, v31
	v_add_co_ci_u32_e64 v22, null, 0, v32, vcc_lo
	v_add_co_u32 v23, vcc_lo, 0x1800, v29
	v_add_co_ci_u32_e64 v24, null, 0, v30, vcc_lo
	s_waitcnt lgkmcnt(4)
	global_store_dwordx2 v[21:22], v[17:18], off
	global_store_dwordx2 v[23:24], v[19:20], off
	s_or_b32 exec_lo, exec_lo, s5
	s_mov_b32 s5, exec_lo
	v_cmpx_gt_u32_e64 s4, v36
	s_cbranch_execz .LBB424_66
.LBB424_77:
	s_waitcnt lgkmcnt(4)
	v_add_co_u32 v17, vcc_lo, 0x2000, v31
	v_add_co_ci_u32_e64 v18, null, 0, v32, vcc_lo
	v_add_co_u32 v19, vcc_lo, 0x2000, v29
	v_add_co_ci_u32_e64 v20, null, 0, v30, vcc_lo
	s_waitcnt lgkmcnt(3)
	global_store_dwordx2 v[17:18], v[13:14], off
	global_store_dwordx2 v[19:20], v[15:16], off
	s_or_b32 exec_lo, exec_lo, s5
	s_mov_b32 s5, exec_lo
	v_cmpx_gt_u32_e64 s4, v37
	s_cbranch_execz .LBB424_67
.LBB424_78:
	s_waitcnt lgkmcnt(3)
	v_add_co_u32 v13, vcc_lo, 0x2800, v31
	v_add_co_ci_u32_e64 v14, null, 0, v32, vcc_lo
	v_add_co_u32 v15, vcc_lo, 0x2800, v29
	v_add_co_ci_u32_e64 v16, null, 0, v30, vcc_lo
	s_waitcnt lgkmcnt(2)
	global_store_dwordx2 v[13:14], v[9:10], off
	global_store_dwordx2 v[15:16], v[11:12], off
	s_or_b32 exec_lo, exec_lo, s5
	s_mov_b32 s5, exec_lo
	v_cmpx_gt_u32_e64 s4, v38
	s_cbranch_execnz .LBB424_68
	s_branch .LBB424_69
	.section	.rodata,"a",@progbits
	.p2align	6, 0x0
	.amdhsa_kernel _ZN7rocprim17ROCPRIM_400000_NS6detail17trampoline_kernelINS0_14default_configENS1_21merge_config_selectorINS0_5tupleIJxxEEENS0_10empty_typeEEEZNS1_10merge_implIS3_NS0_12zip_iteratorINS5_IJN6thrust23THRUST_200600_302600_NS6detail15normal_iteratorINSC_10device_ptrIKxEEEESI_EEEEESK_NSA_INS5_IJNSE_INSF_IxEEEESM_EEEEEPS7_SP_SP_NSC_11hip_rocprim7__merge17predicate_wrapperIxxNSC_7greaterIxEEEEEE10hipError_tPvRmT0_T1_T2_T3_T4_T5_mmT6_P12ihipStream_tbEUlT_E0_NS1_11comp_targetILNS1_3genE8ELNS1_11target_archE1030ELNS1_3gpuE2ELNS1_3repE0EEENS1_30default_config_static_selectorELNS0_4arch9wavefront6targetE0EEEvS10_
		.amdhsa_group_segment_fixed_size 33792
		.amdhsa_private_segment_fixed_size 0
		.amdhsa_kernarg_size 112
		.amdhsa_user_sgpr_count 6
		.amdhsa_user_sgpr_private_segment_buffer 1
		.amdhsa_user_sgpr_dispatch_ptr 0
		.amdhsa_user_sgpr_queue_ptr 0
		.amdhsa_user_sgpr_kernarg_segment_ptr 1
		.amdhsa_user_sgpr_dispatch_id 0
		.amdhsa_user_sgpr_flat_scratch_init 0
		.amdhsa_user_sgpr_private_segment_size 0
		.amdhsa_wavefront_size32 1
		.amdhsa_uses_dynamic_stack 0
		.amdhsa_system_sgpr_private_segment_wavefront_offset 0
		.amdhsa_system_sgpr_workgroup_id_x 1
		.amdhsa_system_sgpr_workgroup_id_y 0
		.amdhsa_system_sgpr_workgroup_id_z 0
		.amdhsa_system_sgpr_workgroup_info 0
		.amdhsa_system_vgpr_workitem_id 0
		.amdhsa_next_free_vgpr 145
		.amdhsa_next_free_sgpr 26
		.amdhsa_reserve_vcc 1
		.amdhsa_reserve_flat_scratch 0
		.amdhsa_float_round_mode_32 0
		.amdhsa_float_round_mode_16_64 0
		.amdhsa_float_denorm_mode_32 3
		.amdhsa_float_denorm_mode_16_64 3
		.amdhsa_dx10_clamp 1
		.amdhsa_ieee_mode 1
		.amdhsa_fp16_overflow 0
		.amdhsa_workgroup_processor_mode 1
		.amdhsa_memory_ordered 1
		.amdhsa_forward_progress 1
		.amdhsa_shared_vgpr_count 0
		.amdhsa_exception_fp_ieee_invalid_op 0
		.amdhsa_exception_fp_denorm_src 0
		.amdhsa_exception_fp_ieee_div_zero 0
		.amdhsa_exception_fp_ieee_overflow 0
		.amdhsa_exception_fp_ieee_underflow 0
		.amdhsa_exception_fp_ieee_inexact 0
		.amdhsa_exception_int_div_zero 0
	.end_amdhsa_kernel
	.section	.text._ZN7rocprim17ROCPRIM_400000_NS6detail17trampoline_kernelINS0_14default_configENS1_21merge_config_selectorINS0_5tupleIJxxEEENS0_10empty_typeEEEZNS1_10merge_implIS3_NS0_12zip_iteratorINS5_IJN6thrust23THRUST_200600_302600_NS6detail15normal_iteratorINSC_10device_ptrIKxEEEESI_EEEEESK_NSA_INS5_IJNSE_INSF_IxEEEESM_EEEEEPS7_SP_SP_NSC_11hip_rocprim7__merge17predicate_wrapperIxxNSC_7greaterIxEEEEEE10hipError_tPvRmT0_T1_T2_T3_T4_T5_mmT6_P12ihipStream_tbEUlT_E0_NS1_11comp_targetILNS1_3genE8ELNS1_11target_archE1030ELNS1_3gpuE2ELNS1_3repE0EEENS1_30default_config_static_selectorELNS0_4arch9wavefront6targetE0EEEvS10_,"axG",@progbits,_ZN7rocprim17ROCPRIM_400000_NS6detail17trampoline_kernelINS0_14default_configENS1_21merge_config_selectorINS0_5tupleIJxxEEENS0_10empty_typeEEEZNS1_10merge_implIS3_NS0_12zip_iteratorINS5_IJN6thrust23THRUST_200600_302600_NS6detail15normal_iteratorINSC_10device_ptrIKxEEEESI_EEEEESK_NSA_INS5_IJNSE_INSF_IxEEEESM_EEEEEPS7_SP_SP_NSC_11hip_rocprim7__merge17predicate_wrapperIxxNSC_7greaterIxEEEEEE10hipError_tPvRmT0_T1_T2_T3_T4_T5_mmT6_P12ihipStream_tbEUlT_E0_NS1_11comp_targetILNS1_3genE8ELNS1_11target_archE1030ELNS1_3gpuE2ELNS1_3repE0EEENS1_30default_config_static_selectorELNS0_4arch9wavefront6targetE0EEEvS10_,comdat
.Lfunc_end424:
	.size	_ZN7rocprim17ROCPRIM_400000_NS6detail17trampoline_kernelINS0_14default_configENS1_21merge_config_selectorINS0_5tupleIJxxEEENS0_10empty_typeEEEZNS1_10merge_implIS3_NS0_12zip_iteratorINS5_IJN6thrust23THRUST_200600_302600_NS6detail15normal_iteratorINSC_10device_ptrIKxEEEESI_EEEEESK_NSA_INS5_IJNSE_INSF_IxEEEESM_EEEEEPS7_SP_SP_NSC_11hip_rocprim7__merge17predicate_wrapperIxxNSC_7greaterIxEEEEEE10hipError_tPvRmT0_T1_T2_T3_T4_T5_mmT6_P12ihipStream_tbEUlT_E0_NS1_11comp_targetILNS1_3genE8ELNS1_11target_archE1030ELNS1_3gpuE2ELNS1_3repE0EEENS1_30default_config_static_selectorELNS0_4arch9wavefront6targetE0EEEvS10_, .Lfunc_end424-_ZN7rocprim17ROCPRIM_400000_NS6detail17trampoline_kernelINS0_14default_configENS1_21merge_config_selectorINS0_5tupleIJxxEEENS0_10empty_typeEEEZNS1_10merge_implIS3_NS0_12zip_iteratorINS5_IJN6thrust23THRUST_200600_302600_NS6detail15normal_iteratorINSC_10device_ptrIKxEEEESI_EEEEESK_NSA_INS5_IJNSE_INSF_IxEEEESM_EEEEEPS7_SP_SP_NSC_11hip_rocprim7__merge17predicate_wrapperIxxNSC_7greaterIxEEEEEE10hipError_tPvRmT0_T1_T2_T3_T4_T5_mmT6_P12ihipStream_tbEUlT_E0_NS1_11comp_targetILNS1_3genE8ELNS1_11target_archE1030ELNS1_3gpuE2ELNS1_3repE0EEENS1_30default_config_static_selectorELNS0_4arch9wavefront6targetE0EEEvS10_
                                        ; -- End function
	.set _ZN7rocprim17ROCPRIM_400000_NS6detail17trampoline_kernelINS0_14default_configENS1_21merge_config_selectorINS0_5tupleIJxxEEENS0_10empty_typeEEEZNS1_10merge_implIS3_NS0_12zip_iteratorINS5_IJN6thrust23THRUST_200600_302600_NS6detail15normal_iteratorINSC_10device_ptrIKxEEEESI_EEEEESK_NSA_INS5_IJNSE_INSF_IxEEEESM_EEEEEPS7_SP_SP_NSC_11hip_rocprim7__merge17predicate_wrapperIxxNSC_7greaterIxEEEEEE10hipError_tPvRmT0_T1_T2_T3_T4_T5_mmT6_P12ihipStream_tbEUlT_E0_NS1_11comp_targetILNS1_3genE8ELNS1_11target_archE1030ELNS1_3gpuE2ELNS1_3repE0EEENS1_30default_config_static_selectorELNS0_4arch9wavefront6targetE0EEEvS10_.num_vgpr, 63
	.set _ZN7rocprim17ROCPRIM_400000_NS6detail17trampoline_kernelINS0_14default_configENS1_21merge_config_selectorINS0_5tupleIJxxEEENS0_10empty_typeEEEZNS1_10merge_implIS3_NS0_12zip_iteratorINS5_IJN6thrust23THRUST_200600_302600_NS6detail15normal_iteratorINSC_10device_ptrIKxEEEESI_EEEEESK_NSA_INS5_IJNSE_INSF_IxEEEESM_EEEEEPS7_SP_SP_NSC_11hip_rocprim7__merge17predicate_wrapperIxxNSC_7greaterIxEEEEEE10hipError_tPvRmT0_T1_T2_T3_T4_T5_mmT6_P12ihipStream_tbEUlT_E0_NS1_11comp_targetILNS1_3genE8ELNS1_11target_archE1030ELNS1_3gpuE2ELNS1_3repE0EEENS1_30default_config_static_selectorELNS0_4arch9wavefront6targetE0EEEvS10_.num_agpr, 0
	.set _ZN7rocprim17ROCPRIM_400000_NS6detail17trampoline_kernelINS0_14default_configENS1_21merge_config_selectorINS0_5tupleIJxxEEENS0_10empty_typeEEEZNS1_10merge_implIS3_NS0_12zip_iteratorINS5_IJN6thrust23THRUST_200600_302600_NS6detail15normal_iteratorINSC_10device_ptrIKxEEEESI_EEEEESK_NSA_INS5_IJNSE_INSF_IxEEEESM_EEEEEPS7_SP_SP_NSC_11hip_rocprim7__merge17predicate_wrapperIxxNSC_7greaterIxEEEEEE10hipError_tPvRmT0_T1_T2_T3_T4_T5_mmT6_P12ihipStream_tbEUlT_E0_NS1_11comp_targetILNS1_3genE8ELNS1_11target_archE1030ELNS1_3gpuE2ELNS1_3repE0EEENS1_30default_config_static_selectorELNS0_4arch9wavefront6targetE0EEEvS10_.numbered_sgpr, 26
	.set _ZN7rocprim17ROCPRIM_400000_NS6detail17trampoline_kernelINS0_14default_configENS1_21merge_config_selectorINS0_5tupleIJxxEEENS0_10empty_typeEEEZNS1_10merge_implIS3_NS0_12zip_iteratorINS5_IJN6thrust23THRUST_200600_302600_NS6detail15normal_iteratorINSC_10device_ptrIKxEEEESI_EEEEESK_NSA_INS5_IJNSE_INSF_IxEEEESM_EEEEEPS7_SP_SP_NSC_11hip_rocprim7__merge17predicate_wrapperIxxNSC_7greaterIxEEEEEE10hipError_tPvRmT0_T1_T2_T3_T4_T5_mmT6_P12ihipStream_tbEUlT_E0_NS1_11comp_targetILNS1_3genE8ELNS1_11target_archE1030ELNS1_3gpuE2ELNS1_3repE0EEENS1_30default_config_static_selectorELNS0_4arch9wavefront6targetE0EEEvS10_.num_named_barrier, 0
	.set _ZN7rocprim17ROCPRIM_400000_NS6detail17trampoline_kernelINS0_14default_configENS1_21merge_config_selectorINS0_5tupleIJxxEEENS0_10empty_typeEEEZNS1_10merge_implIS3_NS0_12zip_iteratorINS5_IJN6thrust23THRUST_200600_302600_NS6detail15normal_iteratorINSC_10device_ptrIKxEEEESI_EEEEESK_NSA_INS5_IJNSE_INSF_IxEEEESM_EEEEEPS7_SP_SP_NSC_11hip_rocprim7__merge17predicate_wrapperIxxNSC_7greaterIxEEEEEE10hipError_tPvRmT0_T1_T2_T3_T4_T5_mmT6_P12ihipStream_tbEUlT_E0_NS1_11comp_targetILNS1_3genE8ELNS1_11target_archE1030ELNS1_3gpuE2ELNS1_3repE0EEENS1_30default_config_static_selectorELNS0_4arch9wavefront6targetE0EEEvS10_.private_seg_size, 0
	.set _ZN7rocprim17ROCPRIM_400000_NS6detail17trampoline_kernelINS0_14default_configENS1_21merge_config_selectorINS0_5tupleIJxxEEENS0_10empty_typeEEEZNS1_10merge_implIS3_NS0_12zip_iteratorINS5_IJN6thrust23THRUST_200600_302600_NS6detail15normal_iteratorINSC_10device_ptrIKxEEEESI_EEEEESK_NSA_INS5_IJNSE_INSF_IxEEEESM_EEEEEPS7_SP_SP_NSC_11hip_rocprim7__merge17predicate_wrapperIxxNSC_7greaterIxEEEEEE10hipError_tPvRmT0_T1_T2_T3_T4_T5_mmT6_P12ihipStream_tbEUlT_E0_NS1_11comp_targetILNS1_3genE8ELNS1_11target_archE1030ELNS1_3gpuE2ELNS1_3repE0EEENS1_30default_config_static_selectorELNS0_4arch9wavefront6targetE0EEEvS10_.uses_vcc, 1
	.set _ZN7rocprim17ROCPRIM_400000_NS6detail17trampoline_kernelINS0_14default_configENS1_21merge_config_selectorINS0_5tupleIJxxEEENS0_10empty_typeEEEZNS1_10merge_implIS3_NS0_12zip_iteratorINS5_IJN6thrust23THRUST_200600_302600_NS6detail15normal_iteratorINSC_10device_ptrIKxEEEESI_EEEEESK_NSA_INS5_IJNSE_INSF_IxEEEESM_EEEEEPS7_SP_SP_NSC_11hip_rocprim7__merge17predicate_wrapperIxxNSC_7greaterIxEEEEEE10hipError_tPvRmT0_T1_T2_T3_T4_T5_mmT6_P12ihipStream_tbEUlT_E0_NS1_11comp_targetILNS1_3genE8ELNS1_11target_archE1030ELNS1_3gpuE2ELNS1_3repE0EEENS1_30default_config_static_selectorELNS0_4arch9wavefront6targetE0EEEvS10_.uses_flat_scratch, 0
	.set _ZN7rocprim17ROCPRIM_400000_NS6detail17trampoline_kernelINS0_14default_configENS1_21merge_config_selectorINS0_5tupleIJxxEEENS0_10empty_typeEEEZNS1_10merge_implIS3_NS0_12zip_iteratorINS5_IJN6thrust23THRUST_200600_302600_NS6detail15normal_iteratorINSC_10device_ptrIKxEEEESI_EEEEESK_NSA_INS5_IJNSE_INSF_IxEEEESM_EEEEEPS7_SP_SP_NSC_11hip_rocprim7__merge17predicate_wrapperIxxNSC_7greaterIxEEEEEE10hipError_tPvRmT0_T1_T2_T3_T4_T5_mmT6_P12ihipStream_tbEUlT_E0_NS1_11comp_targetILNS1_3genE8ELNS1_11target_archE1030ELNS1_3gpuE2ELNS1_3repE0EEENS1_30default_config_static_selectorELNS0_4arch9wavefront6targetE0EEEvS10_.has_dyn_sized_stack, 0
	.set _ZN7rocprim17ROCPRIM_400000_NS6detail17trampoline_kernelINS0_14default_configENS1_21merge_config_selectorINS0_5tupleIJxxEEENS0_10empty_typeEEEZNS1_10merge_implIS3_NS0_12zip_iteratorINS5_IJN6thrust23THRUST_200600_302600_NS6detail15normal_iteratorINSC_10device_ptrIKxEEEESI_EEEEESK_NSA_INS5_IJNSE_INSF_IxEEEESM_EEEEEPS7_SP_SP_NSC_11hip_rocprim7__merge17predicate_wrapperIxxNSC_7greaterIxEEEEEE10hipError_tPvRmT0_T1_T2_T3_T4_T5_mmT6_P12ihipStream_tbEUlT_E0_NS1_11comp_targetILNS1_3genE8ELNS1_11target_archE1030ELNS1_3gpuE2ELNS1_3repE0EEENS1_30default_config_static_selectorELNS0_4arch9wavefront6targetE0EEEvS10_.has_recursion, 0
	.set _ZN7rocprim17ROCPRIM_400000_NS6detail17trampoline_kernelINS0_14default_configENS1_21merge_config_selectorINS0_5tupleIJxxEEENS0_10empty_typeEEEZNS1_10merge_implIS3_NS0_12zip_iteratorINS5_IJN6thrust23THRUST_200600_302600_NS6detail15normal_iteratorINSC_10device_ptrIKxEEEESI_EEEEESK_NSA_INS5_IJNSE_INSF_IxEEEESM_EEEEEPS7_SP_SP_NSC_11hip_rocprim7__merge17predicate_wrapperIxxNSC_7greaterIxEEEEEE10hipError_tPvRmT0_T1_T2_T3_T4_T5_mmT6_P12ihipStream_tbEUlT_E0_NS1_11comp_targetILNS1_3genE8ELNS1_11target_archE1030ELNS1_3gpuE2ELNS1_3repE0EEENS1_30default_config_static_selectorELNS0_4arch9wavefront6targetE0EEEvS10_.has_indirect_call, 0
	.section	.AMDGPU.csdata,"",@progbits
; Kernel info:
; codeLenInByte = 4616
; TotalNumSgprs: 28
; NumVgprs: 63
; ScratchSize: 0
; MemoryBound: 0
; FloatMode: 240
; IeeeMode: 1
; LDSByteSize: 33792 bytes/workgroup (compile time only)
; SGPRBlocks: 0
; VGPRBlocks: 18
; NumSGPRsForWavesPerEU: 28
; NumVGPRsForWavesPerEU: 145
; Occupancy: 6
; WaveLimiterHint : 1
; COMPUTE_PGM_RSRC2:SCRATCH_EN: 0
; COMPUTE_PGM_RSRC2:USER_SGPR: 6
; COMPUTE_PGM_RSRC2:TRAP_HANDLER: 0
; COMPUTE_PGM_RSRC2:TGID_X_EN: 1
; COMPUTE_PGM_RSRC2:TGID_Y_EN: 0
; COMPUTE_PGM_RSRC2:TGID_Z_EN: 0
; COMPUTE_PGM_RSRC2:TIDIG_COMP_CNT: 0
	.section	.text._ZN7rocprim17ROCPRIM_400000_NS6detail17trampoline_kernelINS0_14default_configENS1_21merge_config_selectorINS0_5tupleIJiiEEENS0_10empty_typeEEEZNS1_10merge_implIS3_NS0_12zip_iteratorINS5_IJN6thrust23THRUST_200600_302600_NS6detail15normal_iteratorINSC_10device_ptrIKiEEEESI_EEEEESK_NSA_INS5_IJNSE_INSF_IiEEEESM_EEEEEPS7_SP_SP_NSC_11hip_rocprim7__merge17predicate_wrapperIiiNSC_7greaterIiEEEEEE10hipError_tPvRmT0_T1_T2_T3_T4_T5_mmT6_P12ihipStream_tbEUlT_E_NS1_11comp_targetILNS1_3genE0ELNS1_11target_archE4294967295ELNS1_3gpuE0ELNS1_3repE0EEENS1_30default_config_static_selectorELNS0_4arch9wavefront6targetE0EEEvS10_,"axG",@progbits,_ZN7rocprim17ROCPRIM_400000_NS6detail17trampoline_kernelINS0_14default_configENS1_21merge_config_selectorINS0_5tupleIJiiEEENS0_10empty_typeEEEZNS1_10merge_implIS3_NS0_12zip_iteratorINS5_IJN6thrust23THRUST_200600_302600_NS6detail15normal_iteratorINSC_10device_ptrIKiEEEESI_EEEEESK_NSA_INS5_IJNSE_INSF_IiEEEESM_EEEEEPS7_SP_SP_NSC_11hip_rocprim7__merge17predicate_wrapperIiiNSC_7greaterIiEEEEEE10hipError_tPvRmT0_T1_T2_T3_T4_T5_mmT6_P12ihipStream_tbEUlT_E_NS1_11comp_targetILNS1_3genE0ELNS1_11target_archE4294967295ELNS1_3gpuE0ELNS1_3repE0EEENS1_30default_config_static_selectorELNS0_4arch9wavefront6targetE0EEEvS10_,comdat
	.protected	_ZN7rocprim17ROCPRIM_400000_NS6detail17trampoline_kernelINS0_14default_configENS1_21merge_config_selectorINS0_5tupleIJiiEEENS0_10empty_typeEEEZNS1_10merge_implIS3_NS0_12zip_iteratorINS5_IJN6thrust23THRUST_200600_302600_NS6detail15normal_iteratorINSC_10device_ptrIKiEEEESI_EEEEESK_NSA_INS5_IJNSE_INSF_IiEEEESM_EEEEEPS7_SP_SP_NSC_11hip_rocprim7__merge17predicate_wrapperIiiNSC_7greaterIiEEEEEE10hipError_tPvRmT0_T1_T2_T3_T4_T5_mmT6_P12ihipStream_tbEUlT_E_NS1_11comp_targetILNS1_3genE0ELNS1_11target_archE4294967295ELNS1_3gpuE0ELNS1_3repE0EEENS1_30default_config_static_selectorELNS0_4arch9wavefront6targetE0EEEvS10_ ; -- Begin function _ZN7rocprim17ROCPRIM_400000_NS6detail17trampoline_kernelINS0_14default_configENS1_21merge_config_selectorINS0_5tupleIJiiEEENS0_10empty_typeEEEZNS1_10merge_implIS3_NS0_12zip_iteratorINS5_IJN6thrust23THRUST_200600_302600_NS6detail15normal_iteratorINSC_10device_ptrIKiEEEESI_EEEEESK_NSA_INS5_IJNSE_INSF_IiEEEESM_EEEEEPS7_SP_SP_NSC_11hip_rocprim7__merge17predicate_wrapperIiiNSC_7greaterIiEEEEEE10hipError_tPvRmT0_T1_T2_T3_T4_T5_mmT6_P12ihipStream_tbEUlT_E_NS1_11comp_targetILNS1_3genE0ELNS1_11target_archE4294967295ELNS1_3gpuE0ELNS1_3repE0EEENS1_30default_config_static_selectorELNS0_4arch9wavefront6targetE0EEEvS10_
	.globl	_ZN7rocprim17ROCPRIM_400000_NS6detail17trampoline_kernelINS0_14default_configENS1_21merge_config_selectorINS0_5tupleIJiiEEENS0_10empty_typeEEEZNS1_10merge_implIS3_NS0_12zip_iteratorINS5_IJN6thrust23THRUST_200600_302600_NS6detail15normal_iteratorINSC_10device_ptrIKiEEEESI_EEEEESK_NSA_INS5_IJNSE_INSF_IiEEEESM_EEEEEPS7_SP_SP_NSC_11hip_rocprim7__merge17predicate_wrapperIiiNSC_7greaterIiEEEEEE10hipError_tPvRmT0_T1_T2_T3_T4_T5_mmT6_P12ihipStream_tbEUlT_E_NS1_11comp_targetILNS1_3genE0ELNS1_11target_archE4294967295ELNS1_3gpuE0ELNS1_3repE0EEENS1_30default_config_static_selectorELNS0_4arch9wavefront6targetE0EEEvS10_
	.p2align	8
	.type	_ZN7rocprim17ROCPRIM_400000_NS6detail17trampoline_kernelINS0_14default_configENS1_21merge_config_selectorINS0_5tupleIJiiEEENS0_10empty_typeEEEZNS1_10merge_implIS3_NS0_12zip_iteratorINS5_IJN6thrust23THRUST_200600_302600_NS6detail15normal_iteratorINSC_10device_ptrIKiEEEESI_EEEEESK_NSA_INS5_IJNSE_INSF_IiEEEESM_EEEEEPS7_SP_SP_NSC_11hip_rocprim7__merge17predicate_wrapperIiiNSC_7greaterIiEEEEEE10hipError_tPvRmT0_T1_T2_T3_T4_T5_mmT6_P12ihipStream_tbEUlT_E_NS1_11comp_targetILNS1_3genE0ELNS1_11target_archE4294967295ELNS1_3gpuE0ELNS1_3repE0EEENS1_30default_config_static_selectorELNS0_4arch9wavefront6targetE0EEEvS10_,@function
_ZN7rocprim17ROCPRIM_400000_NS6detail17trampoline_kernelINS0_14default_configENS1_21merge_config_selectorINS0_5tupleIJiiEEENS0_10empty_typeEEEZNS1_10merge_implIS3_NS0_12zip_iteratorINS5_IJN6thrust23THRUST_200600_302600_NS6detail15normal_iteratorINSC_10device_ptrIKiEEEESI_EEEEESK_NSA_INS5_IJNSE_INSF_IiEEEESM_EEEEEPS7_SP_SP_NSC_11hip_rocprim7__merge17predicate_wrapperIiiNSC_7greaterIiEEEEEE10hipError_tPvRmT0_T1_T2_T3_T4_T5_mmT6_P12ihipStream_tbEUlT_E_NS1_11comp_targetILNS1_3genE0ELNS1_11target_archE4294967295ELNS1_3gpuE0ELNS1_3repE0EEENS1_30default_config_static_selectorELNS0_4arch9wavefront6targetE0EEEvS10_: ; @_ZN7rocprim17ROCPRIM_400000_NS6detail17trampoline_kernelINS0_14default_configENS1_21merge_config_selectorINS0_5tupleIJiiEEENS0_10empty_typeEEEZNS1_10merge_implIS3_NS0_12zip_iteratorINS5_IJN6thrust23THRUST_200600_302600_NS6detail15normal_iteratorINSC_10device_ptrIKiEEEESI_EEEEESK_NSA_INS5_IJNSE_INSF_IiEEEESM_EEEEEPS7_SP_SP_NSC_11hip_rocprim7__merge17predicate_wrapperIiiNSC_7greaterIiEEEEEE10hipError_tPvRmT0_T1_T2_T3_T4_T5_mmT6_P12ihipStream_tbEUlT_E_NS1_11comp_targetILNS1_3genE0ELNS1_11target_archE4294967295ELNS1_3gpuE0ELNS1_3repE0EEENS1_30default_config_static_selectorELNS0_4arch9wavefront6targetE0EEEvS10_
; %bb.0:
	.section	.rodata,"a",@progbits
	.p2align	6, 0x0
	.amdhsa_kernel _ZN7rocprim17ROCPRIM_400000_NS6detail17trampoline_kernelINS0_14default_configENS1_21merge_config_selectorINS0_5tupleIJiiEEENS0_10empty_typeEEEZNS1_10merge_implIS3_NS0_12zip_iteratorINS5_IJN6thrust23THRUST_200600_302600_NS6detail15normal_iteratorINSC_10device_ptrIKiEEEESI_EEEEESK_NSA_INS5_IJNSE_INSF_IiEEEESM_EEEEEPS7_SP_SP_NSC_11hip_rocprim7__merge17predicate_wrapperIiiNSC_7greaterIiEEEEEE10hipError_tPvRmT0_T1_T2_T3_T4_T5_mmT6_P12ihipStream_tbEUlT_E_NS1_11comp_targetILNS1_3genE0ELNS1_11target_archE4294967295ELNS1_3gpuE0ELNS1_3repE0EEENS1_30default_config_static_selectorELNS0_4arch9wavefront6targetE0EEEvS10_
		.amdhsa_group_segment_fixed_size 0
		.amdhsa_private_segment_fixed_size 0
		.amdhsa_kernarg_size 64
		.amdhsa_user_sgpr_count 6
		.amdhsa_user_sgpr_private_segment_buffer 1
		.amdhsa_user_sgpr_dispatch_ptr 0
		.amdhsa_user_sgpr_queue_ptr 0
		.amdhsa_user_sgpr_kernarg_segment_ptr 1
		.amdhsa_user_sgpr_dispatch_id 0
		.amdhsa_user_sgpr_flat_scratch_init 0
		.amdhsa_user_sgpr_private_segment_size 0
		.amdhsa_wavefront_size32 1
		.amdhsa_uses_dynamic_stack 0
		.amdhsa_system_sgpr_private_segment_wavefront_offset 0
		.amdhsa_system_sgpr_workgroup_id_x 1
		.amdhsa_system_sgpr_workgroup_id_y 0
		.amdhsa_system_sgpr_workgroup_id_z 0
		.amdhsa_system_sgpr_workgroup_info 0
		.amdhsa_system_vgpr_workitem_id 0
		.amdhsa_next_free_vgpr 1
		.amdhsa_next_free_sgpr 1
		.amdhsa_reserve_vcc 0
		.amdhsa_reserve_flat_scratch 0
		.amdhsa_float_round_mode_32 0
		.amdhsa_float_round_mode_16_64 0
		.amdhsa_float_denorm_mode_32 3
		.amdhsa_float_denorm_mode_16_64 3
		.amdhsa_dx10_clamp 1
		.amdhsa_ieee_mode 1
		.amdhsa_fp16_overflow 0
		.amdhsa_workgroup_processor_mode 1
		.amdhsa_memory_ordered 1
		.amdhsa_forward_progress 1
		.amdhsa_shared_vgpr_count 0
		.amdhsa_exception_fp_ieee_invalid_op 0
		.amdhsa_exception_fp_denorm_src 0
		.amdhsa_exception_fp_ieee_div_zero 0
		.amdhsa_exception_fp_ieee_overflow 0
		.amdhsa_exception_fp_ieee_underflow 0
		.amdhsa_exception_fp_ieee_inexact 0
		.amdhsa_exception_int_div_zero 0
	.end_amdhsa_kernel
	.section	.text._ZN7rocprim17ROCPRIM_400000_NS6detail17trampoline_kernelINS0_14default_configENS1_21merge_config_selectorINS0_5tupleIJiiEEENS0_10empty_typeEEEZNS1_10merge_implIS3_NS0_12zip_iteratorINS5_IJN6thrust23THRUST_200600_302600_NS6detail15normal_iteratorINSC_10device_ptrIKiEEEESI_EEEEESK_NSA_INS5_IJNSE_INSF_IiEEEESM_EEEEEPS7_SP_SP_NSC_11hip_rocprim7__merge17predicate_wrapperIiiNSC_7greaterIiEEEEEE10hipError_tPvRmT0_T1_T2_T3_T4_T5_mmT6_P12ihipStream_tbEUlT_E_NS1_11comp_targetILNS1_3genE0ELNS1_11target_archE4294967295ELNS1_3gpuE0ELNS1_3repE0EEENS1_30default_config_static_selectorELNS0_4arch9wavefront6targetE0EEEvS10_,"axG",@progbits,_ZN7rocprim17ROCPRIM_400000_NS6detail17trampoline_kernelINS0_14default_configENS1_21merge_config_selectorINS0_5tupleIJiiEEENS0_10empty_typeEEEZNS1_10merge_implIS3_NS0_12zip_iteratorINS5_IJN6thrust23THRUST_200600_302600_NS6detail15normal_iteratorINSC_10device_ptrIKiEEEESI_EEEEESK_NSA_INS5_IJNSE_INSF_IiEEEESM_EEEEEPS7_SP_SP_NSC_11hip_rocprim7__merge17predicate_wrapperIiiNSC_7greaterIiEEEEEE10hipError_tPvRmT0_T1_T2_T3_T4_T5_mmT6_P12ihipStream_tbEUlT_E_NS1_11comp_targetILNS1_3genE0ELNS1_11target_archE4294967295ELNS1_3gpuE0ELNS1_3repE0EEENS1_30default_config_static_selectorELNS0_4arch9wavefront6targetE0EEEvS10_,comdat
.Lfunc_end425:
	.size	_ZN7rocprim17ROCPRIM_400000_NS6detail17trampoline_kernelINS0_14default_configENS1_21merge_config_selectorINS0_5tupleIJiiEEENS0_10empty_typeEEEZNS1_10merge_implIS3_NS0_12zip_iteratorINS5_IJN6thrust23THRUST_200600_302600_NS6detail15normal_iteratorINSC_10device_ptrIKiEEEESI_EEEEESK_NSA_INS5_IJNSE_INSF_IiEEEESM_EEEEEPS7_SP_SP_NSC_11hip_rocprim7__merge17predicate_wrapperIiiNSC_7greaterIiEEEEEE10hipError_tPvRmT0_T1_T2_T3_T4_T5_mmT6_P12ihipStream_tbEUlT_E_NS1_11comp_targetILNS1_3genE0ELNS1_11target_archE4294967295ELNS1_3gpuE0ELNS1_3repE0EEENS1_30default_config_static_selectorELNS0_4arch9wavefront6targetE0EEEvS10_, .Lfunc_end425-_ZN7rocprim17ROCPRIM_400000_NS6detail17trampoline_kernelINS0_14default_configENS1_21merge_config_selectorINS0_5tupleIJiiEEENS0_10empty_typeEEEZNS1_10merge_implIS3_NS0_12zip_iteratorINS5_IJN6thrust23THRUST_200600_302600_NS6detail15normal_iteratorINSC_10device_ptrIKiEEEESI_EEEEESK_NSA_INS5_IJNSE_INSF_IiEEEESM_EEEEEPS7_SP_SP_NSC_11hip_rocprim7__merge17predicate_wrapperIiiNSC_7greaterIiEEEEEE10hipError_tPvRmT0_T1_T2_T3_T4_T5_mmT6_P12ihipStream_tbEUlT_E_NS1_11comp_targetILNS1_3genE0ELNS1_11target_archE4294967295ELNS1_3gpuE0ELNS1_3repE0EEENS1_30default_config_static_selectorELNS0_4arch9wavefront6targetE0EEEvS10_
                                        ; -- End function
	.set _ZN7rocprim17ROCPRIM_400000_NS6detail17trampoline_kernelINS0_14default_configENS1_21merge_config_selectorINS0_5tupleIJiiEEENS0_10empty_typeEEEZNS1_10merge_implIS3_NS0_12zip_iteratorINS5_IJN6thrust23THRUST_200600_302600_NS6detail15normal_iteratorINSC_10device_ptrIKiEEEESI_EEEEESK_NSA_INS5_IJNSE_INSF_IiEEEESM_EEEEEPS7_SP_SP_NSC_11hip_rocprim7__merge17predicate_wrapperIiiNSC_7greaterIiEEEEEE10hipError_tPvRmT0_T1_T2_T3_T4_T5_mmT6_P12ihipStream_tbEUlT_E_NS1_11comp_targetILNS1_3genE0ELNS1_11target_archE4294967295ELNS1_3gpuE0ELNS1_3repE0EEENS1_30default_config_static_selectorELNS0_4arch9wavefront6targetE0EEEvS10_.num_vgpr, 0
	.set _ZN7rocprim17ROCPRIM_400000_NS6detail17trampoline_kernelINS0_14default_configENS1_21merge_config_selectorINS0_5tupleIJiiEEENS0_10empty_typeEEEZNS1_10merge_implIS3_NS0_12zip_iteratorINS5_IJN6thrust23THRUST_200600_302600_NS6detail15normal_iteratorINSC_10device_ptrIKiEEEESI_EEEEESK_NSA_INS5_IJNSE_INSF_IiEEEESM_EEEEEPS7_SP_SP_NSC_11hip_rocprim7__merge17predicate_wrapperIiiNSC_7greaterIiEEEEEE10hipError_tPvRmT0_T1_T2_T3_T4_T5_mmT6_P12ihipStream_tbEUlT_E_NS1_11comp_targetILNS1_3genE0ELNS1_11target_archE4294967295ELNS1_3gpuE0ELNS1_3repE0EEENS1_30default_config_static_selectorELNS0_4arch9wavefront6targetE0EEEvS10_.num_agpr, 0
	.set _ZN7rocprim17ROCPRIM_400000_NS6detail17trampoline_kernelINS0_14default_configENS1_21merge_config_selectorINS0_5tupleIJiiEEENS0_10empty_typeEEEZNS1_10merge_implIS3_NS0_12zip_iteratorINS5_IJN6thrust23THRUST_200600_302600_NS6detail15normal_iteratorINSC_10device_ptrIKiEEEESI_EEEEESK_NSA_INS5_IJNSE_INSF_IiEEEESM_EEEEEPS7_SP_SP_NSC_11hip_rocprim7__merge17predicate_wrapperIiiNSC_7greaterIiEEEEEE10hipError_tPvRmT0_T1_T2_T3_T4_T5_mmT6_P12ihipStream_tbEUlT_E_NS1_11comp_targetILNS1_3genE0ELNS1_11target_archE4294967295ELNS1_3gpuE0ELNS1_3repE0EEENS1_30default_config_static_selectorELNS0_4arch9wavefront6targetE0EEEvS10_.numbered_sgpr, 0
	.set _ZN7rocprim17ROCPRIM_400000_NS6detail17trampoline_kernelINS0_14default_configENS1_21merge_config_selectorINS0_5tupleIJiiEEENS0_10empty_typeEEEZNS1_10merge_implIS3_NS0_12zip_iteratorINS5_IJN6thrust23THRUST_200600_302600_NS6detail15normal_iteratorINSC_10device_ptrIKiEEEESI_EEEEESK_NSA_INS5_IJNSE_INSF_IiEEEESM_EEEEEPS7_SP_SP_NSC_11hip_rocprim7__merge17predicate_wrapperIiiNSC_7greaterIiEEEEEE10hipError_tPvRmT0_T1_T2_T3_T4_T5_mmT6_P12ihipStream_tbEUlT_E_NS1_11comp_targetILNS1_3genE0ELNS1_11target_archE4294967295ELNS1_3gpuE0ELNS1_3repE0EEENS1_30default_config_static_selectorELNS0_4arch9wavefront6targetE0EEEvS10_.num_named_barrier, 0
	.set _ZN7rocprim17ROCPRIM_400000_NS6detail17trampoline_kernelINS0_14default_configENS1_21merge_config_selectorINS0_5tupleIJiiEEENS0_10empty_typeEEEZNS1_10merge_implIS3_NS0_12zip_iteratorINS5_IJN6thrust23THRUST_200600_302600_NS6detail15normal_iteratorINSC_10device_ptrIKiEEEESI_EEEEESK_NSA_INS5_IJNSE_INSF_IiEEEESM_EEEEEPS7_SP_SP_NSC_11hip_rocprim7__merge17predicate_wrapperIiiNSC_7greaterIiEEEEEE10hipError_tPvRmT0_T1_T2_T3_T4_T5_mmT6_P12ihipStream_tbEUlT_E_NS1_11comp_targetILNS1_3genE0ELNS1_11target_archE4294967295ELNS1_3gpuE0ELNS1_3repE0EEENS1_30default_config_static_selectorELNS0_4arch9wavefront6targetE0EEEvS10_.private_seg_size, 0
	.set _ZN7rocprim17ROCPRIM_400000_NS6detail17trampoline_kernelINS0_14default_configENS1_21merge_config_selectorINS0_5tupleIJiiEEENS0_10empty_typeEEEZNS1_10merge_implIS3_NS0_12zip_iteratorINS5_IJN6thrust23THRUST_200600_302600_NS6detail15normal_iteratorINSC_10device_ptrIKiEEEESI_EEEEESK_NSA_INS5_IJNSE_INSF_IiEEEESM_EEEEEPS7_SP_SP_NSC_11hip_rocprim7__merge17predicate_wrapperIiiNSC_7greaterIiEEEEEE10hipError_tPvRmT0_T1_T2_T3_T4_T5_mmT6_P12ihipStream_tbEUlT_E_NS1_11comp_targetILNS1_3genE0ELNS1_11target_archE4294967295ELNS1_3gpuE0ELNS1_3repE0EEENS1_30default_config_static_selectorELNS0_4arch9wavefront6targetE0EEEvS10_.uses_vcc, 0
	.set _ZN7rocprim17ROCPRIM_400000_NS6detail17trampoline_kernelINS0_14default_configENS1_21merge_config_selectorINS0_5tupleIJiiEEENS0_10empty_typeEEEZNS1_10merge_implIS3_NS0_12zip_iteratorINS5_IJN6thrust23THRUST_200600_302600_NS6detail15normal_iteratorINSC_10device_ptrIKiEEEESI_EEEEESK_NSA_INS5_IJNSE_INSF_IiEEEESM_EEEEEPS7_SP_SP_NSC_11hip_rocprim7__merge17predicate_wrapperIiiNSC_7greaterIiEEEEEE10hipError_tPvRmT0_T1_T2_T3_T4_T5_mmT6_P12ihipStream_tbEUlT_E_NS1_11comp_targetILNS1_3genE0ELNS1_11target_archE4294967295ELNS1_3gpuE0ELNS1_3repE0EEENS1_30default_config_static_selectorELNS0_4arch9wavefront6targetE0EEEvS10_.uses_flat_scratch, 0
	.set _ZN7rocprim17ROCPRIM_400000_NS6detail17trampoline_kernelINS0_14default_configENS1_21merge_config_selectorINS0_5tupleIJiiEEENS0_10empty_typeEEEZNS1_10merge_implIS3_NS0_12zip_iteratorINS5_IJN6thrust23THRUST_200600_302600_NS6detail15normal_iteratorINSC_10device_ptrIKiEEEESI_EEEEESK_NSA_INS5_IJNSE_INSF_IiEEEESM_EEEEEPS7_SP_SP_NSC_11hip_rocprim7__merge17predicate_wrapperIiiNSC_7greaterIiEEEEEE10hipError_tPvRmT0_T1_T2_T3_T4_T5_mmT6_P12ihipStream_tbEUlT_E_NS1_11comp_targetILNS1_3genE0ELNS1_11target_archE4294967295ELNS1_3gpuE0ELNS1_3repE0EEENS1_30default_config_static_selectorELNS0_4arch9wavefront6targetE0EEEvS10_.has_dyn_sized_stack, 0
	.set _ZN7rocprim17ROCPRIM_400000_NS6detail17trampoline_kernelINS0_14default_configENS1_21merge_config_selectorINS0_5tupleIJiiEEENS0_10empty_typeEEEZNS1_10merge_implIS3_NS0_12zip_iteratorINS5_IJN6thrust23THRUST_200600_302600_NS6detail15normal_iteratorINSC_10device_ptrIKiEEEESI_EEEEESK_NSA_INS5_IJNSE_INSF_IiEEEESM_EEEEEPS7_SP_SP_NSC_11hip_rocprim7__merge17predicate_wrapperIiiNSC_7greaterIiEEEEEE10hipError_tPvRmT0_T1_T2_T3_T4_T5_mmT6_P12ihipStream_tbEUlT_E_NS1_11comp_targetILNS1_3genE0ELNS1_11target_archE4294967295ELNS1_3gpuE0ELNS1_3repE0EEENS1_30default_config_static_selectorELNS0_4arch9wavefront6targetE0EEEvS10_.has_recursion, 0
	.set _ZN7rocprim17ROCPRIM_400000_NS6detail17trampoline_kernelINS0_14default_configENS1_21merge_config_selectorINS0_5tupleIJiiEEENS0_10empty_typeEEEZNS1_10merge_implIS3_NS0_12zip_iteratorINS5_IJN6thrust23THRUST_200600_302600_NS6detail15normal_iteratorINSC_10device_ptrIKiEEEESI_EEEEESK_NSA_INS5_IJNSE_INSF_IiEEEESM_EEEEEPS7_SP_SP_NSC_11hip_rocprim7__merge17predicate_wrapperIiiNSC_7greaterIiEEEEEE10hipError_tPvRmT0_T1_T2_T3_T4_T5_mmT6_P12ihipStream_tbEUlT_E_NS1_11comp_targetILNS1_3genE0ELNS1_11target_archE4294967295ELNS1_3gpuE0ELNS1_3repE0EEENS1_30default_config_static_selectorELNS0_4arch9wavefront6targetE0EEEvS10_.has_indirect_call, 0
	.section	.AMDGPU.csdata,"",@progbits
; Kernel info:
; codeLenInByte = 0
; TotalNumSgprs: 0
; NumVgprs: 0
; ScratchSize: 0
; MemoryBound: 0
; FloatMode: 240
; IeeeMode: 1
; LDSByteSize: 0 bytes/workgroup (compile time only)
; SGPRBlocks: 0
; VGPRBlocks: 0
; NumSGPRsForWavesPerEU: 1
; NumVGPRsForWavesPerEU: 1
; Occupancy: 16
; WaveLimiterHint : 0
; COMPUTE_PGM_RSRC2:SCRATCH_EN: 0
; COMPUTE_PGM_RSRC2:USER_SGPR: 6
; COMPUTE_PGM_RSRC2:TRAP_HANDLER: 0
; COMPUTE_PGM_RSRC2:TGID_X_EN: 1
; COMPUTE_PGM_RSRC2:TGID_Y_EN: 0
; COMPUTE_PGM_RSRC2:TGID_Z_EN: 0
; COMPUTE_PGM_RSRC2:TIDIG_COMP_CNT: 0
	.section	.text._ZN7rocprim17ROCPRIM_400000_NS6detail17trampoline_kernelINS0_14default_configENS1_21merge_config_selectorINS0_5tupleIJiiEEENS0_10empty_typeEEEZNS1_10merge_implIS3_NS0_12zip_iteratorINS5_IJN6thrust23THRUST_200600_302600_NS6detail15normal_iteratorINSC_10device_ptrIKiEEEESI_EEEEESK_NSA_INS5_IJNSE_INSF_IiEEEESM_EEEEEPS7_SP_SP_NSC_11hip_rocprim7__merge17predicate_wrapperIiiNSC_7greaterIiEEEEEE10hipError_tPvRmT0_T1_T2_T3_T4_T5_mmT6_P12ihipStream_tbEUlT_E_NS1_11comp_targetILNS1_3genE5ELNS1_11target_archE942ELNS1_3gpuE9ELNS1_3repE0EEENS1_30default_config_static_selectorELNS0_4arch9wavefront6targetE0EEEvS10_,"axG",@progbits,_ZN7rocprim17ROCPRIM_400000_NS6detail17trampoline_kernelINS0_14default_configENS1_21merge_config_selectorINS0_5tupleIJiiEEENS0_10empty_typeEEEZNS1_10merge_implIS3_NS0_12zip_iteratorINS5_IJN6thrust23THRUST_200600_302600_NS6detail15normal_iteratorINSC_10device_ptrIKiEEEESI_EEEEESK_NSA_INS5_IJNSE_INSF_IiEEEESM_EEEEEPS7_SP_SP_NSC_11hip_rocprim7__merge17predicate_wrapperIiiNSC_7greaterIiEEEEEE10hipError_tPvRmT0_T1_T2_T3_T4_T5_mmT6_P12ihipStream_tbEUlT_E_NS1_11comp_targetILNS1_3genE5ELNS1_11target_archE942ELNS1_3gpuE9ELNS1_3repE0EEENS1_30default_config_static_selectorELNS0_4arch9wavefront6targetE0EEEvS10_,comdat
	.protected	_ZN7rocprim17ROCPRIM_400000_NS6detail17trampoline_kernelINS0_14default_configENS1_21merge_config_selectorINS0_5tupleIJiiEEENS0_10empty_typeEEEZNS1_10merge_implIS3_NS0_12zip_iteratorINS5_IJN6thrust23THRUST_200600_302600_NS6detail15normal_iteratorINSC_10device_ptrIKiEEEESI_EEEEESK_NSA_INS5_IJNSE_INSF_IiEEEESM_EEEEEPS7_SP_SP_NSC_11hip_rocprim7__merge17predicate_wrapperIiiNSC_7greaterIiEEEEEE10hipError_tPvRmT0_T1_T2_T3_T4_T5_mmT6_P12ihipStream_tbEUlT_E_NS1_11comp_targetILNS1_3genE5ELNS1_11target_archE942ELNS1_3gpuE9ELNS1_3repE0EEENS1_30default_config_static_selectorELNS0_4arch9wavefront6targetE0EEEvS10_ ; -- Begin function _ZN7rocprim17ROCPRIM_400000_NS6detail17trampoline_kernelINS0_14default_configENS1_21merge_config_selectorINS0_5tupleIJiiEEENS0_10empty_typeEEEZNS1_10merge_implIS3_NS0_12zip_iteratorINS5_IJN6thrust23THRUST_200600_302600_NS6detail15normal_iteratorINSC_10device_ptrIKiEEEESI_EEEEESK_NSA_INS5_IJNSE_INSF_IiEEEESM_EEEEEPS7_SP_SP_NSC_11hip_rocprim7__merge17predicate_wrapperIiiNSC_7greaterIiEEEEEE10hipError_tPvRmT0_T1_T2_T3_T4_T5_mmT6_P12ihipStream_tbEUlT_E_NS1_11comp_targetILNS1_3genE5ELNS1_11target_archE942ELNS1_3gpuE9ELNS1_3repE0EEENS1_30default_config_static_selectorELNS0_4arch9wavefront6targetE0EEEvS10_
	.globl	_ZN7rocprim17ROCPRIM_400000_NS6detail17trampoline_kernelINS0_14default_configENS1_21merge_config_selectorINS0_5tupleIJiiEEENS0_10empty_typeEEEZNS1_10merge_implIS3_NS0_12zip_iteratorINS5_IJN6thrust23THRUST_200600_302600_NS6detail15normal_iteratorINSC_10device_ptrIKiEEEESI_EEEEESK_NSA_INS5_IJNSE_INSF_IiEEEESM_EEEEEPS7_SP_SP_NSC_11hip_rocprim7__merge17predicate_wrapperIiiNSC_7greaterIiEEEEEE10hipError_tPvRmT0_T1_T2_T3_T4_T5_mmT6_P12ihipStream_tbEUlT_E_NS1_11comp_targetILNS1_3genE5ELNS1_11target_archE942ELNS1_3gpuE9ELNS1_3repE0EEENS1_30default_config_static_selectorELNS0_4arch9wavefront6targetE0EEEvS10_
	.p2align	8
	.type	_ZN7rocprim17ROCPRIM_400000_NS6detail17trampoline_kernelINS0_14default_configENS1_21merge_config_selectorINS0_5tupleIJiiEEENS0_10empty_typeEEEZNS1_10merge_implIS3_NS0_12zip_iteratorINS5_IJN6thrust23THRUST_200600_302600_NS6detail15normal_iteratorINSC_10device_ptrIKiEEEESI_EEEEESK_NSA_INS5_IJNSE_INSF_IiEEEESM_EEEEEPS7_SP_SP_NSC_11hip_rocprim7__merge17predicate_wrapperIiiNSC_7greaterIiEEEEEE10hipError_tPvRmT0_T1_T2_T3_T4_T5_mmT6_P12ihipStream_tbEUlT_E_NS1_11comp_targetILNS1_3genE5ELNS1_11target_archE942ELNS1_3gpuE9ELNS1_3repE0EEENS1_30default_config_static_selectorELNS0_4arch9wavefront6targetE0EEEvS10_,@function
_ZN7rocprim17ROCPRIM_400000_NS6detail17trampoline_kernelINS0_14default_configENS1_21merge_config_selectorINS0_5tupleIJiiEEENS0_10empty_typeEEEZNS1_10merge_implIS3_NS0_12zip_iteratorINS5_IJN6thrust23THRUST_200600_302600_NS6detail15normal_iteratorINSC_10device_ptrIKiEEEESI_EEEEESK_NSA_INS5_IJNSE_INSF_IiEEEESM_EEEEEPS7_SP_SP_NSC_11hip_rocprim7__merge17predicate_wrapperIiiNSC_7greaterIiEEEEEE10hipError_tPvRmT0_T1_T2_T3_T4_T5_mmT6_P12ihipStream_tbEUlT_E_NS1_11comp_targetILNS1_3genE5ELNS1_11target_archE942ELNS1_3gpuE9ELNS1_3repE0EEENS1_30default_config_static_selectorELNS0_4arch9wavefront6targetE0EEEvS10_: ; @_ZN7rocprim17ROCPRIM_400000_NS6detail17trampoline_kernelINS0_14default_configENS1_21merge_config_selectorINS0_5tupleIJiiEEENS0_10empty_typeEEEZNS1_10merge_implIS3_NS0_12zip_iteratorINS5_IJN6thrust23THRUST_200600_302600_NS6detail15normal_iteratorINSC_10device_ptrIKiEEEESI_EEEEESK_NSA_INS5_IJNSE_INSF_IiEEEESM_EEEEEPS7_SP_SP_NSC_11hip_rocprim7__merge17predicate_wrapperIiiNSC_7greaterIiEEEEEE10hipError_tPvRmT0_T1_T2_T3_T4_T5_mmT6_P12ihipStream_tbEUlT_E_NS1_11comp_targetILNS1_3genE5ELNS1_11target_archE942ELNS1_3gpuE9ELNS1_3repE0EEENS1_30default_config_static_selectorELNS0_4arch9wavefront6targetE0EEEvS10_
; %bb.0:
	.section	.rodata,"a",@progbits
	.p2align	6, 0x0
	.amdhsa_kernel _ZN7rocprim17ROCPRIM_400000_NS6detail17trampoline_kernelINS0_14default_configENS1_21merge_config_selectorINS0_5tupleIJiiEEENS0_10empty_typeEEEZNS1_10merge_implIS3_NS0_12zip_iteratorINS5_IJN6thrust23THRUST_200600_302600_NS6detail15normal_iteratorINSC_10device_ptrIKiEEEESI_EEEEESK_NSA_INS5_IJNSE_INSF_IiEEEESM_EEEEEPS7_SP_SP_NSC_11hip_rocprim7__merge17predicate_wrapperIiiNSC_7greaterIiEEEEEE10hipError_tPvRmT0_T1_T2_T3_T4_T5_mmT6_P12ihipStream_tbEUlT_E_NS1_11comp_targetILNS1_3genE5ELNS1_11target_archE942ELNS1_3gpuE9ELNS1_3repE0EEENS1_30default_config_static_selectorELNS0_4arch9wavefront6targetE0EEEvS10_
		.amdhsa_group_segment_fixed_size 0
		.amdhsa_private_segment_fixed_size 0
		.amdhsa_kernarg_size 64
		.amdhsa_user_sgpr_count 6
		.amdhsa_user_sgpr_private_segment_buffer 1
		.amdhsa_user_sgpr_dispatch_ptr 0
		.amdhsa_user_sgpr_queue_ptr 0
		.amdhsa_user_sgpr_kernarg_segment_ptr 1
		.amdhsa_user_sgpr_dispatch_id 0
		.amdhsa_user_sgpr_flat_scratch_init 0
		.amdhsa_user_sgpr_private_segment_size 0
		.amdhsa_wavefront_size32 1
		.amdhsa_uses_dynamic_stack 0
		.amdhsa_system_sgpr_private_segment_wavefront_offset 0
		.amdhsa_system_sgpr_workgroup_id_x 1
		.amdhsa_system_sgpr_workgroup_id_y 0
		.amdhsa_system_sgpr_workgroup_id_z 0
		.amdhsa_system_sgpr_workgroup_info 0
		.amdhsa_system_vgpr_workitem_id 0
		.amdhsa_next_free_vgpr 1
		.amdhsa_next_free_sgpr 1
		.amdhsa_reserve_vcc 0
		.amdhsa_reserve_flat_scratch 0
		.amdhsa_float_round_mode_32 0
		.amdhsa_float_round_mode_16_64 0
		.amdhsa_float_denorm_mode_32 3
		.amdhsa_float_denorm_mode_16_64 3
		.amdhsa_dx10_clamp 1
		.amdhsa_ieee_mode 1
		.amdhsa_fp16_overflow 0
		.amdhsa_workgroup_processor_mode 1
		.amdhsa_memory_ordered 1
		.amdhsa_forward_progress 1
		.amdhsa_shared_vgpr_count 0
		.amdhsa_exception_fp_ieee_invalid_op 0
		.amdhsa_exception_fp_denorm_src 0
		.amdhsa_exception_fp_ieee_div_zero 0
		.amdhsa_exception_fp_ieee_overflow 0
		.amdhsa_exception_fp_ieee_underflow 0
		.amdhsa_exception_fp_ieee_inexact 0
		.amdhsa_exception_int_div_zero 0
	.end_amdhsa_kernel
	.section	.text._ZN7rocprim17ROCPRIM_400000_NS6detail17trampoline_kernelINS0_14default_configENS1_21merge_config_selectorINS0_5tupleIJiiEEENS0_10empty_typeEEEZNS1_10merge_implIS3_NS0_12zip_iteratorINS5_IJN6thrust23THRUST_200600_302600_NS6detail15normal_iteratorINSC_10device_ptrIKiEEEESI_EEEEESK_NSA_INS5_IJNSE_INSF_IiEEEESM_EEEEEPS7_SP_SP_NSC_11hip_rocprim7__merge17predicate_wrapperIiiNSC_7greaterIiEEEEEE10hipError_tPvRmT0_T1_T2_T3_T4_T5_mmT6_P12ihipStream_tbEUlT_E_NS1_11comp_targetILNS1_3genE5ELNS1_11target_archE942ELNS1_3gpuE9ELNS1_3repE0EEENS1_30default_config_static_selectorELNS0_4arch9wavefront6targetE0EEEvS10_,"axG",@progbits,_ZN7rocprim17ROCPRIM_400000_NS6detail17trampoline_kernelINS0_14default_configENS1_21merge_config_selectorINS0_5tupleIJiiEEENS0_10empty_typeEEEZNS1_10merge_implIS3_NS0_12zip_iteratorINS5_IJN6thrust23THRUST_200600_302600_NS6detail15normal_iteratorINSC_10device_ptrIKiEEEESI_EEEEESK_NSA_INS5_IJNSE_INSF_IiEEEESM_EEEEEPS7_SP_SP_NSC_11hip_rocprim7__merge17predicate_wrapperIiiNSC_7greaterIiEEEEEE10hipError_tPvRmT0_T1_T2_T3_T4_T5_mmT6_P12ihipStream_tbEUlT_E_NS1_11comp_targetILNS1_3genE5ELNS1_11target_archE942ELNS1_3gpuE9ELNS1_3repE0EEENS1_30default_config_static_selectorELNS0_4arch9wavefront6targetE0EEEvS10_,comdat
.Lfunc_end426:
	.size	_ZN7rocprim17ROCPRIM_400000_NS6detail17trampoline_kernelINS0_14default_configENS1_21merge_config_selectorINS0_5tupleIJiiEEENS0_10empty_typeEEEZNS1_10merge_implIS3_NS0_12zip_iteratorINS5_IJN6thrust23THRUST_200600_302600_NS6detail15normal_iteratorINSC_10device_ptrIKiEEEESI_EEEEESK_NSA_INS5_IJNSE_INSF_IiEEEESM_EEEEEPS7_SP_SP_NSC_11hip_rocprim7__merge17predicate_wrapperIiiNSC_7greaterIiEEEEEE10hipError_tPvRmT0_T1_T2_T3_T4_T5_mmT6_P12ihipStream_tbEUlT_E_NS1_11comp_targetILNS1_3genE5ELNS1_11target_archE942ELNS1_3gpuE9ELNS1_3repE0EEENS1_30default_config_static_selectorELNS0_4arch9wavefront6targetE0EEEvS10_, .Lfunc_end426-_ZN7rocprim17ROCPRIM_400000_NS6detail17trampoline_kernelINS0_14default_configENS1_21merge_config_selectorINS0_5tupleIJiiEEENS0_10empty_typeEEEZNS1_10merge_implIS3_NS0_12zip_iteratorINS5_IJN6thrust23THRUST_200600_302600_NS6detail15normal_iteratorINSC_10device_ptrIKiEEEESI_EEEEESK_NSA_INS5_IJNSE_INSF_IiEEEESM_EEEEEPS7_SP_SP_NSC_11hip_rocprim7__merge17predicate_wrapperIiiNSC_7greaterIiEEEEEE10hipError_tPvRmT0_T1_T2_T3_T4_T5_mmT6_P12ihipStream_tbEUlT_E_NS1_11comp_targetILNS1_3genE5ELNS1_11target_archE942ELNS1_3gpuE9ELNS1_3repE0EEENS1_30default_config_static_selectorELNS0_4arch9wavefront6targetE0EEEvS10_
                                        ; -- End function
	.set _ZN7rocprim17ROCPRIM_400000_NS6detail17trampoline_kernelINS0_14default_configENS1_21merge_config_selectorINS0_5tupleIJiiEEENS0_10empty_typeEEEZNS1_10merge_implIS3_NS0_12zip_iteratorINS5_IJN6thrust23THRUST_200600_302600_NS6detail15normal_iteratorINSC_10device_ptrIKiEEEESI_EEEEESK_NSA_INS5_IJNSE_INSF_IiEEEESM_EEEEEPS7_SP_SP_NSC_11hip_rocprim7__merge17predicate_wrapperIiiNSC_7greaterIiEEEEEE10hipError_tPvRmT0_T1_T2_T3_T4_T5_mmT6_P12ihipStream_tbEUlT_E_NS1_11comp_targetILNS1_3genE5ELNS1_11target_archE942ELNS1_3gpuE9ELNS1_3repE0EEENS1_30default_config_static_selectorELNS0_4arch9wavefront6targetE0EEEvS10_.num_vgpr, 0
	.set _ZN7rocprim17ROCPRIM_400000_NS6detail17trampoline_kernelINS0_14default_configENS1_21merge_config_selectorINS0_5tupleIJiiEEENS0_10empty_typeEEEZNS1_10merge_implIS3_NS0_12zip_iteratorINS5_IJN6thrust23THRUST_200600_302600_NS6detail15normal_iteratorINSC_10device_ptrIKiEEEESI_EEEEESK_NSA_INS5_IJNSE_INSF_IiEEEESM_EEEEEPS7_SP_SP_NSC_11hip_rocprim7__merge17predicate_wrapperIiiNSC_7greaterIiEEEEEE10hipError_tPvRmT0_T1_T2_T3_T4_T5_mmT6_P12ihipStream_tbEUlT_E_NS1_11comp_targetILNS1_3genE5ELNS1_11target_archE942ELNS1_3gpuE9ELNS1_3repE0EEENS1_30default_config_static_selectorELNS0_4arch9wavefront6targetE0EEEvS10_.num_agpr, 0
	.set _ZN7rocprim17ROCPRIM_400000_NS6detail17trampoline_kernelINS0_14default_configENS1_21merge_config_selectorINS0_5tupleIJiiEEENS0_10empty_typeEEEZNS1_10merge_implIS3_NS0_12zip_iteratorINS5_IJN6thrust23THRUST_200600_302600_NS6detail15normal_iteratorINSC_10device_ptrIKiEEEESI_EEEEESK_NSA_INS5_IJNSE_INSF_IiEEEESM_EEEEEPS7_SP_SP_NSC_11hip_rocprim7__merge17predicate_wrapperIiiNSC_7greaterIiEEEEEE10hipError_tPvRmT0_T1_T2_T3_T4_T5_mmT6_P12ihipStream_tbEUlT_E_NS1_11comp_targetILNS1_3genE5ELNS1_11target_archE942ELNS1_3gpuE9ELNS1_3repE0EEENS1_30default_config_static_selectorELNS0_4arch9wavefront6targetE0EEEvS10_.numbered_sgpr, 0
	.set _ZN7rocprim17ROCPRIM_400000_NS6detail17trampoline_kernelINS0_14default_configENS1_21merge_config_selectorINS0_5tupleIJiiEEENS0_10empty_typeEEEZNS1_10merge_implIS3_NS0_12zip_iteratorINS5_IJN6thrust23THRUST_200600_302600_NS6detail15normal_iteratorINSC_10device_ptrIKiEEEESI_EEEEESK_NSA_INS5_IJNSE_INSF_IiEEEESM_EEEEEPS7_SP_SP_NSC_11hip_rocprim7__merge17predicate_wrapperIiiNSC_7greaterIiEEEEEE10hipError_tPvRmT0_T1_T2_T3_T4_T5_mmT6_P12ihipStream_tbEUlT_E_NS1_11comp_targetILNS1_3genE5ELNS1_11target_archE942ELNS1_3gpuE9ELNS1_3repE0EEENS1_30default_config_static_selectorELNS0_4arch9wavefront6targetE0EEEvS10_.num_named_barrier, 0
	.set _ZN7rocprim17ROCPRIM_400000_NS6detail17trampoline_kernelINS0_14default_configENS1_21merge_config_selectorINS0_5tupleIJiiEEENS0_10empty_typeEEEZNS1_10merge_implIS3_NS0_12zip_iteratorINS5_IJN6thrust23THRUST_200600_302600_NS6detail15normal_iteratorINSC_10device_ptrIKiEEEESI_EEEEESK_NSA_INS5_IJNSE_INSF_IiEEEESM_EEEEEPS7_SP_SP_NSC_11hip_rocprim7__merge17predicate_wrapperIiiNSC_7greaterIiEEEEEE10hipError_tPvRmT0_T1_T2_T3_T4_T5_mmT6_P12ihipStream_tbEUlT_E_NS1_11comp_targetILNS1_3genE5ELNS1_11target_archE942ELNS1_3gpuE9ELNS1_3repE0EEENS1_30default_config_static_selectorELNS0_4arch9wavefront6targetE0EEEvS10_.private_seg_size, 0
	.set _ZN7rocprim17ROCPRIM_400000_NS6detail17trampoline_kernelINS0_14default_configENS1_21merge_config_selectorINS0_5tupleIJiiEEENS0_10empty_typeEEEZNS1_10merge_implIS3_NS0_12zip_iteratorINS5_IJN6thrust23THRUST_200600_302600_NS6detail15normal_iteratorINSC_10device_ptrIKiEEEESI_EEEEESK_NSA_INS5_IJNSE_INSF_IiEEEESM_EEEEEPS7_SP_SP_NSC_11hip_rocprim7__merge17predicate_wrapperIiiNSC_7greaterIiEEEEEE10hipError_tPvRmT0_T1_T2_T3_T4_T5_mmT6_P12ihipStream_tbEUlT_E_NS1_11comp_targetILNS1_3genE5ELNS1_11target_archE942ELNS1_3gpuE9ELNS1_3repE0EEENS1_30default_config_static_selectorELNS0_4arch9wavefront6targetE0EEEvS10_.uses_vcc, 0
	.set _ZN7rocprim17ROCPRIM_400000_NS6detail17trampoline_kernelINS0_14default_configENS1_21merge_config_selectorINS0_5tupleIJiiEEENS0_10empty_typeEEEZNS1_10merge_implIS3_NS0_12zip_iteratorINS5_IJN6thrust23THRUST_200600_302600_NS6detail15normal_iteratorINSC_10device_ptrIKiEEEESI_EEEEESK_NSA_INS5_IJNSE_INSF_IiEEEESM_EEEEEPS7_SP_SP_NSC_11hip_rocprim7__merge17predicate_wrapperIiiNSC_7greaterIiEEEEEE10hipError_tPvRmT0_T1_T2_T3_T4_T5_mmT6_P12ihipStream_tbEUlT_E_NS1_11comp_targetILNS1_3genE5ELNS1_11target_archE942ELNS1_3gpuE9ELNS1_3repE0EEENS1_30default_config_static_selectorELNS0_4arch9wavefront6targetE0EEEvS10_.uses_flat_scratch, 0
	.set _ZN7rocprim17ROCPRIM_400000_NS6detail17trampoline_kernelINS0_14default_configENS1_21merge_config_selectorINS0_5tupleIJiiEEENS0_10empty_typeEEEZNS1_10merge_implIS3_NS0_12zip_iteratorINS5_IJN6thrust23THRUST_200600_302600_NS6detail15normal_iteratorINSC_10device_ptrIKiEEEESI_EEEEESK_NSA_INS5_IJNSE_INSF_IiEEEESM_EEEEEPS7_SP_SP_NSC_11hip_rocprim7__merge17predicate_wrapperIiiNSC_7greaterIiEEEEEE10hipError_tPvRmT0_T1_T2_T3_T4_T5_mmT6_P12ihipStream_tbEUlT_E_NS1_11comp_targetILNS1_3genE5ELNS1_11target_archE942ELNS1_3gpuE9ELNS1_3repE0EEENS1_30default_config_static_selectorELNS0_4arch9wavefront6targetE0EEEvS10_.has_dyn_sized_stack, 0
	.set _ZN7rocprim17ROCPRIM_400000_NS6detail17trampoline_kernelINS0_14default_configENS1_21merge_config_selectorINS0_5tupleIJiiEEENS0_10empty_typeEEEZNS1_10merge_implIS3_NS0_12zip_iteratorINS5_IJN6thrust23THRUST_200600_302600_NS6detail15normal_iteratorINSC_10device_ptrIKiEEEESI_EEEEESK_NSA_INS5_IJNSE_INSF_IiEEEESM_EEEEEPS7_SP_SP_NSC_11hip_rocprim7__merge17predicate_wrapperIiiNSC_7greaterIiEEEEEE10hipError_tPvRmT0_T1_T2_T3_T4_T5_mmT6_P12ihipStream_tbEUlT_E_NS1_11comp_targetILNS1_3genE5ELNS1_11target_archE942ELNS1_3gpuE9ELNS1_3repE0EEENS1_30default_config_static_selectorELNS0_4arch9wavefront6targetE0EEEvS10_.has_recursion, 0
	.set _ZN7rocprim17ROCPRIM_400000_NS6detail17trampoline_kernelINS0_14default_configENS1_21merge_config_selectorINS0_5tupleIJiiEEENS0_10empty_typeEEEZNS1_10merge_implIS3_NS0_12zip_iteratorINS5_IJN6thrust23THRUST_200600_302600_NS6detail15normal_iteratorINSC_10device_ptrIKiEEEESI_EEEEESK_NSA_INS5_IJNSE_INSF_IiEEEESM_EEEEEPS7_SP_SP_NSC_11hip_rocprim7__merge17predicate_wrapperIiiNSC_7greaterIiEEEEEE10hipError_tPvRmT0_T1_T2_T3_T4_T5_mmT6_P12ihipStream_tbEUlT_E_NS1_11comp_targetILNS1_3genE5ELNS1_11target_archE942ELNS1_3gpuE9ELNS1_3repE0EEENS1_30default_config_static_selectorELNS0_4arch9wavefront6targetE0EEEvS10_.has_indirect_call, 0
	.section	.AMDGPU.csdata,"",@progbits
; Kernel info:
; codeLenInByte = 0
; TotalNumSgprs: 0
; NumVgprs: 0
; ScratchSize: 0
; MemoryBound: 0
; FloatMode: 240
; IeeeMode: 1
; LDSByteSize: 0 bytes/workgroup (compile time only)
; SGPRBlocks: 0
; VGPRBlocks: 0
; NumSGPRsForWavesPerEU: 1
; NumVGPRsForWavesPerEU: 1
; Occupancy: 16
; WaveLimiterHint : 0
; COMPUTE_PGM_RSRC2:SCRATCH_EN: 0
; COMPUTE_PGM_RSRC2:USER_SGPR: 6
; COMPUTE_PGM_RSRC2:TRAP_HANDLER: 0
; COMPUTE_PGM_RSRC2:TGID_X_EN: 1
; COMPUTE_PGM_RSRC2:TGID_Y_EN: 0
; COMPUTE_PGM_RSRC2:TGID_Z_EN: 0
; COMPUTE_PGM_RSRC2:TIDIG_COMP_CNT: 0
	.section	.text._ZN7rocprim17ROCPRIM_400000_NS6detail17trampoline_kernelINS0_14default_configENS1_21merge_config_selectorINS0_5tupleIJiiEEENS0_10empty_typeEEEZNS1_10merge_implIS3_NS0_12zip_iteratorINS5_IJN6thrust23THRUST_200600_302600_NS6detail15normal_iteratorINSC_10device_ptrIKiEEEESI_EEEEESK_NSA_INS5_IJNSE_INSF_IiEEEESM_EEEEEPS7_SP_SP_NSC_11hip_rocprim7__merge17predicate_wrapperIiiNSC_7greaterIiEEEEEE10hipError_tPvRmT0_T1_T2_T3_T4_T5_mmT6_P12ihipStream_tbEUlT_E_NS1_11comp_targetILNS1_3genE4ELNS1_11target_archE910ELNS1_3gpuE8ELNS1_3repE0EEENS1_30default_config_static_selectorELNS0_4arch9wavefront6targetE0EEEvS10_,"axG",@progbits,_ZN7rocprim17ROCPRIM_400000_NS6detail17trampoline_kernelINS0_14default_configENS1_21merge_config_selectorINS0_5tupleIJiiEEENS0_10empty_typeEEEZNS1_10merge_implIS3_NS0_12zip_iteratorINS5_IJN6thrust23THRUST_200600_302600_NS6detail15normal_iteratorINSC_10device_ptrIKiEEEESI_EEEEESK_NSA_INS5_IJNSE_INSF_IiEEEESM_EEEEEPS7_SP_SP_NSC_11hip_rocprim7__merge17predicate_wrapperIiiNSC_7greaterIiEEEEEE10hipError_tPvRmT0_T1_T2_T3_T4_T5_mmT6_P12ihipStream_tbEUlT_E_NS1_11comp_targetILNS1_3genE4ELNS1_11target_archE910ELNS1_3gpuE8ELNS1_3repE0EEENS1_30default_config_static_selectorELNS0_4arch9wavefront6targetE0EEEvS10_,comdat
	.protected	_ZN7rocprim17ROCPRIM_400000_NS6detail17trampoline_kernelINS0_14default_configENS1_21merge_config_selectorINS0_5tupleIJiiEEENS0_10empty_typeEEEZNS1_10merge_implIS3_NS0_12zip_iteratorINS5_IJN6thrust23THRUST_200600_302600_NS6detail15normal_iteratorINSC_10device_ptrIKiEEEESI_EEEEESK_NSA_INS5_IJNSE_INSF_IiEEEESM_EEEEEPS7_SP_SP_NSC_11hip_rocprim7__merge17predicate_wrapperIiiNSC_7greaterIiEEEEEE10hipError_tPvRmT0_T1_T2_T3_T4_T5_mmT6_P12ihipStream_tbEUlT_E_NS1_11comp_targetILNS1_3genE4ELNS1_11target_archE910ELNS1_3gpuE8ELNS1_3repE0EEENS1_30default_config_static_selectorELNS0_4arch9wavefront6targetE0EEEvS10_ ; -- Begin function _ZN7rocprim17ROCPRIM_400000_NS6detail17trampoline_kernelINS0_14default_configENS1_21merge_config_selectorINS0_5tupleIJiiEEENS0_10empty_typeEEEZNS1_10merge_implIS3_NS0_12zip_iteratorINS5_IJN6thrust23THRUST_200600_302600_NS6detail15normal_iteratorINSC_10device_ptrIKiEEEESI_EEEEESK_NSA_INS5_IJNSE_INSF_IiEEEESM_EEEEEPS7_SP_SP_NSC_11hip_rocprim7__merge17predicate_wrapperIiiNSC_7greaterIiEEEEEE10hipError_tPvRmT0_T1_T2_T3_T4_T5_mmT6_P12ihipStream_tbEUlT_E_NS1_11comp_targetILNS1_3genE4ELNS1_11target_archE910ELNS1_3gpuE8ELNS1_3repE0EEENS1_30default_config_static_selectorELNS0_4arch9wavefront6targetE0EEEvS10_
	.globl	_ZN7rocprim17ROCPRIM_400000_NS6detail17trampoline_kernelINS0_14default_configENS1_21merge_config_selectorINS0_5tupleIJiiEEENS0_10empty_typeEEEZNS1_10merge_implIS3_NS0_12zip_iteratorINS5_IJN6thrust23THRUST_200600_302600_NS6detail15normal_iteratorINSC_10device_ptrIKiEEEESI_EEEEESK_NSA_INS5_IJNSE_INSF_IiEEEESM_EEEEEPS7_SP_SP_NSC_11hip_rocprim7__merge17predicate_wrapperIiiNSC_7greaterIiEEEEEE10hipError_tPvRmT0_T1_T2_T3_T4_T5_mmT6_P12ihipStream_tbEUlT_E_NS1_11comp_targetILNS1_3genE4ELNS1_11target_archE910ELNS1_3gpuE8ELNS1_3repE0EEENS1_30default_config_static_selectorELNS0_4arch9wavefront6targetE0EEEvS10_
	.p2align	8
	.type	_ZN7rocprim17ROCPRIM_400000_NS6detail17trampoline_kernelINS0_14default_configENS1_21merge_config_selectorINS0_5tupleIJiiEEENS0_10empty_typeEEEZNS1_10merge_implIS3_NS0_12zip_iteratorINS5_IJN6thrust23THRUST_200600_302600_NS6detail15normal_iteratorINSC_10device_ptrIKiEEEESI_EEEEESK_NSA_INS5_IJNSE_INSF_IiEEEESM_EEEEEPS7_SP_SP_NSC_11hip_rocprim7__merge17predicate_wrapperIiiNSC_7greaterIiEEEEEE10hipError_tPvRmT0_T1_T2_T3_T4_T5_mmT6_P12ihipStream_tbEUlT_E_NS1_11comp_targetILNS1_3genE4ELNS1_11target_archE910ELNS1_3gpuE8ELNS1_3repE0EEENS1_30default_config_static_selectorELNS0_4arch9wavefront6targetE0EEEvS10_,@function
_ZN7rocprim17ROCPRIM_400000_NS6detail17trampoline_kernelINS0_14default_configENS1_21merge_config_selectorINS0_5tupleIJiiEEENS0_10empty_typeEEEZNS1_10merge_implIS3_NS0_12zip_iteratorINS5_IJN6thrust23THRUST_200600_302600_NS6detail15normal_iteratorINSC_10device_ptrIKiEEEESI_EEEEESK_NSA_INS5_IJNSE_INSF_IiEEEESM_EEEEEPS7_SP_SP_NSC_11hip_rocprim7__merge17predicate_wrapperIiiNSC_7greaterIiEEEEEE10hipError_tPvRmT0_T1_T2_T3_T4_T5_mmT6_P12ihipStream_tbEUlT_E_NS1_11comp_targetILNS1_3genE4ELNS1_11target_archE910ELNS1_3gpuE8ELNS1_3repE0EEENS1_30default_config_static_selectorELNS0_4arch9wavefront6targetE0EEEvS10_: ; @_ZN7rocprim17ROCPRIM_400000_NS6detail17trampoline_kernelINS0_14default_configENS1_21merge_config_selectorINS0_5tupleIJiiEEENS0_10empty_typeEEEZNS1_10merge_implIS3_NS0_12zip_iteratorINS5_IJN6thrust23THRUST_200600_302600_NS6detail15normal_iteratorINSC_10device_ptrIKiEEEESI_EEEEESK_NSA_INS5_IJNSE_INSF_IiEEEESM_EEEEEPS7_SP_SP_NSC_11hip_rocprim7__merge17predicate_wrapperIiiNSC_7greaterIiEEEEEE10hipError_tPvRmT0_T1_T2_T3_T4_T5_mmT6_P12ihipStream_tbEUlT_E_NS1_11comp_targetILNS1_3genE4ELNS1_11target_archE910ELNS1_3gpuE8ELNS1_3repE0EEENS1_30default_config_static_selectorELNS0_4arch9wavefront6targetE0EEEvS10_
; %bb.0:
	.section	.rodata,"a",@progbits
	.p2align	6, 0x0
	.amdhsa_kernel _ZN7rocprim17ROCPRIM_400000_NS6detail17trampoline_kernelINS0_14default_configENS1_21merge_config_selectorINS0_5tupleIJiiEEENS0_10empty_typeEEEZNS1_10merge_implIS3_NS0_12zip_iteratorINS5_IJN6thrust23THRUST_200600_302600_NS6detail15normal_iteratorINSC_10device_ptrIKiEEEESI_EEEEESK_NSA_INS5_IJNSE_INSF_IiEEEESM_EEEEEPS7_SP_SP_NSC_11hip_rocprim7__merge17predicate_wrapperIiiNSC_7greaterIiEEEEEE10hipError_tPvRmT0_T1_T2_T3_T4_T5_mmT6_P12ihipStream_tbEUlT_E_NS1_11comp_targetILNS1_3genE4ELNS1_11target_archE910ELNS1_3gpuE8ELNS1_3repE0EEENS1_30default_config_static_selectorELNS0_4arch9wavefront6targetE0EEEvS10_
		.amdhsa_group_segment_fixed_size 0
		.amdhsa_private_segment_fixed_size 0
		.amdhsa_kernarg_size 64
		.amdhsa_user_sgpr_count 6
		.amdhsa_user_sgpr_private_segment_buffer 1
		.amdhsa_user_sgpr_dispatch_ptr 0
		.amdhsa_user_sgpr_queue_ptr 0
		.amdhsa_user_sgpr_kernarg_segment_ptr 1
		.amdhsa_user_sgpr_dispatch_id 0
		.amdhsa_user_sgpr_flat_scratch_init 0
		.amdhsa_user_sgpr_private_segment_size 0
		.amdhsa_wavefront_size32 1
		.amdhsa_uses_dynamic_stack 0
		.amdhsa_system_sgpr_private_segment_wavefront_offset 0
		.amdhsa_system_sgpr_workgroup_id_x 1
		.amdhsa_system_sgpr_workgroup_id_y 0
		.amdhsa_system_sgpr_workgroup_id_z 0
		.amdhsa_system_sgpr_workgroup_info 0
		.amdhsa_system_vgpr_workitem_id 0
		.amdhsa_next_free_vgpr 1
		.amdhsa_next_free_sgpr 1
		.amdhsa_reserve_vcc 0
		.amdhsa_reserve_flat_scratch 0
		.amdhsa_float_round_mode_32 0
		.amdhsa_float_round_mode_16_64 0
		.amdhsa_float_denorm_mode_32 3
		.amdhsa_float_denorm_mode_16_64 3
		.amdhsa_dx10_clamp 1
		.amdhsa_ieee_mode 1
		.amdhsa_fp16_overflow 0
		.amdhsa_workgroup_processor_mode 1
		.amdhsa_memory_ordered 1
		.amdhsa_forward_progress 1
		.amdhsa_shared_vgpr_count 0
		.amdhsa_exception_fp_ieee_invalid_op 0
		.amdhsa_exception_fp_denorm_src 0
		.amdhsa_exception_fp_ieee_div_zero 0
		.amdhsa_exception_fp_ieee_overflow 0
		.amdhsa_exception_fp_ieee_underflow 0
		.amdhsa_exception_fp_ieee_inexact 0
		.amdhsa_exception_int_div_zero 0
	.end_amdhsa_kernel
	.section	.text._ZN7rocprim17ROCPRIM_400000_NS6detail17trampoline_kernelINS0_14default_configENS1_21merge_config_selectorINS0_5tupleIJiiEEENS0_10empty_typeEEEZNS1_10merge_implIS3_NS0_12zip_iteratorINS5_IJN6thrust23THRUST_200600_302600_NS6detail15normal_iteratorINSC_10device_ptrIKiEEEESI_EEEEESK_NSA_INS5_IJNSE_INSF_IiEEEESM_EEEEEPS7_SP_SP_NSC_11hip_rocprim7__merge17predicate_wrapperIiiNSC_7greaterIiEEEEEE10hipError_tPvRmT0_T1_T2_T3_T4_T5_mmT6_P12ihipStream_tbEUlT_E_NS1_11comp_targetILNS1_3genE4ELNS1_11target_archE910ELNS1_3gpuE8ELNS1_3repE0EEENS1_30default_config_static_selectorELNS0_4arch9wavefront6targetE0EEEvS10_,"axG",@progbits,_ZN7rocprim17ROCPRIM_400000_NS6detail17trampoline_kernelINS0_14default_configENS1_21merge_config_selectorINS0_5tupleIJiiEEENS0_10empty_typeEEEZNS1_10merge_implIS3_NS0_12zip_iteratorINS5_IJN6thrust23THRUST_200600_302600_NS6detail15normal_iteratorINSC_10device_ptrIKiEEEESI_EEEEESK_NSA_INS5_IJNSE_INSF_IiEEEESM_EEEEEPS7_SP_SP_NSC_11hip_rocprim7__merge17predicate_wrapperIiiNSC_7greaterIiEEEEEE10hipError_tPvRmT0_T1_T2_T3_T4_T5_mmT6_P12ihipStream_tbEUlT_E_NS1_11comp_targetILNS1_3genE4ELNS1_11target_archE910ELNS1_3gpuE8ELNS1_3repE0EEENS1_30default_config_static_selectorELNS0_4arch9wavefront6targetE0EEEvS10_,comdat
.Lfunc_end427:
	.size	_ZN7rocprim17ROCPRIM_400000_NS6detail17trampoline_kernelINS0_14default_configENS1_21merge_config_selectorINS0_5tupleIJiiEEENS0_10empty_typeEEEZNS1_10merge_implIS3_NS0_12zip_iteratorINS5_IJN6thrust23THRUST_200600_302600_NS6detail15normal_iteratorINSC_10device_ptrIKiEEEESI_EEEEESK_NSA_INS5_IJNSE_INSF_IiEEEESM_EEEEEPS7_SP_SP_NSC_11hip_rocprim7__merge17predicate_wrapperIiiNSC_7greaterIiEEEEEE10hipError_tPvRmT0_T1_T2_T3_T4_T5_mmT6_P12ihipStream_tbEUlT_E_NS1_11comp_targetILNS1_3genE4ELNS1_11target_archE910ELNS1_3gpuE8ELNS1_3repE0EEENS1_30default_config_static_selectorELNS0_4arch9wavefront6targetE0EEEvS10_, .Lfunc_end427-_ZN7rocprim17ROCPRIM_400000_NS6detail17trampoline_kernelINS0_14default_configENS1_21merge_config_selectorINS0_5tupleIJiiEEENS0_10empty_typeEEEZNS1_10merge_implIS3_NS0_12zip_iteratorINS5_IJN6thrust23THRUST_200600_302600_NS6detail15normal_iteratorINSC_10device_ptrIKiEEEESI_EEEEESK_NSA_INS5_IJNSE_INSF_IiEEEESM_EEEEEPS7_SP_SP_NSC_11hip_rocprim7__merge17predicate_wrapperIiiNSC_7greaterIiEEEEEE10hipError_tPvRmT0_T1_T2_T3_T4_T5_mmT6_P12ihipStream_tbEUlT_E_NS1_11comp_targetILNS1_3genE4ELNS1_11target_archE910ELNS1_3gpuE8ELNS1_3repE0EEENS1_30default_config_static_selectorELNS0_4arch9wavefront6targetE0EEEvS10_
                                        ; -- End function
	.set _ZN7rocprim17ROCPRIM_400000_NS6detail17trampoline_kernelINS0_14default_configENS1_21merge_config_selectorINS0_5tupleIJiiEEENS0_10empty_typeEEEZNS1_10merge_implIS3_NS0_12zip_iteratorINS5_IJN6thrust23THRUST_200600_302600_NS6detail15normal_iteratorINSC_10device_ptrIKiEEEESI_EEEEESK_NSA_INS5_IJNSE_INSF_IiEEEESM_EEEEEPS7_SP_SP_NSC_11hip_rocprim7__merge17predicate_wrapperIiiNSC_7greaterIiEEEEEE10hipError_tPvRmT0_T1_T2_T3_T4_T5_mmT6_P12ihipStream_tbEUlT_E_NS1_11comp_targetILNS1_3genE4ELNS1_11target_archE910ELNS1_3gpuE8ELNS1_3repE0EEENS1_30default_config_static_selectorELNS0_4arch9wavefront6targetE0EEEvS10_.num_vgpr, 0
	.set _ZN7rocprim17ROCPRIM_400000_NS6detail17trampoline_kernelINS0_14default_configENS1_21merge_config_selectorINS0_5tupleIJiiEEENS0_10empty_typeEEEZNS1_10merge_implIS3_NS0_12zip_iteratorINS5_IJN6thrust23THRUST_200600_302600_NS6detail15normal_iteratorINSC_10device_ptrIKiEEEESI_EEEEESK_NSA_INS5_IJNSE_INSF_IiEEEESM_EEEEEPS7_SP_SP_NSC_11hip_rocprim7__merge17predicate_wrapperIiiNSC_7greaterIiEEEEEE10hipError_tPvRmT0_T1_T2_T3_T4_T5_mmT6_P12ihipStream_tbEUlT_E_NS1_11comp_targetILNS1_3genE4ELNS1_11target_archE910ELNS1_3gpuE8ELNS1_3repE0EEENS1_30default_config_static_selectorELNS0_4arch9wavefront6targetE0EEEvS10_.num_agpr, 0
	.set _ZN7rocprim17ROCPRIM_400000_NS6detail17trampoline_kernelINS0_14default_configENS1_21merge_config_selectorINS0_5tupleIJiiEEENS0_10empty_typeEEEZNS1_10merge_implIS3_NS0_12zip_iteratorINS5_IJN6thrust23THRUST_200600_302600_NS6detail15normal_iteratorINSC_10device_ptrIKiEEEESI_EEEEESK_NSA_INS5_IJNSE_INSF_IiEEEESM_EEEEEPS7_SP_SP_NSC_11hip_rocprim7__merge17predicate_wrapperIiiNSC_7greaterIiEEEEEE10hipError_tPvRmT0_T1_T2_T3_T4_T5_mmT6_P12ihipStream_tbEUlT_E_NS1_11comp_targetILNS1_3genE4ELNS1_11target_archE910ELNS1_3gpuE8ELNS1_3repE0EEENS1_30default_config_static_selectorELNS0_4arch9wavefront6targetE0EEEvS10_.numbered_sgpr, 0
	.set _ZN7rocprim17ROCPRIM_400000_NS6detail17trampoline_kernelINS0_14default_configENS1_21merge_config_selectorINS0_5tupleIJiiEEENS0_10empty_typeEEEZNS1_10merge_implIS3_NS0_12zip_iteratorINS5_IJN6thrust23THRUST_200600_302600_NS6detail15normal_iteratorINSC_10device_ptrIKiEEEESI_EEEEESK_NSA_INS5_IJNSE_INSF_IiEEEESM_EEEEEPS7_SP_SP_NSC_11hip_rocprim7__merge17predicate_wrapperIiiNSC_7greaterIiEEEEEE10hipError_tPvRmT0_T1_T2_T3_T4_T5_mmT6_P12ihipStream_tbEUlT_E_NS1_11comp_targetILNS1_3genE4ELNS1_11target_archE910ELNS1_3gpuE8ELNS1_3repE0EEENS1_30default_config_static_selectorELNS0_4arch9wavefront6targetE0EEEvS10_.num_named_barrier, 0
	.set _ZN7rocprim17ROCPRIM_400000_NS6detail17trampoline_kernelINS0_14default_configENS1_21merge_config_selectorINS0_5tupleIJiiEEENS0_10empty_typeEEEZNS1_10merge_implIS3_NS0_12zip_iteratorINS5_IJN6thrust23THRUST_200600_302600_NS6detail15normal_iteratorINSC_10device_ptrIKiEEEESI_EEEEESK_NSA_INS5_IJNSE_INSF_IiEEEESM_EEEEEPS7_SP_SP_NSC_11hip_rocprim7__merge17predicate_wrapperIiiNSC_7greaterIiEEEEEE10hipError_tPvRmT0_T1_T2_T3_T4_T5_mmT6_P12ihipStream_tbEUlT_E_NS1_11comp_targetILNS1_3genE4ELNS1_11target_archE910ELNS1_3gpuE8ELNS1_3repE0EEENS1_30default_config_static_selectorELNS0_4arch9wavefront6targetE0EEEvS10_.private_seg_size, 0
	.set _ZN7rocprim17ROCPRIM_400000_NS6detail17trampoline_kernelINS0_14default_configENS1_21merge_config_selectorINS0_5tupleIJiiEEENS0_10empty_typeEEEZNS1_10merge_implIS3_NS0_12zip_iteratorINS5_IJN6thrust23THRUST_200600_302600_NS6detail15normal_iteratorINSC_10device_ptrIKiEEEESI_EEEEESK_NSA_INS5_IJNSE_INSF_IiEEEESM_EEEEEPS7_SP_SP_NSC_11hip_rocprim7__merge17predicate_wrapperIiiNSC_7greaterIiEEEEEE10hipError_tPvRmT0_T1_T2_T3_T4_T5_mmT6_P12ihipStream_tbEUlT_E_NS1_11comp_targetILNS1_3genE4ELNS1_11target_archE910ELNS1_3gpuE8ELNS1_3repE0EEENS1_30default_config_static_selectorELNS0_4arch9wavefront6targetE0EEEvS10_.uses_vcc, 0
	.set _ZN7rocprim17ROCPRIM_400000_NS6detail17trampoline_kernelINS0_14default_configENS1_21merge_config_selectorINS0_5tupleIJiiEEENS0_10empty_typeEEEZNS1_10merge_implIS3_NS0_12zip_iteratorINS5_IJN6thrust23THRUST_200600_302600_NS6detail15normal_iteratorINSC_10device_ptrIKiEEEESI_EEEEESK_NSA_INS5_IJNSE_INSF_IiEEEESM_EEEEEPS7_SP_SP_NSC_11hip_rocprim7__merge17predicate_wrapperIiiNSC_7greaterIiEEEEEE10hipError_tPvRmT0_T1_T2_T3_T4_T5_mmT6_P12ihipStream_tbEUlT_E_NS1_11comp_targetILNS1_3genE4ELNS1_11target_archE910ELNS1_3gpuE8ELNS1_3repE0EEENS1_30default_config_static_selectorELNS0_4arch9wavefront6targetE0EEEvS10_.uses_flat_scratch, 0
	.set _ZN7rocprim17ROCPRIM_400000_NS6detail17trampoline_kernelINS0_14default_configENS1_21merge_config_selectorINS0_5tupleIJiiEEENS0_10empty_typeEEEZNS1_10merge_implIS3_NS0_12zip_iteratorINS5_IJN6thrust23THRUST_200600_302600_NS6detail15normal_iteratorINSC_10device_ptrIKiEEEESI_EEEEESK_NSA_INS5_IJNSE_INSF_IiEEEESM_EEEEEPS7_SP_SP_NSC_11hip_rocprim7__merge17predicate_wrapperIiiNSC_7greaterIiEEEEEE10hipError_tPvRmT0_T1_T2_T3_T4_T5_mmT6_P12ihipStream_tbEUlT_E_NS1_11comp_targetILNS1_3genE4ELNS1_11target_archE910ELNS1_3gpuE8ELNS1_3repE0EEENS1_30default_config_static_selectorELNS0_4arch9wavefront6targetE0EEEvS10_.has_dyn_sized_stack, 0
	.set _ZN7rocprim17ROCPRIM_400000_NS6detail17trampoline_kernelINS0_14default_configENS1_21merge_config_selectorINS0_5tupleIJiiEEENS0_10empty_typeEEEZNS1_10merge_implIS3_NS0_12zip_iteratorINS5_IJN6thrust23THRUST_200600_302600_NS6detail15normal_iteratorINSC_10device_ptrIKiEEEESI_EEEEESK_NSA_INS5_IJNSE_INSF_IiEEEESM_EEEEEPS7_SP_SP_NSC_11hip_rocprim7__merge17predicate_wrapperIiiNSC_7greaterIiEEEEEE10hipError_tPvRmT0_T1_T2_T3_T4_T5_mmT6_P12ihipStream_tbEUlT_E_NS1_11comp_targetILNS1_3genE4ELNS1_11target_archE910ELNS1_3gpuE8ELNS1_3repE0EEENS1_30default_config_static_selectorELNS0_4arch9wavefront6targetE0EEEvS10_.has_recursion, 0
	.set _ZN7rocprim17ROCPRIM_400000_NS6detail17trampoline_kernelINS0_14default_configENS1_21merge_config_selectorINS0_5tupleIJiiEEENS0_10empty_typeEEEZNS1_10merge_implIS3_NS0_12zip_iteratorINS5_IJN6thrust23THRUST_200600_302600_NS6detail15normal_iteratorINSC_10device_ptrIKiEEEESI_EEEEESK_NSA_INS5_IJNSE_INSF_IiEEEESM_EEEEEPS7_SP_SP_NSC_11hip_rocprim7__merge17predicate_wrapperIiiNSC_7greaterIiEEEEEE10hipError_tPvRmT0_T1_T2_T3_T4_T5_mmT6_P12ihipStream_tbEUlT_E_NS1_11comp_targetILNS1_3genE4ELNS1_11target_archE910ELNS1_3gpuE8ELNS1_3repE0EEENS1_30default_config_static_selectorELNS0_4arch9wavefront6targetE0EEEvS10_.has_indirect_call, 0
	.section	.AMDGPU.csdata,"",@progbits
; Kernel info:
; codeLenInByte = 0
; TotalNumSgprs: 0
; NumVgprs: 0
; ScratchSize: 0
; MemoryBound: 0
; FloatMode: 240
; IeeeMode: 1
; LDSByteSize: 0 bytes/workgroup (compile time only)
; SGPRBlocks: 0
; VGPRBlocks: 0
; NumSGPRsForWavesPerEU: 1
; NumVGPRsForWavesPerEU: 1
; Occupancy: 16
; WaveLimiterHint : 0
; COMPUTE_PGM_RSRC2:SCRATCH_EN: 0
; COMPUTE_PGM_RSRC2:USER_SGPR: 6
; COMPUTE_PGM_RSRC2:TRAP_HANDLER: 0
; COMPUTE_PGM_RSRC2:TGID_X_EN: 1
; COMPUTE_PGM_RSRC2:TGID_Y_EN: 0
; COMPUTE_PGM_RSRC2:TGID_Z_EN: 0
; COMPUTE_PGM_RSRC2:TIDIG_COMP_CNT: 0
	.section	.text._ZN7rocprim17ROCPRIM_400000_NS6detail17trampoline_kernelINS0_14default_configENS1_21merge_config_selectorINS0_5tupleIJiiEEENS0_10empty_typeEEEZNS1_10merge_implIS3_NS0_12zip_iteratorINS5_IJN6thrust23THRUST_200600_302600_NS6detail15normal_iteratorINSC_10device_ptrIKiEEEESI_EEEEESK_NSA_INS5_IJNSE_INSF_IiEEEESM_EEEEEPS7_SP_SP_NSC_11hip_rocprim7__merge17predicate_wrapperIiiNSC_7greaterIiEEEEEE10hipError_tPvRmT0_T1_T2_T3_T4_T5_mmT6_P12ihipStream_tbEUlT_E_NS1_11comp_targetILNS1_3genE3ELNS1_11target_archE908ELNS1_3gpuE7ELNS1_3repE0EEENS1_30default_config_static_selectorELNS0_4arch9wavefront6targetE0EEEvS10_,"axG",@progbits,_ZN7rocprim17ROCPRIM_400000_NS6detail17trampoline_kernelINS0_14default_configENS1_21merge_config_selectorINS0_5tupleIJiiEEENS0_10empty_typeEEEZNS1_10merge_implIS3_NS0_12zip_iteratorINS5_IJN6thrust23THRUST_200600_302600_NS6detail15normal_iteratorINSC_10device_ptrIKiEEEESI_EEEEESK_NSA_INS5_IJNSE_INSF_IiEEEESM_EEEEEPS7_SP_SP_NSC_11hip_rocprim7__merge17predicate_wrapperIiiNSC_7greaterIiEEEEEE10hipError_tPvRmT0_T1_T2_T3_T4_T5_mmT6_P12ihipStream_tbEUlT_E_NS1_11comp_targetILNS1_3genE3ELNS1_11target_archE908ELNS1_3gpuE7ELNS1_3repE0EEENS1_30default_config_static_selectorELNS0_4arch9wavefront6targetE0EEEvS10_,comdat
	.protected	_ZN7rocprim17ROCPRIM_400000_NS6detail17trampoline_kernelINS0_14default_configENS1_21merge_config_selectorINS0_5tupleIJiiEEENS0_10empty_typeEEEZNS1_10merge_implIS3_NS0_12zip_iteratorINS5_IJN6thrust23THRUST_200600_302600_NS6detail15normal_iteratorINSC_10device_ptrIKiEEEESI_EEEEESK_NSA_INS5_IJNSE_INSF_IiEEEESM_EEEEEPS7_SP_SP_NSC_11hip_rocprim7__merge17predicate_wrapperIiiNSC_7greaterIiEEEEEE10hipError_tPvRmT0_T1_T2_T3_T4_T5_mmT6_P12ihipStream_tbEUlT_E_NS1_11comp_targetILNS1_3genE3ELNS1_11target_archE908ELNS1_3gpuE7ELNS1_3repE0EEENS1_30default_config_static_selectorELNS0_4arch9wavefront6targetE0EEEvS10_ ; -- Begin function _ZN7rocprim17ROCPRIM_400000_NS6detail17trampoline_kernelINS0_14default_configENS1_21merge_config_selectorINS0_5tupleIJiiEEENS0_10empty_typeEEEZNS1_10merge_implIS3_NS0_12zip_iteratorINS5_IJN6thrust23THRUST_200600_302600_NS6detail15normal_iteratorINSC_10device_ptrIKiEEEESI_EEEEESK_NSA_INS5_IJNSE_INSF_IiEEEESM_EEEEEPS7_SP_SP_NSC_11hip_rocprim7__merge17predicate_wrapperIiiNSC_7greaterIiEEEEEE10hipError_tPvRmT0_T1_T2_T3_T4_T5_mmT6_P12ihipStream_tbEUlT_E_NS1_11comp_targetILNS1_3genE3ELNS1_11target_archE908ELNS1_3gpuE7ELNS1_3repE0EEENS1_30default_config_static_selectorELNS0_4arch9wavefront6targetE0EEEvS10_
	.globl	_ZN7rocprim17ROCPRIM_400000_NS6detail17trampoline_kernelINS0_14default_configENS1_21merge_config_selectorINS0_5tupleIJiiEEENS0_10empty_typeEEEZNS1_10merge_implIS3_NS0_12zip_iteratorINS5_IJN6thrust23THRUST_200600_302600_NS6detail15normal_iteratorINSC_10device_ptrIKiEEEESI_EEEEESK_NSA_INS5_IJNSE_INSF_IiEEEESM_EEEEEPS7_SP_SP_NSC_11hip_rocprim7__merge17predicate_wrapperIiiNSC_7greaterIiEEEEEE10hipError_tPvRmT0_T1_T2_T3_T4_T5_mmT6_P12ihipStream_tbEUlT_E_NS1_11comp_targetILNS1_3genE3ELNS1_11target_archE908ELNS1_3gpuE7ELNS1_3repE0EEENS1_30default_config_static_selectorELNS0_4arch9wavefront6targetE0EEEvS10_
	.p2align	8
	.type	_ZN7rocprim17ROCPRIM_400000_NS6detail17trampoline_kernelINS0_14default_configENS1_21merge_config_selectorINS0_5tupleIJiiEEENS0_10empty_typeEEEZNS1_10merge_implIS3_NS0_12zip_iteratorINS5_IJN6thrust23THRUST_200600_302600_NS6detail15normal_iteratorINSC_10device_ptrIKiEEEESI_EEEEESK_NSA_INS5_IJNSE_INSF_IiEEEESM_EEEEEPS7_SP_SP_NSC_11hip_rocprim7__merge17predicate_wrapperIiiNSC_7greaterIiEEEEEE10hipError_tPvRmT0_T1_T2_T3_T4_T5_mmT6_P12ihipStream_tbEUlT_E_NS1_11comp_targetILNS1_3genE3ELNS1_11target_archE908ELNS1_3gpuE7ELNS1_3repE0EEENS1_30default_config_static_selectorELNS0_4arch9wavefront6targetE0EEEvS10_,@function
_ZN7rocprim17ROCPRIM_400000_NS6detail17trampoline_kernelINS0_14default_configENS1_21merge_config_selectorINS0_5tupleIJiiEEENS0_10empty_typeEEEZNS1_10merge_implIS3_NS0_12zip_iteratorINS5_IJN6thrust23THRUST_200600_302600_NS6detail15normal_iteratorINSC_10device_ptrIKiEEEESI_EEEEESK_NSA_INS5_IJNSE_INSF_IiEEEESM_EEEEEPS7_SP_SP_NSC_11hip_rocprim7__merge17predicate_wrapperIiiNSC_7greaterIiEEEEEE10hipError_tPvRmT0_T1_T2_T3_T4_T5_mmT6_P12ihipStream_tbEUlT_E_NS1_11comp_targetILNS1_3genE3ELNS1_11target_archE908ELNS1_3gpuE7ELNS1_3repE0EEENS1_30default_config_static_selectorELNS0_4arch9wavefront6targetE0EEEvS10_: ; @_ZN7rocprim17ROCPRIM_400000_NS6detail17trampoline_kernelINS0_14default_configENS1_21merge_config_selectorINS0_5tupleIJiiEEENS0_10empty_typeEEEZNS1_10merge_implIS3_NS0_12zip_iteratorINS5_IJN6thrust23THRUST_200600_302600_NS6detail15normal_iteratorINSC_10device_ptrIKiEEEESI_EEEEESK_NSA_INS5_IJNSE_INSF_IiEEEESM_EEEEEPS7_SP_SP_NSC_11hip_rocprim7__merge17predicate_wrapperIiiNSC_7greaterIiEEEEEE10hipError_tPvRmT0_T1_T2_T3_T4_T5_mmT6_P12ihipStream_tbEUlT_E_NS1_11comp_targetILNS1_3genE3ELNS1_11target_archE908ELNS1_3gpuE7ELNS1_3repE0EEENS1_30default_config_static_selectorELNS0_4arch9wavefront6targetE0EEEvS10_
; %bb.0:
	.section	.rodata,"a",@progbits
	.p2align	6, 0x0
	.amdhsa_kernel _ZN7rocprim17ROCPRIM_400000_NS6detail17trampoline_kernelINS0_14default_configENS1_21merge_config_selectorINS0_5tupleIJiiEEENS0_10empty_typeEEEZNS1_10merge_implIS3_NS0_12zip_iteratorINS5_IJN6thrust23THRUST_200600_302600_NS6detail15normal_iteratorINSC_10device_ptrIKiEEEESI_EEEEESK_NSA_INS5_IJNSE_INSF_IiEEEESM_EEEEEPS7_SP_SP_NSC_11hip_rocprim7__merge17predicate_wrapperIiiNSC_7greaterIiEEEEEE10hipError_tPvRmT0_T1_T2_T3_T4_T5_mmT6_P12ihipStream_tbEUlT_E_NS1_11comp_targetILNS1_3genE3ELNS1_11target_archE908ELNS1_3gpuE7ELNS1_3repE0EEENS1_30default_config_static_selectorELNS0_4arch9wavefront6targetE0EEEvS10_
		.amdhsa_group_segment_fixed_size 0
		.amdhsa_private_segment_fixed_size 0
		.amdhsa_kernarg_size 64
		.amdhsa_user_sgpr_count 6
		.amdhsa_user_sgpr_private_segment_buffer 1
		.amdhsa_user_sgpr_dispatch_ptr 0
		.amdhsa_user_sgpr_queue_ptr 0
		.amdhsa_user_sgpr_kernarg_segment_ptr 1
		.amdhsa_user_sgpr_dispatch_id 0
		.amdhsa_user_sgpr_flat_scratch_init 0
		.amdhsa_user_sgpr_private_segment_size 0
		.amdhsa_wavefront_size32 1
		.amdhsa_uses_dynamic_stack 0
		.amdhsa_system_sgpr_private_segment_wavefront_offset 0
		.amdhsa_system_sgpr_workgroup_id_x 1
		.amdhsa_system_sgpr_workgroup_id_y 0
		.amdhsa_system_sgpr_workgroup_id_z 0
		.amdhsa_system_sgpr_workgroup_info 0
		.amdhsa_system_vgpr_workitem_id 0
		.amdhsa_next_free_vgpr 1
		.amdhsa_next_free_sgpr 1
		.amdhsa_reserve_vcc 0
		.amdhsa_reserve_flat_scratch 0
		.amdhsa_float_round_mode_32 0
		.amdhsa_float_round_mode_16_64 0
		.amdhsa_float_denorm_mode_32 3
		.amdhsa_float_denorm_mode_16_64 3
		.amdhsa_dx10_clamp 1
		.amdhsa_ieee_mode 1
		.amdhsa_fp16_overflow 0
		.amdhsa_workgroup_processor_mode 1
		.amdhsa_memory_ordered 1
		.amdhsa_forward_progress 1
		.amdhsa_shared_vgpr_count 0
		.amdhsa_exception_fp_ieee_invalid_op 0
		.amdhsa_exception_fp_denorm_src 0
		.amdhsa_exception_fp_ieee_div_zero 0
		.amdhsa_exception_fp_ieee_overflow 0
		.amdhsa_exception_fp_ieee_underflow 0
		.amdhsa_exception_fp_ieee_inexact 0
		.amdhsa_exception_int_div_zero 0
	.end_amdhsa_kernel
	.section	.text._ZN7rocprim17ROCPRIM_400000_NS6detail17trampoline_kernelINS0_14default_configENS1_21merge_config_selectorINS0_5tupleIJiiEEENS0_10empty_typeEEEZNS1_10merge_implIS3_NS0_12zip_iteratorINS5_IJN6thrust23THRUST_200600_302600_NS6detail15normal_iteratorINSC_10device_ptrIKiEEEESI_EEEEESK_NSA_INS5_IJNSE_INSF_IiEEEESM_EEEEEPS7_SP_SP_NSC_11hip_rocprim7__merge17predicate_wrapperIiiNSC_7greaterIiEEEEEE10hipError_tPvRmT0_T1_T2_T3_T4_T5_mmT6_P12ihipStream_tbEUlT_E_NS1_11comp_targetILNS1_3genE3ELNS1_11target_archE908ELNS1_3gpuE7ELNS1_3repE0EEENS1_30default_config_static_selectorELNS0_4arch9wavefront6targetE0EEEvS10_,"axG",@progbits,_ZN7rocprim17ROCPRIM_400000_NS6detail17trampoline_kernelINS0_14default_configENS1_21merge_config_selectorINS0_5tupleIJiiEEENS0_10empty_typeEEEZNS1_10merge_implIS3_NS0_12zip_iteratorINS5_IJN6thrust23THRUST_200600_302600_NS6detail15normal_iteratorINSC_10device_ptrIKiEEEESI_EEEEESK_NSA_INS5_IJNSE_INSF_IiEEEESM_EEEEEPS7_SP_SP_NSC_11hip_rocprim7__merge17predicate_wrapperIiiNSC_7greaterIiEEEEEE10hipError_tPvRmT0_T1_T2_T3_T4_T5_mmT6_P12ihipStream_tbEUlT_E_NS1_11comp_targetILNS1_3genE3ELNS1_11target_archE908ELNS1_3gpuE7ELNS1_3repE0EEENS1_30default_config_static_selectorELNS0_4arch9wavefront6targetE0EEEvS10_,comdat
.Lfunc_end428:
	.size	_ZN7rocprim17ROCPRIM_400000_NS6detail17trampoline_kernelINS0_14default_configENS1_21merge_config_selectorINS0_5tupleIJiiEEENS0_10empty_typeEEEZNS1_10merge_implIS3_NS0_12zip_iteratorINS5_IJN6thrust23THRUST_200600_302600_NS6detail15normal_iteratorINSC_10device_ptrIKiEEEESI_EEEEESK_NSA_INS5_IJNSE_INSF_IiEEEESM_EEEEEPS7_SP_SP_NSC_11hip_rocprim7__merge17predicate_wrapperIiiNSC_7greaterIiEEEEEE10hipError_tPvRmT0_T1_T2_T3_T4_T5_mmT6_P12ihipStream_tbEUlT_E_NS1_11comp_targetILNS1_3genE3ELNS1_11target_archE908ELNS1_3gpuE7ELNS1_3repE0EEENS1_30default_config_static_selectorELNS0_4arch9wavefront6targetE0EEEvS10_, .Lfunc_end428-_ZN7rocprim17ROCPRIM_400000_NS6detail17trampoline_kernelINS0_14default_configENS1_21merge_config_selectorINS0_5tupleIJiiEEENS0_10empty_typeEEEZNS1_10merge_implIS3_NS0_12zip_iteratorINS5_IJN6thrust23THRUST_200600_302600_NS6detail15normal_iteratorINSC_10device_ptrIKiEEEESI_EEEEESK_NSA_INS5_IJNSE_INSF_IiEEEESM_EEEEEPS7_SP_SP_NSC_11hip_rocprim7__merge17predicate_wrapperIiiNSC_7greaterIiEEEEEE10hipError_tPvRmT0_T1_T2_T3_T4_T5_mmT6_P12ihipStream_tbEUlT_E_NS1_11comp_targetILNS1_3genE3ELNS1_11target_archE908ELNS1_3gpuE7ELNS1_3repE0EEENS1_30default_config_static_selectorELNS0_4arch9wavefront6targetE0EEEvS10_
                                        ; -- End function
	.set _ZN7rocprim17ROCPRIM_400000_NS6detail17trampoline_kernelINS0_14default_configENS1_21merge_config_selectorINS0_5tupleIJiiEEENS0_10empty_typeEEEZNS1_10merge_implIS3_NS0_12zip_iteratorINS5_IJN6thrust23THRUST_200600_302600_NS6detail15normal_iteratorINSC_10device_ptrIKiEEEESI_EEEEESK_NSA_INS5_IJNSE_INSF_IiEEEESM_EEEEEPS7_SP_SP_NSC_11hip_rocprim7__merge17predicate_wrapperIiiNSC_7greaterIiEEEEEE10hipError_tPvRmT0_T1_T2_T3_T4_T5_mmT6_P12ihipStream_tbEUlT_E_NS1_11comp_targetILNS1_3genE3ELNS1_11target_archE908ELNS1_3gpuE7ELNS1_3repE0EEENS1_30default_config_static_selectorELNS0_4arch9wavefront6targetE0EEEvS10_.num_vgpr, 0
	.set _ZN7rocprim17ROCPRIM_400000_NS6detail17trampoline_kernelINS0_14default_configENS1_21merge_config_selectorINS0_5tupleIJiiEEENS0_10empty_typeEEEZNS1_10merge_implIS3_NS0_12zip_iteratorINS5_IJN6thrust23THRUST_200600_302600_NS6detail15normal_iteratorINSC_10device_ptrIKiEEEESI_EEEEESK_NSA_INS5_IJNSE_INSF_IiEEEESM_EEEEEPS7_SP_SP_NSC_11hip_rocprim7__merge17predicate_wrapperIiiNSC_7greaterIiEEEEEE10hipError_tPvRmT0_T1_T2_T3_T4_T5_mmT6_P12ihipStream_tbEUlT_E_NS1_11comp_targetILNS1_3genE3ELNS1_11target_archE908ELNS1_3gpuE7ELNS1_3repE0EEENS1_30default_config_static_selectorELNS0_4arch9wavefront6targetE0EEEvS10_.num_agpr, 0
	.set _ZN7rocprim17ROCPRIM_400000_NS6detail17trampoline_kernelINS0_14default_configENS1_21merge_config_selectorINS0_5tupleIJiiEEENS0_10empty_typeEEEZNS1_10merge_implIS3_NS0_12zip_iteratorINS5_IJN6thrust23THRUST_200600_302600_NS6detail15normal_iteratorINSC_10device_ptrIKiEEEESI_EEEEESK_NSA_INS5_IJNSE_INSF_IiEEEESM_EEEEEPS7_SP_SP_NSC_11hip_rocprim7__merge17predicate_wrapperIiiNSC_7greaterIiEEEEEE10hipError_tPvRmT0_T1_T2_T3_T4_T5_mmT6_P12ihipStream_tbEUlT_E_NS1_11comp_targetILNS1_3genE3ELNS1_11target_archE908ELNS1_3gpuE7ELNS1_3repE0EEENS1_30default_config_static_selectorELNS0_4arch9wavefront6targetE0EEEvS10_.numbered_sgpr, 0
	.set _ZN7rocprim17ROCPRIM_400000_NS6detail17trampoline_kernelINS0_14default_configENS1_21merge_config_selectorINS0_5tupleIJiiEEENS0_10empty_typeEEEZNS1_10merge_implIS3_NS0_12zip_iteratorINS5_IJN6thrust23THRUST_200600_302600_NS6detail15normal_iteratorINSC_10device_ptrIKiEEEESI_EEEEESK_NSA_INS5_IJNSE_INSF_IiEEEESM_EEEEEPS7_SP_SP_NSC_11hip_rocprim7__merge17predicate_wrapperIiiNSC_7greaterIiEEEEEE10hipError_tPvRmT0_T1_T2_T3_T4_T5_mmT6_P12ihipStream_tbEUlT_E_NS1_11comp_targetILNS1_3genE3ELNS1_11target_archE908ELNS1_3gpuE7ELNS1_3repE0EEENS1_30default_config_static_selectorELNS0_4arch9wavefront6targetE0EEEvS10_.num_named_barrier, 0
	.set _ZN7rocprim17ROCPRIM_400000_NS6detail17trampoline_kernelINS0_14default_configENS1_21merge_config_selectorINS0_5tupleIJiiEEENS0_10empty_typeEEEZNS1_10merge_implIS3_NS0_12zip_iteratorINS5_IJN6thrust23THRUST_200600_302600_NS6detail15normal_iteratorINSC_10device_ptrIKiEEEESI_EEEEESK_NSA_INS5_IJNSE_INSF_IiEEEESM_EEEEEPS7_SP_SP_NSC_11hip_rocprim7__merge17predicate_wrapperIiiNSC_7greaterIiEEEEEE10hipError_tPvRmT0_T1_T2_T3_T4_T5_mmT6_P12ihipStream_tbEUlT_E_NS1_11comp_targetILNS1_3genE3ELNS1_11target_archE908ELNS1_3gpuE7ELNS1_3repE0EEENS1_30default_config_static_selectorELNS0_4arch9wavefront6targetE0EEEvS10_.private_seg_size, 0
	.set _ZN7rocprim17ROCPRIM_400000_NS6detail17trampoline_kernelINS0_14default_configENS1_21merge_config_selectorINS0_5tupleIJiiEEENS0_10empty_typeEEEZNS1_10merge_implIS3_NS0_12zip_iteratorINS5_IJN6thrust23THRUST_200600_302600_NS6detail15normal_iteratorINSC_10device_ptrIKiEEEESI_EEEEESK_NSA_INS5_IJNSE_INSF_IiEEEESM_EEEEEPS7_SP_SP_NSC_11hip_rocprim7__merge17predicate_wrapperIiiNSC_7greaterIiEEEEEE10hipError_tPvRmT0_T1_T2_T3_T4_T5_mmT6_P12ihipStream_tbEUlT_E_NS1_11comp_targetILNS1_3genE3ELNS1_11target_archE908ELNS1_3gpuE7ELNS1_3repE0EEENS1_30default_config_static_selectorELNS0_4arch9wavefront6targetE0EEEvS10_.uses_vcc, 0
	.set _ZN7rocprim17ROCPRIM_400000_NS6detail17trampoline_kernelINS0_14default_configENS1_21merge_config_selectorINS0_5tupleIJiiEEENS0_10empty_typeEEEZNS1_10merge_implIS3_NS0_12zip_iteratorINS5_IJN6thrust23THRUST_200600_302600_NS6detail15normal_iteratorINSC_10device_ptrIKiEEEESI_EEEEESK_NSA_INS5_IJNSE_INSF_IiEEEESM_EEEEEPS7_SP_SP_NSC_11hip_rocprim7__merge17predicate_wrapperIiiNSC_7greaterIiEEEEEE10hipError_tPvRmT0_T1_T2_T3_T4_T5_mmT6_P12ihipStream_tbEUlT_E_NS1_11comp_targetILNS1_3genE3ELNS1_11target_archE908ELNS1_3gpuE7ELNS1_3repE0EEENS1_30default_config_static_selectorELNS0_4arch9wavefront6targetE0EEEvS10_.uses_flat_scratch, 0
	.set _ZN7rocprim17ROCPRIM_400000_NS6detail17trampoline_kernelINS0_14default_configENS1_21merge_config_selectorINS0_5tupleIJiiEEENS0_10empty_typeEEEZNS1_10merge_implIS3_NS0_12zip_iteratorINS5_IJN6thrust23THRUST_200600_302600_NS6detail15normal_iteratorINSC_10device_ptrIKiEEEESI_EEEEESK_NSA_INS5_IJNSE_INSF_IiEEEESM_EEEEEPS7_SP_SP_NSC_11hip_rocprim7__merge17predicate_wrapperIiiNSC_7greaterIiEEEEEE10hipError_tPvRmT0_T1_T2_T3_T4_T5_mmT6_P12ihipStream_tbEUlT_E_NS1_11comp_targetILNS1_3genE3ELNS1_11target_archE908ELNS1_3gpuE7ELNS1_3repE0EEENS1_30default_config_static_selectorELNS0_4arch9wavefront6targetE0EEEvS10_.has_dyn_sized_stack, 0
	.set _ZN7rocprim17ROCPRIM_400000_NS6detail17trampoline_kernelINS0_14default_configENS1_21merge_config_selectorINS0_5tupleIJiiEEENS0_10empty_typeEEEZNS1_10merge_implIS3_NS0_12zip_iteratorINS5_IJN6thrust23THRUST_200600_302600_NS6detail15normal_iteratorINSC_10device_ptrIKiEEEESI_EEEEESK_NSA_INS5_IJNSE_INSF_IiEEEESM_EEEEEPS7_SP_SP_NSC_11hip_rocprim7__merge17predicate_wrapperIiiNSC_7greaterIiEEEEEE10hipError_tPvRmT0_T1_T2_T3_T4_T5_mmT6_P12ihipStream_tbEUlT_E_NS1_11comp_targetILNS1_3genE3ELNS1_11target_archE908ELNS1_3gpuE7ELNS1_3repE0EEENS1_30default_config_static_selectorELNS0_4arch9wavefront6targetE0EEEvS10_.has_recursion, 0
	.set _ZN7rocprim17ROCPRIM_400000_NS6detail17trampoline_kernelINS0_14default_configENS1_21merge_config_selectorINS0_5tupleIJiiEEENS0_10empty_typeEEEZNS1_10merge_implIS3_NS0_12zip_iteratorINS5_IJN6thrust23THRUST_200600_302600_NS6detail15normal_iteratorINSC_10device_ptrIKiEEEESI_EEEEESK_NSA_INS5_IJNSE_INSF_IiEEEESM_EEEEEPS7_SP_SP_NSC_11hip_rocprim7__merge17predicate_wrapperIiiNSC_7greaterIiEEEEEE10hipError_tPvRmT0_T1_T2_T3_T4_T5_mmT6_P12ihipStream_tbEUlT_E_NS1_11comp_targetILNS1_3genE3ELNS1_11target_archE908ELNS1_3gpuE7ELNS1_3repE0EEENS1_30default_config_static_selectorELNS0_4arch9wavefront6targetE0EEEvS10_.has_indirect_call, 0
	.section	.AMDGPU.csdata,"",@progbits
; Kernel info:
; codeLenInByte = 0
; TotalNumSgprs: 0
; NumVgprs: 0
; ScratchSize: 0
; MemoryBound: 0
; FloatMode: 240
; IeeeMode: 1
; LDSByteSize: 0 bytes/workgroup (compile time only)
; SGPRBlocks: 0
; VGPRBlocks: 0
; NumSGPRsForWavesPerEU: 1
; NumVGPRsForWavesPerEU: 1
; Occupancy: 16
; WaveLimiterHint : 0
; COMPUTE_PGM_RSRC2:SCRATCH_EN: 0
; COMPUTE_PGM_RSRC2:USER_SGPR: 6
; COMPUTE_PGM_RSRC2:TRAP_HANDLER: 0
; COMPUTE_PGM_RSRC2:TGID_X_EN: 1
; COMPUTE_PGM_RSRC2:TGID_Y_EN: 0
; COMPUTE_PGM_RSRC2:TGID_Z_EN: 0
; COMPUTE_PGM_RSRC2:TIDIG_COMP_CNT: 0
	.section	.text._ZN7rocprim17ROCPRIM_400000_NS6detail17trampoline_kernelINS0_14default_configENS1_21merge_config_selectorINS0_5tupleIJiiEEENS0_10empty_typeEEEZNS1_10merge_implIS3_NS0_12zip_iteratorINS5_IJN6thrust23THRUST_200600_302600_NS6detail15normal_iteratorINSC_10device_ptrIKiEEEESI_EEEEESK_NSA_INS5_IJNSE_INSF_IiEEEESM_EEEEEPS7_SP_SP_NSC_11hip_rocprim7__merge17predicate_wrapperIiiNSC_7greaterIiEEEEEE10hipError_tPvRmT0_T1_T2_T3_T4_T5_mmT6_P12ihipStream_tbEUlT_E_NS1_11comp_targetILNS1_3genE2ELNS1_11target_archE906ELNS1_3gpuE6ELNS1_3repE0EEENS1_30default_config_static_selectorELNS0_4arch9wavefront6targetE0EEEvS10_,"axG",@progbits,_ZN7rocprim17ROCPRIM_400000_NS6detail17trampoline_kernelINS0_14default_configENS1_21merge_config_selectorINS0_5tupleIJiiEEENS0_10empty_typeEEEZNS1_10merge_implIS3_NS0_12zip_iteratorINS5_IJN6thrust23THRUST_200600_302600_NS6detail15normal_iteratorINSC_10device_ptrIKiEEEESI_EEEEESK_NSA_INS5_IJNSE_INSF_IiEEEESM_EEEEEPS7_SP_SP_NSC_11hip_rocprim7__merge17predicate_wrapperIiiNSC_7greaterIiEEEEEE10hipError_tPvRmT0_T1_T2_T3_T4_T5_mmT6_P12ihipStream_tbEUlT_E_NS1_11comp_targetILNS1_3genE2ELNS1_11target_archE906ELNS1_3gpuE6ELNS1_3repE0EEENS1_30default_config_static_selectorELNS0_4arch9wavefront6targetE0EEEvS10_,comdat
	.protected	_ZN7rocprim17ROCPRIM_400000_NS6detail17trampoline_kernelINS0_14default_configENS1_21merge_config_selectorINS0_5tupleIJiiEEENS0_10empty_typeEEEZNS1_10merge_implIS3_NS0_12zip_iteratorINS5_IJN6thrust23THRUST_200600_302600_NS6detail15normal_iteratorINSC_10device_ptrIKiEEEESI_EEEEESK_NSA_INS5_IJNSE_INSF_IiEEEESM_EEEEEPS7_SP_SP_NSC_11hip_rocprim7__merge17predicate_wrapperIiiNSC_7greaterIiEEEEEE10hipError_tPvRmT0_T1_T2_T3_T4_T5_mmT6_P12ihipStream_tbEUlT_E_NS1_11comp_targetILNS1_3genE2ELNS1_11target_archE906ELNS1_3gpuE6ELNS1_3repE0EEENS1_30default_config_static_selectorELNS0_4arch9wavefront6targetE0EEEvS10_ ; -- Begin function _ZN7rocprim17ROCPRIM_400000_NS6detail17trampoline_kernelINS0_14default_configENS1_21merge_config_selectorINS0_5tupleIJiiEEENS0_10empty_typeEEEZNS1_10merge_implIS3_NS0_12zip_iteratorINS5_IJN6thrust23THRUST_200600_302600_NS6detail15normal_iteratorINSC_10device_ptrIKiEEEESI_EEEEESK_NSA_INS5_IJNSE_INSF_IiEEEESM_EEEEEPS7_SP_SP_NSC_11hip_rocprim7__merge17predicate_wrapperIiiNSC_7greaterIiEEEEEE10hipError_tPvRmT0_T1_T2_T3_T4_T5_mmT6_P12ihipStream_tbEUlT_E_NS1_11comp_targetILNS1_3genE2ELNS1_11target_archE906ELNS1_3gpuE6ELNS1_3repE0EEENS1_30default_config_static_selectorELNS0_4arch9wavefront6targetE0EEEvS10_
	.globl	_ZN7rocprim17ROCPRIM_400000_NS6detail17trampoline_kernelINS0_14default_configENS1_21merge_config_selectorINS0_5tupleIJiiEEENS0_10empty_typeEEEZNS1_10merge_implIS3_NS0_12zip_iteratorINS5_IJN6thrust23THRUST_200600_302600_NS6detail15normal_iteratorINSC_10device_ptrIKiEEEESI_EEEEESK_NSA_INS5_IJNSE_INSF_IiEEEESM_EEEEEPS7_SP_SP_NSC_11hip_rocprim7__merge17predicate_wrapperIiiNSC_7greaterIiEEEEEE10hipError_tPvRmT0_T1_T2_T3_T4_T5_mmT6_P12ihipStream_tbEUlT_E_NS1_11comp_targetILNS1_3genE2ELNS1_11target_archE906ELNS1_3gpuE6ELNS1_3repE0EEENS1_30default_config_static_selectorELNS0_4arch9wavefront6targetE0EEEvS10_
	.p2align	8
	.type	_ZN7rocprim17ROCPRIM_400000_NS6detail17trampoline_kernelINS0_14default_configENS1_21merge_config_selectorINS0_5tupleIJiiEEENS0_10empty_typeEEEZNS1_10merge_implIS3_NS0_12zip_iteratorINS5_IJN6thrust23THRUST_200600_302600_NS6detail15normal_iteratorINSC_10device_ptrIKiEEEESI_EEEEESK_NSA_INS5_IJNSE_INSF_IiEEEESM_EEEEEPS7_SP_SP_NSC_11hip_rocprim7__merge17predicate_wrapperIiiNSC_7greaterIiEEEEEE10hipError_tPvRmT0_T1_T2_T3_T4_T5_mmT6_P12ihipStream_tbEUlT_E_NS1_11comp_targetILNS1_3genE2ELNS1_11target_archE906ELNS1_3gpuE6ELNS1_3repE0EEENS1_30default_config_static_selectorELNS0_4arch9wavefront6targetE0EEEvS10_,@function
_ZN7rocprim17ROCPRIM_400000_NS6detail17trampoline_kernelINS0_14default_configENS1_21merge_config_selectorINS0_5tupleIJiiEEENS0_10empty_typeEEEZNS1_10merge_implIS3_NS0_12zip_iteratorINS5_IJN6thrust23THRUST_200600_302600_NS6detail15normal_iteratorINSC_10device_ptrIKiEEEESI_EEEEESK_NSA_INS5_IJNSE_INSF_IiEEEESM_EEEEEPS7_SP_SP_NSC_11hip_rocprim7__merge17predicate_wrapperIiiNSC_7greaterIiEEEEEE10hipError_tPvRmT0_T1_T2_T3_T4_T5_mmT6_P12ihipStream_tbEUlT_E_NS1_11comp_targetILNS1_3genE2ELNS1_11target_archE906ELNS1_3gpuE6ELNS1_3repE0EEENS1_30default_config_static_selectorELNS0_4arch9wavefront6targetE0EEEvS10_: ; @_ZN7rocprim17ROCPRIM_400000_NS6detail17trampoline_kernelINS0_14default_configENS1_21merge_config_selectorINS0_5tupleIJiiEEENS0_10empty_typeEEEZNS1_10merge_implIS3_NS0_12zip_iteratorINS5_IJN6thrust23THRUST_200600_302600_NS6detail15normal_iteratorINSC_10device_ptrIKiEEEESI_EEEEESK_NSA_INS5_IJNSE_INSF_IiEEEESM_EEEEEPS7_SP_SP_NSC_11hip_rocprim7__merge17predicate_wrapperIiiNSC_7greaterIiEEEEEE10hipError_tPvRmT0_T1_T2_T3_T4_T5_mmT6_P12ihipStream_tbEUlT_E_NS1_11comp_targetILNS1_3genE2ELNS1_11target_archE906ELNS1_3gpuE6ELNS1_3repE0EEENS1_30default_config_static_selectorELNS0_4arch9wavefront6targetE0EEEvS10_
; %bb.0:
	.section	.rodata,"a",@progbits
	.p2align	6, 0x0
	.amdhsa_kernel _ZN7rocprim17ROCPRIM_400000_NS6detail17trampoline_kernelINS0_14default_configENS1_21merge_config_selectorINS0_5tupleIJiiEEENS0_10empty_typeEEEZNS1_10merge_implIS3_NS0_12zip_iteratorINS5_IJN6thrust23THRUST_200600_302600_NS6detail15normal_iteratorINSC_10device_ptrIKiEEEESI_EEEEESK_NSA_INS5_IJNSE_INSF_IiEEEESM_EEEEEPS7_SP_SP_NSC_11hip_rocprim7__merge17predicate_wrapperIiiNSC_7greaterIiEEEEEE10hipError_tPvRmT0_T1_T2_T3_T4_T5_mmT6_P12ihipStream_tbEUlT_E_NS1_11comp_targetILNS1_3genE2ELNS1_11target_archE906ELNS1_3gpuE6ELNS1_3repE0EEENS1_30default_config_static_selectorELNS0_4arch9wavefront6targetE0EEEvS10_
		.amdhsa_group_segment_fixed_size 0
		.amdhsa_private_segment_fixed_size 0
		.amdhsa_kernarg_size 64
		.amdhsa_user_sgpr_count 6
		.amdhsa_user_sgpr_private_segment_buffer 1
		.amdhsa_user_sgpr_dispatch_ptr 0
		.amdhsa_user_sgpr_queue_ptr 0
		.amdhsa_user_sgpr_kernarg_segment_ptr 1
		.amdhsa_user_sgpr_dispatch_id 0
		.amdhsa_user_sgpr_flat_scratch_init 0
		.amdhsa_user_sgpr_private_segment_size 0
		.amdhsa_wavefront_size32 1
		.amdhsa_uses_dynamic_stack 0
		.amdhsa_system_sgpr_private_segment_wavefront_offset 0
		.amdhsa_system_sgpr_workgroup_id_x 1
		.amdhsa_system_sgpr_workgroup_id_y 0
		.amdhsa_system_sgpr_workgroup_id_z 0
		.amdhsa_system_sgpr_workgroup_info 0
		.amdhsa_system_vgpr_workitem_id 0
		.amdhsa_next_free_vgpr 1
		.amdhsa_next_free_sgpr 1
		.amdhsa_reserve_vcc 0
		.amdhsa_reserve_flat_scratch 0
		.amdhsa_float_round_mode_32 0
		.amdhsa_float_round_mode_16_64 0
		.amdhsa_float_denorm_mode_32 3
		.amdhsa_float_denorm_mode_16_64 3
		.amdhsa_dx10_clamp 1
		.amdhsa_ieee_mode 1
		.amdhsa_fp16_overflow 0
		.amdhsa_workgroup_processor_mode 1
		.amdhsa_memory_ordered 1
		.amdhsa_forward_progress 1
		.amdhsa_shared_vgpr_count 0
		.amdhsa_exception_fp_ieee_invalid_op 0
		.amdhsa_exception_fp_denorm_src 0
		.amdhsa_exception_fp_ieee_div_zero 0
		.amdhsa_exception_fp_ieee_overflow 0
		.amdhsa_exception_fp_ieee_underflow 0
		.amdhsa_exception_fp_ieee_inexact 0
		.amdhsa_exception_int_div_zero 0
	.end_amdhsa_kernel
	.section	.text._ZN7rocprim17ROCPRIM_400000_NS6detail17trampoline_kernelINS0_14default_configENS1_21merge_config_selectorINS0_5tupleIJiiEEENS0_10empty_typeEEEZNS1_10merge_implIS3_NS0_12zip_iteratorINS5_IJN6thrust23THRUST_200600_302600_NS6detail15normal_iteratorINSC_10device_ptrIKiEEEESI_EEEEESK_NSA_INS5_IJNSE_INSF_IiEEEESM_EEEEEPS7_SP_SP_NSC_11hip_rocprim7__merge17predicate_wrapperIiiNSC_7greaterIiEEEEEE10hipError_tPvRmT0_T1_T2_T3_T4_T5_mmT6_P12ihipStream_tbEUlT_E_NS1_11comp_targetILNS1_3genE2ELNS1_11target_archE906ELNS1_3gpuE6ELNS1_3repE0EEENS1_30default_config_static_selectorELNS0_4arch9wavefront6targetE0EEEvS10_,"axG",@progbits,_ZN7rocprim17ROCPRIM_400000_NS6detail17trampoline_kernelINS0_14default_configENS1_21merge_config_selectorINS0_5tupleIJiiEEENS0_10empty_typeEEEZNS1_10merge_implIS3_NS0_12zip_iteratorINS5_IJN6thrust23THRUST_200600_302600_NS6detail15normal_iteratorINSC_10device_ptrIKiEEEESI_EEEEESK_NSA_INS5_IJNSE_INSF_IiEEEESM_EEEEEPS7_SP_SP_NSC_11hip_rocprim7__merge17predicate_wrapperIiiNSC_7greaterIiEEEEEE10hipError_tPvRmT0_T1_T2_T3_T4_T5_mmT6_P12ihipStream_tbEUlT_E_NS1_11comp_targetILNS1_3genE2ELNS1_11target_archE906ELNS1_3gpuE6ELNS1_3repE0EEENS1_30default_config_static_selectorELNS0_4arch9wavefront6targetE0EEEvS10_,comdat
.Lfunc_end429:
	.size	_ZN7rocprim17ROCPRIM_400000_NS6detail17trampoline_kernelINS0_14default_configENS1_21merge_config_selectorINS0_5tupleIJiiEEENS0_10empty_typeEEEZNS1_10merge_implIS3_NS0_12zip_iteratorINS5_IJN6thrust23THRUST_200600_302600_NS6detail15normal_iteratorINSC_10device_ptrIKiEEEESI_EEEEESK_NSA_INS5_IJNSE_INSF_IiEEEESM_EEEEEPS7_SP_SP_NSC_11hip_rocprim7__merge17predicate_wrapperIiiNSC_7greaterIiEEEEEE10hipError_tPvRmT0_T1_T2_T3_T4_T5_mmT6_P12ihipStream_tbEUlT_E_NS1_11comp_targetILNS1_3genE2ELNS1_11target_archE906ELNS1_3gpuE6ELNS1_3repE0EEENS1_30default_config_static_selectorELNS0_4arch9wavefront6targetE0EEEvS10_, .Lfunc_end429-_ZN7rocprim17ROCPRIM_400000_NS6detail17trampoline_kernelINS0_14default_configENS1_21merge_config_selectorINS0_5tupleIJiiEEENS0_10empty_typeEEEZNS1_10merge_implIS3_NS0_12zip_iteratorINS5_IJN6thrust23THRUST_200600_302600_NS6detail15normal_iteratorINSC_10device_ptrIKiEEEESI_EEEEESK_NSA_INS5_IJNSE_INSF_IiEEEESM_EEEEEPS7_SP_SP_NSC_11hip_rocprim7__merge17predicate_wrapperIiiNSC_7greaterIiEEEEEE10hipError_tPvRmT0_T1_T2_T3_T4_T5_mmT6_P12ihipStream_tbEUlT_E_NS1_11comp_targetILNS1_3genE2ELNS1_11target_archE906ELNS1_3gpuE6ELNS1_3repE0EEENS1_30default_config_static_selectorELNS0_4arch9wavefront6targetE0EEEvS10_
                                        ; -- End function
	.set _ZN7rocprim17ROCPRIM_400000_NS6detail17trampoline_kernelINS0_14default_configENS1_21merge_config_selectorINS0_5tupleIJiiEEENS0_10empty_typeEEEZNS1_10merge_implIS3_NS0_12zip_iteratorINS5_IJN6thrust23THRUST_200600_302600_NS6detail15normal_iteratorINSC_10device_ptrIKiEEEESI_EEEEESK_NSA_INS5_IJNSE_INSF_IiEEEESM_EEEEEPS7_SP_SP_NSC_11hip_rocprim7__merge17predicate_wrapperIiiNSC_7greaterIiEEEEEE10hipError_tPvRmT0_T1_T2_T3_T4_T5_mmT6_P12ihipStream_tbEUlT_E_NS1_11comp_targetILNS1_3genE2ELNS1_11target_archE906ELNS1_3gpuE6ELNS1_3repE0EEENS1_30default_config_static_selectorELNS0_4arch9wavefront6targetE0EEEvS10_.num_vgpr, 0
	.set _ZN7rocprim17ROCPRIM_400000_NS6detail17trampoline_kernelINS0_14default_configENS1_21merge_config_selectorINS0_5tupleIJiiEEENS0_10empty_typeEEEZNS1_10merge_implIS3_NS0_12zip_iteratorINS5_IJN6thrust23THRUST_200600_302600_NS6detail15normal_iteratorINSC_10device_ptrIKiEEEESI_EEEEESK_NSA_INS5_IJNSE_INSF_IiEEEESM_EEEEEPS7_SP_SP_NSC_11hip_rocprim7__merge17predicate_wrapperIiiNSC_7greaterIiEEEEEE10hipError_tPvRmT0_T1_T2_T3_T4_T5_mmT6_P12ihipStream_tbEUlT_E_NS1_11comp_targetILNS1_3genE2ELNS1_11target_archE906ELNS1_3gpuE6ELNS1_3repE0EEENS1_30default_config_static_selectorELNS0_4arch9wavefront6targetE0EEEvS10_.num_agpr, 0
	.set _ZN7rocprim17ROCPRIM_400000_NS6detail17trampoline_kernelINS0_14default_configENS1_21merge_config_selectorINS0_5tupleIJiiEEENS0_10empty_typeEEEZNS1_10merge_implIS3_NS0_12zip_iteratorINS5_IJN6thrust23THRUST_200600_302600_NS6detail15normal_iteratorINSC_10device_ptrIKiEEEESI_EEEEESK_NSA_INS5_IJNSE_INSF_IiEEEESM_EEEEEPS7_SP_SP_NSC_11hip_rocprim7__merge17predicate_wrapperIiiNSC_7greaterIiEEEEEE10hipError_tPvRmT0_T1_T2_T3_T4_T5_mmT6_P12ihipStream_tbEUlT_E_NS1_11comp_targetILNS1_3genE2ELNS1_11target_archE906ELNS1_3gpuE6ELNS1_3repE0EEENS1_30default_config_static_selectorELNS0_4arch9wavefront6targetE0EEEvS10_.numbered_sgpr, 0
	.set _ZN7rocprim17ROCPRIM_400000_NS6detail17trampoline_kernelINS0_14default_configENS1_21merge_config_selectorINS0_5tupleIJiiEEENS0_10empty_typeEEEZNS1_10merge_implIS3_NS0_12zip_iteratorINS5_IJN6thrust23THRUST_200600_302600_NS6detail15normal_iteratorINSC_10device_ptrIKiEEEESI_EEEEESK_NSA_INS5_IJNSE_INSF_IiEEEESM_EEEEEPS7_SP_SP_NSC_11hip_rocprim7__merge17predicate_wrapperIiiNSC_7greaterIiEEEEEE10hipError_tPvRmT0_T1_T2_T3_T4_T5_mmT6_P12ihipStream_tbEUlT_E_NS1_11comp_targetILNS1_3genE2ELNS1_11target_archE906ELNS1_3gpuE6ELNS1_3repE0EEENS1_30default_config_static_selectorELNS0_4arch9wavefront6targetE0EEEvS10_.num_named_barrier, 0
	.set _ZN7rocprim17ROCPRIM_400000_NS6detail17trampoline_kernelINS0_14default_configENS1_21merge_config_selectorINS0_5tupleIJiiEEENS0_10empty_typeEEEZNS1_10merge_implIS3_NS0_12zip_iteratorINS5_IJN6thrust23THRUST_200600_302600_NS6detail15normal_iteratorINSC_10device_ptrIKiEEEESI_EEEEESK_NSA_INS5_IJNSE_INSF_IiEEEESM_EEEEEPS7_SP_SP_NSC_11hip_rocprim7__merge17predicate_wrapperIiiNSC_7greaterIiEEEEEE10hipError_tPvRmT0_T1_T2_T3_T4_T5_mmT6_P12ihipStream_tbEUlT_E_NS1_11comp_targetILNS1_3genE2ELNS1_11target_archE906ELNS1_3gpuE6ELNS1_3repE0EEENS1_30default_config_static_selectorELNS0_4arch9wavefront6targetE0EEEvS10_.private_seg_size, 0
	.set _ZN7rocprim17ROCPRIM_400000_NS6detail17trampoline_kernelINS0_14default_configENS1_21merge_config_selectorINS0_5tupleIJiiEEENS0_10empty_typeEEEZNS1_10merge_implIS3_NS0_12zip_iteratorINS5_IJN6thrust23THRUST_200600_302600_NS6detail15normal_iteratorINSC_10device_ptrIKiEEEESI_EEEEESK_NSA_INS5_IJNSE_INSF_IiEEEESM_EEEEEPS7_SP_SP_NSC_11hip_rocprim7__merge17predicate_wrapperIiiNSC_7greaterIiEEEEEE10hipError_tPvRmT0_T1_T2_T3_T4_T5_mmT6_P12ihipStream_tbEUlT_E_NS1_11comp_targetILNS1_3genE2ELNS1_11target_archE906ELNS1_3gpuE6ELNS1_3repE0EEENS1_30default_config_static_selectorELNS0_4arch9wavefront6targetE0EEEvS10_.uses_vcc, 0
	.set _ZN7rocprim17ROCPRIM_400000_NS6detail17trampoline_kernelINS0_14default_configENS1_21merge_config_selectorINS0_5tupleIJiiEEENS0_10empty_typeEEEZNS1_10merge_implIS3_NS0_12zip_iteratorINS5_IJN6thrust23THRUST_200600_302600_NS6detail15normal_iteratorINSC_10device_ptrIKiEEEESI_EEEEESK_NSA_INS5_IJNSE_INSF_IiEEEESM_EEEEEPS7_SP_SP_NSC_11hip_rocprim7__merge17predicate_wrapperIiiNSC_7greaterIiEEEEEE10hipError_tPvRmT0_T1_T2_T3_T4_T5_mmT6_P12ihipStream_tbEUlT_E_NS1_11comp_targetILNS1_3genE2ELNS1_11target_archE906ELNS1_3gpuE6ELNS1_3repE0EEENS1_30default_config_static_selectorELNS0_4arch9wavefront6targetE0EEEvS10_.uses_flat_scratch, 0
	.set _ZN7rocprim17ROCPRIM_400000_NS6detail17trampoline_kernelINS0_14default_configENS1_21merge_config_selectorINS0_5tupleIJiiEEENS0_10empty_typeEEEZNS1_10merge_implIS3_NS0_12zip_iteratorINS5_IJN6thrust23THRUST_200600_302600_NS6detail15normal_iteratorINSC_10device_ptrIKiEEEESI_EEEEESK_NSA_INS5_IJNSE_INSF_IiEEEESM_EEEEEPS7_SP_SP_NSC_11hip_rocprim7__merge17predicate_wrapperIiiNSC_7greaterIiEEEEEE10hipError_tPvRmT0_T1_T2_T3_T4_T5_mmT6_P12ihipStream_tbEUlT_E_NS1_11comp_targetILNS1_3genE2ELNS1_11target_archE906ELNS1_3gpuE6ELNS1_3repE0EEENS1_30default_config_static_selectorELNS0_4arch9wavefront6targetE0EEEvS10_.has_dyn_sized_stack, 0
	.set _ZN7rocprim17ROCPRIM_400000_NS6detail17trampoline_kernelINS0_14default_configENS1_21merge_config_selectorINS0_5tupleIJiiEEENS0_10empty_typeEEEZNS1_10merge_implIS3_NS0_12zip_iteratorINS5_IJN6thrust23THRUST_200600_302600_NS6detail15normal_iteratorINSC_10device_ptrIKiEEEESI_EEEEESK_NSA_INS5_IJNSE_INSF_IiEEEESM_EEEEEPS7_SP_SP_NSC_11hip_rocprim7__merge17predicate_wrapperIiiNSC_7greaterIiEEEEEE10hipError_tPvRmT0_T1_T2_T3_T4_T5_mmT6_P12ihipStream_tbEUlT_E_NS1_11comp_targetILNS1_3genE2ELNS1_11target_archE906ELNS1_3gpuE6ELNS1_3repE0EEENS1_30default_config_static_selectorELNS0_4arch9wavefront6targetE0EEEvS10_.has_recursion, 0
	.set _ZN7rocprim17ROCPRIM_400000_NS6detail17trampoline_kernelINS0_14default_configENS1_21merge_config_selectorINS0_5tupleIJiiEEENS0_10empty_typeEEEZNS1_10merge_implIS3_NS0_12zip_iteratorINS5_IJN6thrust23THRUST_200600_302600_NS6detail15normal_iteratorINSC_10device_ptrIKiEEEESI_EEEEESK_NSA_INS5_IJNSE_INSF_IiEEEESM_EEEEEPS7_SP_SP_NSC_11hip_rocprim7__merge17predicate_wrapperIiiNSC_7greaterIiEEEEEE10hipError_tPvRmT0_T1_T2_T3_T4_T5_mmT6_P12ihipStream_tbEUlT_E_NS1_11comp_targetILNS1_3genE2ELNS1_11target_archE906ELNS1_3gpuE6ELNS1_3repE0EEENS1_30default_config_static_selectorELNS0_4arch9wavefront6targetE0EEEvS10_.has_indirect_call, 0
	.section	.AMDGPU.csdata,"",@progbits
; Kernel info:
; codeLenInByte = 0
; TotalNumSgprs: 0
; NumVgprs: 0
; ScratchSize: 0
; MemoryBound: 0
; FloatMode: 240
; IeeeMode: 1
; LDSByteSize: 0 bytes/workgroup (compile time only)
; SGPRBlocks: 0
; VGPRBlocks: 0
; NumSGPRsForWavesPerEU: 1
; NumVGPRsForWavesPerEU: 1
; Occupancy: 16
; WaveLimiterHint : 0
; COMPUTE_PGM_RSRC2:SCRATCH_EN: 0
; COMPUTE_PGM_RSRC2:USER_SGPR: 6
; COMPUTE_PGM_RSRC2:TRAP_HANDLER: 0
; COMPUTE_PGM_RSRC2:TGID_X_EN: 1
; COMPUTE_PGM_RSRC2:TGID_Y_EN: 0
; COMPUTE_PGM_RSRC2:TGID_Z_EN: 0
; COMPUTE_PGM_RSRC2:TIDIG_COMP_CNT: 0
	.section	.text._ZN7rocprim17ROCPRIM_400000_NS6detail17trampoline_kernelINS0_14default_configENS1_21merge_config_selectorINS0_5tupleIJiiEEENS0_10empty_typeEEEZNS1_10merge_implIS3_NS0_12zip_iteratorINS5_IJN6thrust23THRUST_200600_302600_NS6detail15normal_iteratorINSC_10device_ptrIKiEEEESI_EEEEESK_NSA_INS5_IJNSE_INSF_IiEEEESM_EEEEEPS7_SP_SP_NSC_11hip_rocprim7__merge17predicate_wrapperIiiNSC_7greaterIiEEEEEE10hipError_tPvRmT0_T1_T2_T3_T4_T5_mmT6_P12ihipStream_tbEUlT_E_NS1_11comp_targetILNS1_3genE10ELNS1_11target_archE1201ELNS1_3gpuE5ELNS1_3repE0EEENS1_30default_config_static_selectorELNS0_4arch9wavefront6targetE0EEEvS10_,"axG",@progbits,_ZN7rocprim17ROCPRIM_400000_NS6detail17trampoline_kernelINS0_14default_configENS1_21merge_config_selectorINS0_5tupleIJiiEEENS0_10empty_typeEEEZNS1_10merge_implIS3_NS0_12zip_iteratorINS5_IJN6thrust23THRUST_200600_302600_NS6detail15normal_iteratorINSC_10device_ptrIKiEEEESI_EEEEESK_NSA_INS5_IJNSE_INSF_IiEEEESM_EEEEEPS7_SP_SP_NSC_11hip_rocprim7__merge17predicate_wrapperIiiNSC_7greaterIiEEEEEE10hipError_tPvRmT0_T1_T2_T3_T4_T5_mmT6_P12ihipStream_tbEUlT_E_NS1_11comp_targetILNS1_3genE10ELNS1_11target_archE1201ELNS1_3gpuE5ELNS1_3repE0EEENS1_30default_config_static_selectorELNS0_4arch9wavefront6targetE0EEEvS10_,comdat
	.protected	_ZN7rocprim17ROCPRIM_400000_NS6detail17trampoline_kernelINS0_14default_configENS1_21merge_config_selectorINS0_5tupleIJiiEEENS0_10empty_typeEEEZNS1_10merge_implIS3_NS0_12zip_iteratorINS5_IJN6thrust23THRUST_200600_302600_NS6detail15normal_iteratorINSC_10device_ptrIKiEEEESI_EEEEESK_NSA_INS5_IJNSE_INSF_IiEEEESM_EEEEEPS7_SP_SP_NSC_11hip_rocprim7__merge17predicate_wrapperIiiNSC_7greaterIiEEEEEE10hipError_tPvRmT0_T1_T2_T3_T4_T5_mmT6_P12ihipStream_tbEUlT_E_NS1_11comp_targetILNS1_3genE10ELNS1_11target_archE1201ELNS1_3gpuE5ELNS1_3repE0EEENS1_30default_config_static_selectorELNS0_4arch9wavefront6targetE0EEEvS10_ ; -- Begin function _ZN7rocprim17ROCPRIM_400000_NS6detail17trampoline_kernelINS0_14default_configENS1_21merge_config_selectorINS0_5tupleIJiiEEENS0_10empty_typeEEEZNS1_10merge_implIS3_NS0_12zip_iteratorINS5_IJN6thrust23THRUST_200600_302600_NS6detail15normal_iteratorINSC_10device_ptrIKiEEEESI_EEEEESK_NSA_INS5_IJNSE_INSF_IiEEEESM_EEEEEPS7_SP_SP_NSC_11hip_rocprim7__merge17predicate_wrapperIiiNSC_7greaterIiEEEEEE10hipError_tPvRmT0_T1_T2_T3_T4_T5_mmT6_P12ihipStream_tbEUlT_E_NS1_11comp_targetILNS1_3genE10ELNS1_11target_archE1201ELNS1_3gpuE5ELNS1_3repE0EEENS1_30default_config_static_selectorELNS0_4arch9wavefront6targetE0EEEvS10_
	.globl	_ZN7rocprim17ROCPRIM_400000_NS6detail17trampoline_kernelINS0_14default_configENS1_21merge_config_selectorINS0_5tupleIJiiEEENS0_10empty_typeEEEZNS1_10merge_implIS3_NS0_12zip_iteratorINS5_IJN6thrust23THRUST_200600_302600_NS6detail15normal_iteratorINSC_10device_ptrIKiEEEESI_EEEEESK_NSA_INS5_IJNSE_INSF_IiEEEESM_EEEEEPS7_SP_SP_NSC_11hip_rocprim7__merge17predicate_wrapperIiiNSC_7greaterIiEEEEEE10hipError_tPvRmT0_T1_T2_T3_T4_T5_mmT6_P12ihipStream_tbEUlT_E_NS1_11comp_targetILNS1_3genE10ELNS1_11target_archE1201ELNS1_3gpuE5ELNS1_3repE0EEENS1_30default_config_static_selectorELNS0_4arch9wavefront6targetE0EEEvS10_
	.p2align	8
	.type	_ZN7rocprim17ROCPRIM_400000_NS6detail17trampoline_kernelINS0_14default_configENS1_21merge_config_selectorINS0_5tupleIJiiEEENS0_10empty_typeEEEZNS1_10merge_implIS3_NS0_12zip_iteratorINS5_IJN6thrust23THRUST_200600_302600_NS6detail15normal_iteratorINSC_10device_ptrIKiEEEESI_EEEEESK_NSA_INS5_IJNSE_INSF_IiEEEESM_EEEEEPS7_SP_SP_NSC_11hip_rocprim7__merge17predicate_wrapperIiiNSC_7greaterIiEEEEEE10hipError_tPvRmT0_T1_T2_T3_T4_T5_mmT6_P12ihipStream_tbEUlT_E_NS1_11comp_targetILNS1_3genE10ELNS1_11target_archE1201ELNS1_3gpuE5ELNS1_3repE0EEENS1_30default_config_static_selectorELNS0_4arch9wavefront6targetE0EEEvS10_,@function
_ZN7rocprim17ROCPRIM_400000_NS6detail17trampoline_kernelINS0_14default_configENS1_21merge_config_selectorINS0_5tupleIJiiEEENS0_10empty_typeEEEZNS1_10merge_implIS3_NS0_12zip_iteratorINS5_IJN6thrust23THRUST_200600_302600_NS6detail15normal_iteratorINSC_10device_ptrIKiEEEESI_EEEEESK_NSA_INS5_IJNSE_INSF_IiEEEESM_EEEEEPS7_SP_SP_NSC_11hip_rocprim7__merge17predicate_wrapperIiiNSC_7greaterIiEEEEEE10hipError_tPvRmT0_T1_T2_T3_T4_T5_mmT6_P12ihipStream_tbEUlT_E_NS1_11comp_targetILNS1_3genE10ELNS1_11target_archE1201ELNS1_3gpuE5ELNS1_3repE0EEENS1_30default_config_static_selectorELNS0_4arch9wavefront6targetE0EEEvS10_: ; @_ZN7rocprim17ROCPRIM_400000_NS6detail17trampoline_kernelINS0_14default_configENS1_21merge_config_selectorINS0_5tupleIJiiEEENS0_10empty_typeEEEZNS1_10merge_implIS3_NS0_12zip_iteratorINS5_IJN6thrust23THRUST_200600_302600_NS6detail15normal_iteratorINSC_10device_ptrIKiEEEESI_EEEEESK_NSA_INS5_IJNSE_INSF_IiEEEESM_EEEEEPS7_SP_SP_NSC_11hip_rocprim7__merge17predicate_wrapperIiiNSC_7greaterIiEEEEEE10hipError_tPvRmT0_T1_T2_T3_T4_T5_mmT6_P12ihipStream_tbEUlT_E_NS1_11comp_targetILNS1_3genE10ELNS1_11target_archE1201ELNS1_3gpuE5ELNS1_3repE0EEENS1_30default_config_static_selectorELNS0_4arch9wavefront6targetE0EEEvS10_
; %bb.0:
	.section	.rodata,"a",@progbits
	.p2align	6, 0x0
	.amdhsa_kernel _ZN7rocprim17ROCPRIM_400000_NS6detail17trampoline_kernelINS0_14default_configENS1_21merge_config_selectorINS0_5tupleIJiiEEENS0_10empty_typeEEEZNS1_10merge_implIS3_NS0_12zip_iteratorINS5_IJN6thrust23THRUST_200600_302600_NS6detail15normal_iteratorINSC_10device_ptrIKiEEEESI_EEEEESK_NSA_INS5_IJNSE_INSF_IiEEEESM_EEEEEPS7_SP_SP_NSC_11hip_rocprim7__merge17predicate_wrapperIiiNSC_7greaterIiEEEEEE10hipError_tPvRmT0_T1_T2_T3_T4_T5_mmT6_P12ihipStream_tbEUlT_E_NS1_11comp_targetILNS1_3genE10ELNS1_11target_archE1201ELNS1_3gpuE5ELNS1_3repE0EEENS1_30default_config_static_selectorELNS0_4arch9wavefront6targetE0EEEvS10_
		.amdhsa_group_segment_fixed_size 0
		.amdhsa_private_segment_fixed_size 0
		.amdhsa_kernarg_size 64
		.amdhsa_user_sgpr_count 6
		.amdhsa_user_sgpr_private_segment_buffer 1
		.amdhsa_user_sgpr_dispatch_ptr 0
		.amdhsa_user_sgpr_queue_ptr 0
		.amdhsa_user_sgpr_kernarg_segment_ptr 1
		.amdhsa_user_sgpr_dispatch_id 0
		.amdhsa_user_sgpr_flat_scratch_init 0
		.amdhsa_user_sgpr_private_segment_size 0
		.amdhsa_wavefront_size32 1
		.amdhsa_uses_dynamic_stack 0
		.amdhsa_system_sgpr_private_segment_wavefront_offset 0
		.amdhsa_system_sgpr_workgroup_id_x 1
		.amdhsa_system_sgpr_workgroup_id_y 0
		.amdhsa_system_sgpr_workgroup_id_z 0
		.amdhsa_system_sgpr_workgroup_info 0
		.amdhsa_system_vgpr_workitem_id 0
		.amdhsa_next_free_vgpr 1
		.amdhsa_next_free_sgpr 1
		.amdhsa_reserve_vcc 0
		.amdhsa_reserve_flat_scratch 0
		.amdhsa_float_round_mode_32 0
		.amdhsa_float_round_mode_16_64 0
		.amdhsa_float_denorm_mode_32 3
		.amdhsa_float_denorm_mode_16_64 3
		.amdhsa_dx10_clamp 1
		.amdhsa_ieee_mode 1
		.amdhsa_fp16_overflow 0
		.amdhsa_workgroup_processor_mode 1
		.amdhsa_memory_ordered 1
		.amdhsa_forward_progress 1
		.amdhsa_shared_vgpr_count 0
		.amdhsa_exception_fp_ieee_invalid_op 0
		.amdhsa_exception_fp_denorm_src 0
		.amdhsa_exception_fp_ieee_div_zero 0
		.amdhsa_exception_fp_ieee_overflow 0
		.amdhsa_exception_fp_ieee_underflow 0
		.amdhsa_exception_fp_ieee_inexact 0
		.amdhsa_exception_int_div_zero 0
	.end_amdhsa_kernel
	.section	.text._ZN7rocprim17ROCPRIM_400000_NS6detail17trampoline_kernelINS0_14default_configENS1_21merge_config_selectorINS0_5tupleIJiiEEENS0_10empty_typeEEEZNS1_10merge_implIS3_NS0_12zip_iteratorINS5_IJN6thrust23THRUST_200600_302600_NS6detail15normal_iteratorINSC_10device_ptrIKiEEEESI_EEEEESK_NSA_INS5_IJNSE_INSF_IiEEEESM_EEEEEPS7_SP_SP_NSC_11hip_rocprim7__merge17predicate_wrapperIiiNSC_7greaterIiEEEEEE10hipError_tPvRmT0_T1_T2_T3_T4_T5_mmT6_P12ihipStream_tbEUlT_E_NS1_11comp_targetILNS1_3genE10ELNS1_11target_archE1201ELNS1_3gpuE5ELNS1_3repE0EEENS1_30default_config_static_selectorELNS0_4arch9wavefront6targetE0EEEvS10_,"axG",@progbits,_ZN7rocprim17ROCPRIM_400000_NS6detail17trampoline_kernelINS0_14default_configENS1_21merge_config_selectorINS0_5tupleIJiiEEENS0_10empty_typeEEEZNS1_10merge_implIS3_NS0_12zip_iteratorINS5_IJN6thrust23THRUST_200600_302600_NS6detail15normal_iteratorINSC_10device_ptrIKiEEEESI_EEEEESK_NSA_INS5_IJNSE_INSF_IiEEEESM_EEEEEPS7_SP_SP_NSC_11hip_rocprim7__merge17predicate_wrapperIiiNSC_7greaterIiEEEEEE10hipError_tPvRmT0_T1_T2_T3_T4_T5_mmT6_P12ihipStream_tbEUlT_E_NS1_11comp_targetILNS1_3genE10ELNS1_11target_archE1201ELNS1_3gpuE5ELNS1_3repE0EEENS1_30default_config_static_selectorELNS0_4arch9wavefront6targetE0EEEvS10_,comdat
.Lfunc_end430:
	.size	_ZN7rocprim17ROCPRIM_400000_NS6detail17trampoline_kernelINS0_14default_configENS1_21merge_config_selectorINS0_5tupleIJiiEEENS0_10empty_typeEEEZNS1_10merge_implIS3_NS0_12zip_iteratorINS5_IJN6thrust23THRUST_200600_302600_NS6detail15normal_iteratorINSC_10device_ptrIKiEEEESI_EEEEESK_NSA_INS5_IJNSE_INSF_IiEEEESM_EEEEEPS7_SP_SP_NSC_11hip_rocprim7__merge17predicate_wrapperIiiNSC_7greaterIiEEEEEE10hipError_tPvRmT0_T1_T2_T3_T4_T5_mmT6_P12ihipStream_tbEUlT_E_NS1_11comp_targetILNS1_3genE10ELNS1_11target_archE1201ELNS1_3gpuE5ELNS1_3repE0EEENS1_30default_config_static_selectorELNS0_4arch9wavefront6targetE0EEEvS10_, .Lfunc_end430-_ZN7rocprim17ROCPRIM_400000_NS6detail17trampoline_kernelINS0_14default_configENS1_21merge_config_selectorINS0_5tupleIJiiEEENS0_10empty_typeEEEZNS1_10merge_implIS3_NS0_12zip_iteratorINS5_IJN6thrust23THRUST_200600_302600_NS6detail15normal_iteratorINSC_10device_ptrIKiEEEESI_EEEEESK_NSA_INS5_IJNSE_INSF_IiEEEESM_EEEEEPS7_SP_SP_NSC_11hip_rocprim7__merge17predicate_wrapperIiiNSC_7greaterIiEEEEEE10hipError_tPvRmT0_T1_T2_T3_T4_T5_mmT6_P12ihipStream_tbEUlT_E_NS1_11comp_targetILNS1_3genE10ELNS1_11target_archE1201ELNS1_3gpuE5ELNS1_3repE0EEENS1_30default_config_static_selectorELNS0_4arch9wavefront6targetE0EEEvS10_
                                        ; -- End function
	.set _ZN7rocprim17ROCPRIM_400000_NS6detail17trampoline_kernelINS0_14default_configENS1_21merge_config_selectorINS0_5tupleIJiiEEENS0_10empty_typeEEEZNS1_10merge_implIS3_NS0_12zip_iteratorINS5_IJN6thrust23THRUST_200600_302600_NS6detail15normal_iteratorINSC_10device_ptrIKiEEEESI_EEEEESK_NSA_INS5_IJNSE_INSF_IiEEEESM_EEEEEPS7_SP_SP_NSC_11hip_rocprim7__merge17predicate_wrapperIiiNSC_7greaterIiEEEEEE10hipError_tPvRmT0_T1_T2_T3_T4_T5_mmT6_P12ihipStream_tbEUlT_E_NS1_11comp_targetILNS1_3genE10ELNS1_11target_archE1201ELNS1_3gpuE5ELNS1_3repE0EEENS1_30default_config_static_selectorELNS0_4arch9wavefront6targetE0EEEvS10_.num_vgpr, 0
	.set _ZN7rocprim17ROCPRIM_400000_NS6detail17trampoline_kernelINS0_14default_configENS1_21merge_config_selectorINS0_5tupleIJiiEEENS0_10empty_typeEEEZNS1_10merge_implIS3_NS0_12zip_iteratorINS5_IJN6thrust23THRUST_200600_302600_NS6detail15normal_iteratorINSC_10device_ptrIKiEEEESI_EEEEESK_NSA_INS5_IJNSE_INSF_IiEEEESM_EEEEEPS7_SP_SP_NSC_11hip_rocprim7__merge17predicate_wrapperIiiNSC_7greaterIiEEEEEE10hipError_tPvRmT0_T1_T2_T3_T4_T5_mmT6_P12ihipStream_tbEUlT_E_NS1_11comp_targetILNS1_3genE10ELNS1_11target_archE1201ELNS1_3gpuE5ELNS1_3repE0EEENS1_30default_config_static_selectorELNS0_4arch9wavefront6targetE0EEEvS10_.num_agpr, 0
	.set _ZN7rocprim17ROCPRIM_400000_NS6detail17trampoline_kernelINS0_14default_configENS1_21merge_config_selectorINS0_5tupleIJiiEEENS0_10empty_typeEEEZNS1_10merge_implIS3_NS0_12zip_iteratorINS5_IJN6thrust23THRUST_200600_302600_NS6detail15normal_iteratorINSC_10device_ptrIKiEEEESI_EEEEESK_NSA_INS5_IJNSE_INSF_IiEEEESM_EEEEEPS7_SP_SP_NSC_11hip_rocprim7__merge17predicate_wrapperIiiNSC_7greaterIiEEEEEE10hipError_tPvRmT0_T1_T2_T3_T4_T5_mmT6_P12ihipStream_tbEUlT_E_NS1_11comp_targetILNS1_3genE10ELNS1_11target_archE1201ELNS1_3gpuE5ELNS1_3repE0EEENS1_30default_config_static_selectorELNS0_4arch9wavefront6targetE0EEEvS10_.numbered_sgpr, 0
	.set _ZN7rocprim17ROCPRIM_400000_NS6detail17trampoline_kernelINS0_14default_configENS1_21merge_config_selectorINS0_5tupleIJiiEEENS0_10empty_typeEEEZNS1_10merge_implIS3_NS0_12zip_iteratorINS5_IJN6thrust23THRUST_200600_302600_NS6detail15normal_iteratorINSC_10device_ptrIKiEEEESI_EEEEESK_NSA_INS5_IJNSE_INSF_IiEEEESM_EEEEEPS7_SP_SP_NSC_11hip_rocprim7__merge17predicate_wrapperIiiNSC_7greaterIiEEEEEE10hipError_tPvRmT0_T1_T2_T3_T4_T5_mmT6_P12ihipStream_tbEUlT_E_NS1_11comp_targetILNS1_3genE10ELNS1_11target_archE1201ELNS1_3gpuE5ELNS1_3repE0EEENS1_30default_config_static_selectorELNS0_4arch9wavefront6targetE0EEEvS10_.num_named_barrier, 0
	.set _ZN7rocprim17ROCPRIM_400000_NS6detail17trampoline_kernelINS0_14default_configENS1_21merge_config_selectorINS0_5tupleIJiiEEENS0_10empty_typeEEEZNS1_10merge_implIS3_NS0_12zip_iteratorINS5_IJN6thrust23THRUST_200600_302600_NS6detail15normal_iteratorINSC_10device_ptrIKiEEEESI_EEEEESK_NSA_INS5_IJNSE_INSF_IiEEEESM_EEEEEPS7_SP_SP_NSC_11hip_rocprim7__merge17predicate_wrapperIiiNSC_7greaterIiEEEEEE10hipError_tPvRmT0_T1_T2_T3_T4_T5_mmT6_P12ihipStream_tbEUlT_E_NS1_11comp_targetILNS1_3genE10ELNS1_11target_archE1201ELNS1_3gpuE5ELNS1_3repE0EEENS1_30default_config_static_selectorELNS0_4arch9wavefront6targetE0EEEvS10_.private_seg_size, 0
	.set _ZN7rocprim17ROCPRIM_400000_NS6detail17trampoline_kernelINS0_14default_configENS1_21merge_config_selectorINS0_5tupleIJiiEEENS0_10empty_typeEEEZNS1_10merge_implIS3_NS0_12zip_iteratorINS5_IJN6thrust23THRUST_200600_302600_NS6detail15normal_iteratorINSC_10device_ptrIKiEEEESI_EEEEESK_NSA_INS5_IJNSE_INSF_IiEEEESM_EEEEEPS7_SP_SP_NSC_11hip_rocprim7__merge17predicate_wrapperIiiNSC_7greaterIiEEEEEE10hipError_tPvRmT0_T1_T2_T3_T4_T5_mmT6_P12ihipStream_tbEUlT_E_NS1_11comp_targetILNS1_3genE10ELNS1_11target_archE1201ELNS1_3gpuE5ELNS1_3repE0EEENS1_30default_config_static_selectorELNS0_4arch9wavefront6targetE0EEEvS10_.uses_vcc, 0
	.set _ZN7rocprim17ROCPRIM_400000_NS6detail17trampoline_kernelINS0_14default_configENS1_21merge_config_selectorINS0_5tupleIJiiEEENS0_10empty_typeEEEZNS1_10merge_implIS3_NS0_12zip_iteratorINS5_IJN6thrust23THRUST_200600_302600_NS6detail15normal_iteratorINSC_10device_ptrIKiEEEESI_EEEEESK_NSA_INS5_IJNSE_INSF_IiEEEESM_EEEEEPS7_SP_SP_NSC_11hip_rocprim7__merge17predicate_wrapperIiiNSC_7greaterIiEEEEEE10hipError_tPvRmT0_T1_T2_T3_T4_T5_mmT6_P12ihipStream_tbEUlT_E_NS1_11comp_targetILNS1_3genE10ELNS1_11target_archE1201ELNS1_3gpuE5ELNS1_3repE0EEENS1_30default_config_static_selectorELNS0_4arch9wavefront6targetE0EEEvS10_.uses_flat_scratch, 0
	.set _ZN7rocprim17ROCPRIM_400000_NS6detail17trampoline_kernelINS0_14default_configENS1_21merge_config_selectorINS0_5tupleIJiiEEENS0_10empty_typeEEEZNS1_10merge_implIS3_NS0_12zip_iteratorINS5_IJN6thrust23THRUST_200600_302600_NS6detail15normal_iteratorINSC_10device_ptrIKiEEEESI_EEEEESK_NSA_INS5_IJNSE_INSF_IiEEEESM_EEEEEPS7_SP_SP_NSC_11hip_rocprim7__merge17predicate_wrapperIiiNSC_7greaterIiEEEEEE10hipError_tPvRmT0_T1_T2_T3_T4_T5_mmT6_P12ihipStream_tbEUlT_E_NS1_11comp_targetILNS1_3genE10ELNS1_11target_archE1201ELNS1_3gpuE5ELNS1_3repE0EEENS1_30default_config_static_selectorELNS0_4arch9wavefront6targetE0EEEvS10_.has_dyn_sized_stack, 0
	.set _ZN7rocprim17ROCPRIM_400000_NS6detail17trampoline_kernelINS0_14default_configENS1_21merge_config_selectorINS0_5tupleIJiiEEENS0_10empty_typeEEEZNS1_10merge_implIS3_NS0_12zip_iteratorINS5_IJN6thrust23THRUST_200600_302600_NS6detail15normal_iteratorINSC_10device_ptrIKiEEEESI_EEEEESK_NSA_INS5_IJNSE_INSF_IiEEEESM_EEEEEPS7_SP_SP_NSC_11hip_rocprim7__merge17predicate_wrapperIiiNSC_7greaterIiEEEEEE10hipError_tPvRmT0_T1_T2_T3_T4_T5_mmT6_P12ihipStream_tbEUlT_E_NS1_11comp_targetILNS1_3genE10ELNS1_11target_archE1201ELNS1_3gpuE5ELNS1_3repE0EEENS1_30default_config_static_selectorELNS0_4arch9wavefront6targetE0EEEvS10_.has_recursion, 0
	.set _ZN7rocprim17ROCPRIM_400000_NS6detail17trampoline_kernelINS0_14default_configENS1_21merge_config_selectorINS0_5tupleIJiiEEENS0_10empty_typeEEEZNS1_10merge_implIS3_NS0_12zip_iteratorINS5_IJN6thrust23THRUST_200600_302600_NS6detail15normal_iteratorINSC_10device_ptrIKiEEEESI_EEEEESK_NSA_INS5_IJNSE_INSF_IiEEEESM_EEEEEPS7_SP_SP_NSC_11hip_rocprim7__merge17predicate_wrapperIiiNSC_7greaterIiEEEEEE10hipError_tPvRmT0_T1_T2_T3_T4_T5_mmT6_P12ihipStream_tbEUlT_E_NS1_11comp_targetILNS1_3genE10ELNS1_11target_archE1201ELNS1_3gpuE5ELNS1_3repE0EEENS1_30default_config_static_selectorELNS0_4arch9wavefront6targetE0EEEvS10_.has_indirect_call, 0
	.section	.AMDGPU.csdata,"",@progbits
; Kernel info:
; codeLenInByte = 0
; TotalNumSgprs: 0
; NumVgprs: 0
; ScratchSize: 0
; MemoryBound: 0
; FloatMode: 240
; IeeeMode: 1
; LDSByteSize: 0 bytes/workgroup (compile time only)
; SGPRBlocks: 0
; VGPRBlocks: 0
; NumSGPRsForWavesPerEU: 1
; NumVGPRsForWavesPerEU: 1
; Occupancy: 16
; WaveLimiterHint : 0
; COMPUTE_PGM_RSRC2:SCRATCH_EN: 0
; COMPUTE_PGM_RSRC2:USER_SGPR: 6
; COMPUTE_PGM_RSRC2:TRAP_HANDLER: 0
; COMPUTE_PGM_RSRC2:TGID_X_EN: 1
; COMPUTE_PGM_RSRC2:TGID_Y_EN: 0
; COMPUTE_PGM_RSRC2:TGID_Z_EN: 0
; COMPUTE_PGM_RSRC2:TIDIG_COMP_CNT: 0
	.section	.text._ZN7rocprim17ROCPRIM_400000_NS6detail17trampoline_kernelINS0_14default_configENS1_21merge_config_selectorINS0_5tupleIJiiEEENS0_10empty_typeEEEZNS1_10merge_implIS3_NS0_12zip_iteratorINS5_IJN6thrust23THRUST_200600_302600_NS6detail15normal_iteratorINSC_10device_ptrIKiEEEESI_EEEEESK_NSA_INS5_IJNSE_INSF_IiEEEESM_EEEEEPS7_SP_SP_NSC_11hip_rocprim7__merge17predicate_wrapperIiiNSC_7greaterIiEEEEEE10hipError_tPvRmT0_T1_T2_T3_T4_T5_mmT6_P12ihipStream_tbEUlT_E_NS1_11comp_targetILNS1_3genE10ELNS1_11target_archE1200ELNS1_3gpuE4ELNS1_3repE0EEENS1_30default_config_static_selectorELNS0_4arch9wavefront6targetE0EEEvS10_,"axG",@progbits,_ZN7rocprim17ROCPRIM_400000_NS6detail17trampoline_kernelINS0_14default_configENS1_21merge_config_selectorINS0_5tupleIJiiEEENS0_10empty_typeEEEZNS1_10merge_implIS3_NS0_12zip_iteratorINS5_IJN6thrust23THRUST_200600_302600_NS6detail15normal_iteratorINSC_10device_ptrIKiEEEESI_EEEEESK_NSA_INS5_IJNSE_INSF_IiEEEESM_EEEEEPS7_SP_SP_NSC_11hip_rocprim7__merge17predicate_wrapperIiiNSC_7greaterIiEEEEEE10hipError_tPvRmT0_T1_T2_T3_T4_T5_mmT6_P12ihipStream_tbEUlT_E_NS1_11comp_targetILNS1_3genE10ELNS1_11target_archE1200ELNS1_3gpuE4ELNS1_3repE0EEENS1_30default_config_static_selectorELNS0_4arch9wavefront6targetE0EEEvS10_,comdat
	.protected	_ZN7rocprim17ROCPRIM_400000_NS6detail17trampoline_kernelINS0_14default_configENS1_21merge_config_selectorINS0_5tupleIJiiEEENS0_10empty_typeEEEZNS1_10merge_implIS3_NS0_12zip_iteratorINS5_IJN6thrust23THRUST_200600_302600_NS6detail15normal_iteratorINSC_10device_ptrIKiEEEESI_EEEEESK_NSA_INS5_IJNSE_INSF_IiEEEESM_EEEEEPS7_SP_SP_NSC_11hip_rocprim7__merge17predicate_wrapperIiiNSC_7greaterIiEEEEEE10hipError_tPvRmT0_T1_T2_T3_T4_T5_mmT6_P12ihipStream_tbEUlT_E_NS1_11comp_targetILNS1_3genE10ELNS1_11target_archE1200ELNS1_3gpuE4ELNS1_3repE0EEENS1_30default_config_static_selectorELNS0_4arch9wavefront6targetE0EEEvS10_ ; -- Begin function _ZN7rocprim17ROCPRIM_400000_NS6detail17trampoline_kernelINS0_14default_configENS1_21merge_config_selectorINS0_5tupleIJiiEEENS0_10empty_typeEEEZNS1_10merge_implIS3_NS0_12zip_iteratorINS5_IJN6thrust23THRUST_200600_302600_NS6detail15normal_iteratorINSC_10device_ptrIKiEEEESI_EEEEESK_NSA_INS5_IJNSE_INSF_IiEEEESM_EEEEEPS7_SP_SP_NSC_11hip_rocprim7__merge17predicate_wrapperIiiNSC_7greaterIiEEEEEE10hipError_tPvRmT0_T1_T2_T3_T4_T5_mmT6_P12ihipStream_tbEUlT_E_NS1_11comp_targetILNS1_3genE10ELNS1_11target_archE1200ELNS1_3gpuE4ELNS1_3repE0EEENS1_30default_config_static_selectorELNS0_4arch9wavefront6targetE0EEEvS10_
	.globl	_ZN7rocprim17ROCPRIM_400000_NS6detail17trampoline_kernelINS0_14default_configENS1_21merge_config_selectorINS0_5tupleIJiiEEENS0_10empty_typeEEEZNS1_10merge_implIS3_NS0_12zip_iteratorINS5_IJN6thrust23THRUST_200600_302600_NS6detail15normal_iteratorINSC_10device_ptrIKiEEEESI_EEEEESK_NSA_INS5_IJNSE_INSF_IiEEEESM_EEEEEPS7_SP_SP_NSC_11hip_rocprim7__merge17predicate_wrapperIiiNSC_7greaterIiEEEEEE10hipError_tPvRmT0_T1_T2_T3_T4_T5_mmT6_P12ihipStream_tbEUlT_E_NS1_11comp_targetILNS1_3genE10ELNS1_11target_archE1200ELNS1_3gpuE4ELNS1_3repE0EEENS1_30default_config_static_selectorELNS0_4arch9wavefront6targetE0EEEvS10_
	.p2align	8
	.type	_ZN7rocprim17ROCPRIM_400000_NS6detail17trampoline_kernelINS0_14default_configENS1_21merge_config_selectorINS0_5tupleIJiiEEENS0_10empty_typeEEEZNS1_10merge_implIS3_NS0_12zip_iteratorINS5_IJN6thrust23THRUST_200600_302600_NS6detail15normal_iteratorINSC_10device_ptrIKiEEEESI_EEEEESK_NSA_INS5_IJNSE_INSF_IiEEEESM_EEEEEPS7_SP_SP_NSC_11hip_rocprim7__merge17predicate_wrapperIiiNSC_7greaterIiEEEEEE10hipError_tPvRmT0_T1_T2_T3_T4_T5_mmT6_P12ihipStream_tbEUlT_E_NS1_11comp_targetILNS1_3genE10ELNS1_11target_archE1200ELNS1_3gpuE4ELNS1_3repE0EEENS1_30default_config_static_selectorELNS0_4arch9wavefront6targetE0EEEvS10_,@function
_ZN7rocprim17ROCPRIM_400000_NS6detail17trampoline_kernelINS0_14default_configENS1_21merge_config_selectorINS0_5tupleIJiiEEENS0_10empty_typeEEEZNS1_10merge_implIS3_NS0_12zip_iteratorINS5_IJN6thrust23THRUST_200600_302600_NS6detail15normal_iteratorINSC_10device_ptrIKiEEEESI_EEEEESK_NSA_INS5_IJNSE_INSF_IiEEEESM_EEEEEPS7_SP_SP_NSC_11hip_rocprim7__merge17predicate_wrapperIiiNSC_7greaterIiEEEEEE10hipError_tPvRmT0_T1_T2_T3_T4_T5_mmT6_P12ihipStream_tbEUlT_E_NS1_11comp_targetILNS1_3genE10ELNS1_11target_archE1200ELNS1_3gpuE4ELNS1_3repE0EEENS1_30default_config_static_selectorELNS0_4arch9wavefront6targetE0EEEvS10_: ; @_ZN7rocprim17ROCPRIM_400000_NS6detail17trampoline_kernelINS0_14default_configENS1_21merge_config_selectorINS0_5tupleIJiiEEENS0_10empty_typeEEEZNS1_10merge_implIS3_NS0_12zip_iteratorINS5_IJN6thrust23THRUST_200600_302600_NS6detail15normal_iteratorINSC_10device_ptrIKiEEEESI_EEEEESK_NSA_INS5_IJNSE_INSF_IiEEEESM_EEEEEPS7_SP_SP_NSC_11hip_rocprim7__merge17predicate_wrapperIiiNSC_7greaterIiEEEEEE10hipError_tPvRmT0_T1_T2_T3_T4_T5_mmT6_P12ihipStream_tbEUlT_E_NS1_11comp_targetILNS1_3genE10ELNS1_11target_archE1200ELNS1_3gpuE4ELNS1_3repE0EEENS1_30default_config_static_selectorELNS0_4arch9wavefront6targetE0EEEvS10_
; %bb.0:
	.section	.rodata,"a",@progbits
	.p2align	6, 0x0
	.amdhsa_kernel _ZN7rocprim17ROCPRIM_400000_NS6detail17trampoline_kernelINS0_14default_configENS1_21merge_config_selectorINS0_5tupleIJiiEEENS0_10empty_typeEEEZNS1_10merge_implIS3_NS0_12zip_iteratorINS5_IJN6thrust23THRUST_200600_302600_NS6detail15normal_iteratorINSC_10device_ptrIKiEEEESI_EEEEESK_NSA_INS5_IJNSE_INSF_IiEEEESM_EEEEEPS7_SP_SP_NSC_11hip_rocprim7__merge17predicate_wrapperIiiNSC_7greaterIiEEEEEE10hipError_tPvRmT0_T1_T2_T3_T4_T5_mmT6_P12ihipStream_tbEUlT_E_NS1_11comp_targetILNS1_3genE10ELNS1_11target_archE1200ELNS1_3gpuE4ELNS1_3repE0EEENS1_30default_config_static_selectorELNS0_4arch9wavefront6targetE0EEEvS10_
		.amdhsa_group_segment_fixed_size 0
		.amdhsa_private_segment_fixed_size 0
		.amdhsa_kernarg_size 64
		.amdhsa_user_sgpr_count 6
		.amdhsa_user_sgpr_private_segment_buffer 1
		.amdhsa_user_sgpr_dispatch_ptr 0
		.amdhsa_user_sgpr_queue_ptr 0
		.amdhsa_user_sgpr_kernarg_segment_ptr 1
		.amdhsa_user_sgpr_dispatch_id 0
		.amdhsa_user_sgpr_flat_scratch_init 0
		.amdhsa_user_sgpr_private_segment_size 0
		.amdhsa_wavefront_size32 1
		.amdhsa_uses_dynamic_stack 0
		.amdhsa_system_sgpr_private_segment_wavefront_offset 0
		.amdhsa_system_sgpr_workgroup_id_x 1
		.amdhsa_system_sgpr_workgroup_id_y 0
		.amdhsa_system_sgpr_workgroup_id_z 0
		.amdhsa_system_sgpr_workgroup_info 0
		.amdhsa_system_vgpr_workitem_id 0
		.amdhsa_next_free_vgpr 1
		.amdhsa_next_free_sgpr 1
		.amdhsa_reserve_vcc 0
		.amdhsa_reserve_flat_scratch 0
		.amdhsa_float_round_mode_32 0
		.amdhsa_float_round_mode_16_64 0
		.amdhsa_float_denorm_mode_32 3
		.amdhsa_float_denorm_mode_16_64 3
		.amdhsa_dx10_clamp 1
		.amdhsa_ieee_mode 1
		.amdhsa_fp16_overflow 0
		.amdhsa_workgroup_processor_mode 1
		.amdhsa_memory_ordered 1
		.amdhsa_forward_progress 1
		.amdhsa_shared_vgpr_count 0
		.amdhsa_exception_fp_ieee_invalid_op 0
		.amdhsa_exception_fp_denorm_src 0
		.amdhsa_exception_fp_ieee_div_zero 0
		.amdhsa_exception_fp_ieee_overflow 0
		.amdhsa_exception_fp_ieee_underflow 0
		.amdhsa_exception_fp_ieee_inexact 0
		.amdhsa_exception_int_div_zero 0
	.end_amdhsa_kernel
	.section	.text._ZN7rocprim17ROCPRIM_400000_NS6detail17trampoline_kernelINS0_14default_configENS1_21merge_config_selectorINS0_5tupleIJiiEEENS0_10empty_typeEEEZNS1_10merge_implIS3_NS0_12zip_iteratorINS5_IJN6thrust23THRUST_200600_302600_NS6detail15normal_iteratorINSC_10device_ptrIKiEEEESI_EEEEESK_NSA_INS5_IJNSE_INSF_IiEEEESM_EEEEEPS7_SP_SP_NSC_11hip_rocprim7__merge17predicate_wrapperIiiNSC_7greaterIiEEEEEE10hipError_tPvRmT0_T1_T2_T3_T4_T5_mmT6_P12ihipStream_tbEUlT_E_NS1_11comp_targetILNS1_3genE10ELNS1_11target_archE1200ELNS1_3gpuE4ELNS1_3repE0EEENS1_30default_config_static_selectorELNS0_4arch9wavefront6targetE0EEEvS10_,"axG",@progbits,_ZN7rocprim17ROCPRIM_400000_NS6detail17trampoline_kernelINS0_14default_configENS1_21merge_config_selectorINS0_5tupleIJiiEEENS0_10empty_typeEEEZNS1_10merge_implIS3_NS0_12zip_iteratorINS5_IJN6thrust23THRUST_200600_302600_NS6detail15normal_iteratorINSC_10device_ptrIKiEEEESI_EEEEESK_NSA_INS5_IJNSE_INSF_IiEEEESM_EEEEEPS7_SP_SP_NSC_11hip_rocprim7__merge17predicate_wrapperIiiNSC_7greaterIiEEEEEE10hipError_tPvRmT0_T1_T2_T3_T4_T5_mmT6_P12ihipStream_tbEUlT_E_NS1_11comp_targetILNS1_3genE10ELNS1_11target_archE1200ELNS1_3gpuE4ELNS1_3repE0EEENS1_30default_config_static_selectorELNS0_4arch9wavefront6targetE0EEEvS10_,comdat
.Lfunc_end431:
	.size	_ZN7rocprim17ROCPRIM_400000_NS6detail17trampoline_kernelINS0_14default_configENS1_21merge_config_selectorINS0_5tupleIJiiEEENS0_10empty_typeEEEZNS1_10merge_implIS3_NS0_12zip_iteratorINS5_IJN6thrust23THRUST_200600_302600_NS6detail15normal_iteratorINSC_10device_ptrIKiEEEESI_EEEEESK_NSA_INS5_IJNSE_INSF_IiEEEESM_EEEEEPS7_SP_SP_NSC_11hip_rocprim7__merge17predicate_wrapperIiiNSC_7greaterIiEEEEEE10hipError_tPvRmT0_T1_T2_T3_T4_T5_mmT6_P12ihipStream_tbEUlT_E_NS1_11comp_targetILNS1_3genE10ELNS1_11target_archE1200ELNS1_3gpuE4ELNS1_3repE0EEENS1_30default_config_static_selectorELNS0_4arch9wavefront6targetE0EEEvS10_, .Lfunc_end431-_ZN7rocprim17ROCPRIM_400000_NS6detail17trampoline_kernelINS0_14default_configENS1_21merge_config_selectorINS0_5tupleIJiiEEENS0_10empty_typeEEEZNS1_10merge_implIS3_NS0_12zip_iteratorINS5_IJN6thrust23THRUST_200600_302600_NS6detail15normal_iteratorINSC_10device_ptrIKiEEEESI_EEEEESK_NSA_INS5_IJNSE_INSF_IiEEEESM_EEEEEPS7_SP_SP_NSC_11hip_rocprim7__merge17predicate_wrapperIiiNSC_7greaterIiEEEEEE10hipError_tPvRmT0_T1_T2_T3_T4_T5_mmT6_P12ihipStream_tbEUlT_E_NS1_11comp_targetILNS1_3genE10ELNS1_11target_archE1200ELNS1_3gpuE4ELNS1_3repE0EEENS1_30default_config_static_selectorELNS0_4arch9wavefront6targetE0EEEvS10_
                                        ; -- End function
	.set _ZN7rocprim17ROCPRIM_400000_NS6detail17trampoline_kernelINS0_14default_configENS1_21merge_config_selectorINS0_5tupleIJiiEEENS0_10empty_typeEEEZNS1_10merge_implIS3_NS0_12zip_iteratorINS5_IJN6thrust23THRUST_200600_302600_NS6detail15normal_iteratorINSC_10device_ptrIKiEEEESI_EEEEESK_NSA_INS5_IJNSE_INSF_IiEEEESM_EEEEEPS7_SP_SP_NSC_11hip_rocprim7__merge17predicate_wrapperIiiNSC_7greaterIiEEEEEE10hipError_tPvRmT0_T1_T2_T3_T4_T5_mmT6_P12ihipStream_tbEUlT_E_NS1_11comp_targetILNS1_3genE10ELNS1_11target_archE1200ELNS1_3gpuE4ELNS1_3repE0EEENS1_30default_config_static_selectorELNS0_4arch9wavefront6targetE0EEEvS10_.num_vgpr, 0
	.set _ZN7rocprim17ROCPRIM_400000_NS6detail17trampoline_kernelINS0_14default_configENS1_21merge_config_selectorINS0_5tupleIJiiEEENS0_10empty_typeEEEZNS1_10merge_implIS3_NS0_12zip_iteratorINS5_IJN6thrust23THRUST_200600_302600_NS6detail15normal_iteratorINSC_10device_ptrIKiEEEESI_EEEEESK_NSA_INS5_IJNSE_INSF_IiEEEESM_EEEEEPS7_SP_SP_NSC_11hip_rocprim7__merge17predicate_wrapperIiiNSC_7greaterIiEEEEEE10hipError_tPvRmT0_T1_T2_T3_T4_T5_mmT6_P12ihipStream_tbEUlT_E_NS1_11comp_targetILNS1_3genE10ELNS1_11target_archE1200ELNS1_3gpuE4ELNS1_3repE0EEENS1_30default_config_static_selectorELNS0_4arch9wavefront6targetE0EEEvS10_.num_agpr, 0
	.set _ZN7rocprim17ROCPRIM_400000_NS6detail17trampoline_kernelINS0_14default_configENS1_21merge_config_selectorINS0_5tupleIJiiEEENS0_10empty_typeEEEZNS1_10merge_implIS3_NS0_12zip_iteratorINS5_IJN6thrust23THRUST_200600_302600_NS6detail15normal_iteratorINSC_10device_ptrIKiEEEESI_EEEEESK_NSA_INS5_IJNSE_INSF_IiEEEESM_EEEEEPS7_SP_SP_NSC_11hip_rocprim7__merge17predicate_wrapperIiiNSC_7greaterIiEEEEEE10hipError_tPvRmT0_T1_T2_T3_T4_T5_mmT6_P12ihipStream_tbEUlT_E_NS1_11comp_targetILNS1_3genE10ELNS1_11target_archE1200ELNS1_3gpuE4ELNS1_3repE0EEENS1_30default_config_static_selectorELNS0_4arch9wavefront6targetE0EEEvS10_.numbered_sgpr, 0
	.set _ZN7rocprim17ROCPRIM_400000_NS6detail17trampoline_kernelINS0_14default_configENS1_21merge_config_selectorINS0_5tupleIJiiEEENS0_10empty_typeEEEZNS1_10merge_implIS3_NS0_12zip_iteratorINS5_IJN6thrust23THRUST_200600_302600_NS6detail15normal_iteratorINSC_10device_ptrIKiEEEESI_EEEEESK_NSA_INS5_IJNSE_INSF_IiEEEESM_EEEEEPS7_SP_SP_NSC_11hip_rocprim7__merge17predicate_wrapperIiiNSC_7greaterIiEEEEEE10hipError_tPvRmT0_T1_T2_T3_T4_T5_mmT6_P12ihipStream_tbEUlT_E_NS1_11comp_targetILNS1_3genE10ELNS1_11target_archE1200ELNS1_3gpuE4ELNS1_3repE0EEENS1_30default_config_static_selectorELNS0_4arch9wavefront6targetE0EEEvS10_.num_named_barrier, 0
	.set _ZN7rocprim17ROCPRIM_400000_NS6detail17trampoline_kernelINS0_14default_configENS1_21merge_config_selectorINS0_5tupleIJiiEEENS0_10empty_typeEEEZNS1_10merge_implIS3_NS0_12zip_iteratorINS5_IJN6thrust23THRUST_200600_302600_NS6detail15normal_iteratorINSC_10device_ptrIKiEEEESI_EEEEESK_NSA_INS5_IJNSE_INSF_IiEEEESM_EEEEEPS7_SP_SP_NSC_11hip_rocprim7__merge17predicate_wrapperIiiNSC_7greaterIiEEEEEE10hipError_tPvRmT0_T1_T2_T3_T4_T5_mmT6_P12ihipStream_tbEUlT_E_NS1_11comp_targetILNS1_3genE10ELNS1_11target_archE1200ELNS1_3gpuE4ELNS1_3repE0EEENS1_30default_config_static_selectorELNS0_4arch9wavefront6targetE0EEEvS10_.private_seg_size, 0
	.set _ZN7rocprim17ROCPRIM_400000_NS6detail17trampoline_kernelINS0_14default_configENS1_21merge_config_selectorINS0_5tupleIJiiEEENS0_10empty_typeEEEZNS1_10merge_implIS3_NS0_12zip_iteratorINS5_IJN6thrust23THRUST_200600_302600_NS6detail15normal_iteratorINSC_10device_ptrIKiEEEESI_EEEEESK_NSA_INS5_IJNSE_INSF_IiEEEESM_EEEEEPS7_SP_SP_NSC_11hip_rocprim7__merge17predicate_wrapperIiiNSC_7greaterIiEEEEEE10hipError_tPvRmT0_T1_T2_T3_T4_T5_mmT6_P12ihipStream_tbEUlT_E_NS1_11comp_targetILNS1_3genE10ELNS1_11target_archE1200ELNS1_3gpuE4ELNS1_3repE0EEENS1_30default_config_static_selectorELNS0_4arch9wavefront6targetE0EEEvS10_.uses_vcc, 0
	.set _ZN7rocprim17ROCPRIM_400000_NS6detail17trampoline_kernelINS0_14default_configENS1_21merge_config_selectorINS0_5tupleIJiiEEENS0_10empty_typeEEEZNS1_10merge_implIS3_NS0_12zip_iteratorINS5_IJN6thrust23THRUST_200600_302600_NS6detail15normal_iteratorINSC_10device_ptrIKiEEEESI_EEEEESK_NSA_INS5_IJNSE_INSF_IiEEEESM_EEEEEPS7_SP_SP_NSC_11hip_rocprim7__merge17predicate_wrapperIiiNSC_7greaterIiEEEEEE10hipError_tPvRmT0_T1_T2_T3_T4_T5_mmT6_P12ihipStream_tbEUlT_E_NS1_11comp_targetILNS1_3genE10ELNS1_11target_archE1200ELNS1_3gpuE4ELNS1_3repE0EEENS1_30default_config_static_selectorELNS0_4arch9wavefront6targetE0EEEvS10_.uses_flat_scratch, 0
	.set _ZN7rocprim17ROCPRIM_400000_NS6detail17trampoline_kernelINS0_14default_configENS1_21merge_config_selectorINS0_5tupleIJiiEEENS0_10empty_typeEEEZNS1_10merge_implIS3_NS0_12zip_iteratorINS5_IJN6thrust23THRUST_200600_302600_NS6detail15normal_iteratorINSC_10device_ptrIKiEEEESI_EEEEESK_NSA_INS5_IJNSE_INSF_IiEEEESM_EEEEEPS7_SP_SP_NSC_11hip_rocprim7__merge17predicate_wrapperIiiNSC_7greaterIiEEEEEE10hipError_tPvRmT0_T1_T2_T3_T4_T5_mmT6_P12ihipStream_tbEUlT_E_NS1_11comp_targetILNS1_3genE10ELNS1_11target_archE1200ELNS1_3gpuE4ELNS1_3repE0EEENS1_30default_config_static_selectorELNS0_4arch9wavefront6targetE0EEEvS10_.has_dyn_sized_stack, 0
	.set _ZN7rocprim17ROCPRIM_400000_NS6detail17trampoline_kernelINS0_14default_configENS1_21merge_config_selectorINS0_5tupleIJiiEEENS0_10empty_typeEEEZNS1_10merge_implIS3_NS0_12zip_iteratorINS5_IJN6thrust23THRUST_200600_302600_NS6detail15normal_iteratorINSC_10device_ptrIKiEEEESI_EEEEESK_NSA_INS5_IJNSE_INSF_IiEEEESM_EEEEEPS7_SP_SP_NSC_11hip_rocprim7__merge17predicate_wrapperIiiNSC_7greaterIiEEEEEE10hipError_tPvRmT0_T1_T2_T3_T4_T5_mmT6_P12ihipStream_tbEUlT_E_NS1_11comp_targetILNS1_3genE10ELNS1_11target_archE1200ELNS1_3gpuE4ELNS1_3repE0EEENS1_30default_config_static_selectorELNS0_4arch9wavefront6targetE0EEEvS10_.has_recursion, 0
	.set _ZN7rocprim17ROCPRIM_400000_NS6detail17trampoline_kernelINS0_14default_configENS1_21merge_config_selectorINS0_5tupleIJiiEEENS0_10empty_typeEEEZNS1_10merge_implIS3_NS0_12zip_iteratorINS5_IJN6thrust23THRUST_200600_302600_NS6detail15normal_iteratorINSC_10device_ptrIKiEEEESI_EEEEESK_NSA_INS5_IJNSE_INSF_IiEEEESM_EEEEEPS7_SP_SP_NSC_11hip_rocprim7__merge17predicate_wrapperIiiNSC_7greaterIiEEEEEE10hipError_tPvRmT0_T1_T2_T3_T4_T5_mmT6_P12ihipStream_tbEUlT_E_NS1_11comp_targetILNS1_3genE10ELNS1_11target_archE1200ELNS1_3gpuE4ELNS1_3repE0EEENS1_30default_config_static_selectorELNS0_4arch9wavefront6targetE0EEEvS10_.has_indirect_call, 0
	.section	.AMDGPU.csdata,"",@progbits
; Kernel info:
; codeLenInByte = 0
; TotalNumSgprs: 0
; NumVgprs: 0
; ScratchSize: 0
; MemoryBound: 0
; FloatMode: 240
; IeeeMode: 1
; LDSByteSize: 0 bytes/workgroup (compile time only)
; SGPRBlocks: 0
; VGPRBlocks: 0
; NumSGPRsForWavesPerEU: 1
; NumVGPRsForWavesPerEU: 1
; Occupancy: 16
; WaveLimiterHint : 0
; COMPUTE_PGM_RSRC2:SCRATCH_EN: 0
; COMPUTE_PGM_RSRC2:USER_SGPR: 6
; COMPUTE_PGM_RSRC2:TRAP_HANDLER: 0
; COMPUTE_PGM_RSRC2:TGID_X_EN: 1
; COMPUTE_PGM_RSRC2:TGID_Y_EN: 0
; COMPUTE_PGM_RSRC2:TGID_Z_EN: 0
; COMPUTE_PGM_RSRC2:TIDIG_COMP_CNT: 0
	.section	.text._ZN7rocprim17ROCPRIM_400000_NS6detail17trampoline_kernelINS0_14default_configENS1_21merge_config_selectorINS0_5tupleIJiiEEENS0_10empty_typeEEEZNS1_10merge_implIS3_NS0_12zip_iteratorINS5_IJN6thrust23THRUST_200600_302600_NS6detail15normal_iteratorINSC_10device_ptrIKiEEEESI_EEEEESK_NSA_INS5_IJNSE_INSF_IiEEEESM_EEEEEPS7_SP_SP_NSC_11hip_rocprim7__merge17predicate_wrapperIiiNSC_7greaterIiEEEEEE10hipError_tPvRmT0_T1_T2_T3_T4_T5_mmT6_P12ihipStream_tbEUlT_E_NS1_11comp_targetILNS1_3genE9ELNS1_11target_archE1100ELNS1_3gpuE3ELNS1_3repE0EEENS1_30default_config_static_selectorELNS0_4arch9wavefront6targetE0EEEvS10_,"axG",@progbits,_ZN7rocprim17ROCPRIM_400000_NS6detail17trampoline_kernelINS0_14default_configENS1_21merge_config_selectorINS0_5tupleIJiiEEENS0_10empty_typeEEEZNS1_10merge_implIS3_NS0_12zip_iteratorINS5_IJN6thrust23THRUST_200600_302600_NS6detail15normal_iteratorINSC_10device_ptrIKiEEEESI_EEEEESK_NSA_INS5_IJNSE_INSF_IiEEEESM_EEEEEPS7_SP_SP_NSC_11hip_rocprim7__merge17predicate_wrapperIiiNSC_7greaterIiEEEEEE10hipError_tPvRmT0_T1_T2_T3_T4_T5_mmT6_P12ihipStream_tbEUlT_E_NS1_11comp_targetILNS1_3genE9ELNS1_11target_archE1100ELNS1_3gpuE3ELNS1_3repE0EEENS1_30default_config_static_selectorELNS0_4arch9wavefront6targetE0EEEvS10_,comdat
	.protected	_ZN7rocprim17ROCPRIM_400000_NS6detail17trampoline_kernelINS0_14default_configENS1_21merge_config_selectorINS0_5tupleIJiiEEENS0_10empty_typeEEEZNS1_10merge_implIS3_NS0_12zip_iteratorINS5_IJN6thrust23THRUST_200600_302600_NS6detail15normal_iteratorINSC_10device_ptrIKiEEEESI_EEEEESK_NSA_INS5_IJNSE_INSF_IiEEEESM_EEEEEPS7_SP_SP_NSC_11hip_rocprim7__merge17predicate_wrapperIiiNSC_7greaterIiEEEEEE10hipError_tPvRmT0_T1_T2_T3_T4_T5_mmT6_P12ihipStream_tbEUlT_E_NS1_11comp_targetILNS1_3genE9ELNS1_11target_archE1100ELNS1_3gpuE3ELNS1_3repE0EEENS1_30default_config_static_selectorELNS0_4arch9wavefront6targetE0EEEvS10_ ; -- Begin function _ZN7rocprim17ROCPRIM_400000_NS6detail17trampoline_kernelINS0_14default_configENS1_21merge_config_selectorINS0_5tupleIJiiEEENS0_10empty_typeEEEZNS1_10merge_implIS3_NS0_12zip_iteratorINS5_IJN6thrust23THRUST_200600_302600_NS6detail15normal_iteratorINSC_10device_ptrIKiEEEESI_EEEEESK_NSA_INS5_IJNSE_INSF_IiEEEESM_EEEEEPS7_SP_SP_NSC_11hip_rocprim7__merge17predicate_wrapperIiiNSC_7greaterIiEEEEEE10hipError_tPvRmT0_T1_T2_T3_T4_T5_mmT6_P12ihipStream_tbEUlT_E_NS1_11comp_targetILNS1_3genE9ELNS1_11target_archE1100ELNS1_3gpuE3ELNS1_3repE0EEENS1_30default_config_static_selectorELNS0_4arch9wavefront6targetE0EEEvS10_
	.globl	_ZN7rocprim17ROCPRIM_400000_NS6detail17trampoline_kernelINS0_14default_configENS1_21merge_config_selectorINS0_5tupleIJiiEEENS0_10empty_typeEEEZNS1_10merge_implIS3_NS0_12zip_iteratorINS5_IJN6thrust23THRUST_200600_302600_NS6detail15normal_iteratorINSC_10device_ptrIKiEEEESI_EEEEESK_NSA_INS5_IJNSE_INSF_IiEEEESM_EEEEEPS7_SP_SP_NSC_11hip_rocprim7__merge17predicate_wrapperIiiNSC_7greaterIiEEEEEE10hipError_tPvRmT0_T1_T2_T3_T4_T5_mmT6_P12ihipStream_tbEUlT_E_NS1_11comp_targetILNS1_3genE9ELNS1_11target_archE1100ELNS1_3gpuE3ELNS1_3repE0EEENS1_30default_config_static_selectorELNS0_4arch9wavefront6targetE0EEEvS10_
	.p2align	8
	.type	_ZN7rocprim17ROCPRIM_400000_NS6detail17trampoline_kernelINS0_14default_configENS1_21merge_config_selectorINS0_5tupleIJiiEEENS0_10empty_typeEEEZNS1_10merge_implIS3_NS0_12zip_iteratorINS5_IJN6thrust23THRUST_200600_302600_NS6detail15normal_iteratorINSC_10device_ptrIKiEEEESI_EEEEESK_NSA_INS5_IJNSE_INSF_IiEEEESM_EEEEEPS7_SP_SP_NSC_11hip_rocprim7__merge17predicate_wrapperIiiNSC_7greaterIiEEEEEE10hipError_tPvRmT0_T1_T2_T3_T4_T5_mmT6_P12ihipStream_tbEUlT_E_NS1_11comp_targetILNS1_3genE9ELNS1_11target_archE1100ELNS1_3gpuE3ELNS1_3repE0EEENS1_30default_config_static_selectorELNS0_4arch9wavefront6targetE0EEEvS10_,@function
_ZN7rocprim17ROCPRIM_400000_NS6detail17trampoline_kernelINS0_14default_configENS1_21merge_config_selectorINS0_5tupleIJiiEEENS0_10empty_typeEEEZNS1_10merge_implIS3_NS0_12zip_iteratorINS5_IJN6thrust23THRUST_200600_302600_NS6detail15normal_iteratorINSC_10device_ptrIKiEEEESI_EEEEESK_NSA_INS5_IJNSE_INSF_IiEEEESM_EEEEEPS7_SP_SP_NSC_11hip_rocprim7__merge17predicate_wrapperIiiNSC_7greaterIiEEEEEE10hipError_tPvRmT0_T1_T2_T3_T4_T5_mmT6_P12ihipStream_tbEUlT_E_NS1_11comp_targetILNS1_3genE9ELNS1_11target_archE1100ELNS1_3gpuE3ELNS1_3repE0EEENS1_30default_config_static_selectorELNS0_4arch9wavefront6targetE0EEEvS10_: ; @_ZN7rocprim17ROCPRIM_400000_NS6detail17trampoline_kernelINS0_14default_configENS1_21merge_config_selectorINS0_5tupleIJiiEEENS0_10empty_typeEEEZNS1_10merge_implIS3_NS0_12zip_iteratorINS5_IJN6thrust23THRUST_200600_302600_NS6detail15normal_iteratorINSC_10device_ptrIKiEEEESI_EEEEESK_NSA_INS5_IJNSE_INSF_IiEEEESM_EEEEEPS7_SP_SP_NSC_11hip_rocprim7__merge17predicate_wrapperIiiNSC_7greaterIiEEEEEE10hipError_tPvRmT0_T1_T2_T3_T4_T5_mmT6_P12ihipStream_tbEUlT_E_NS1_11comp_targetILNS1_3genE9ELNS1_11target_archE1100ELNS1_3gpuE3ELNS1_3repE0EEENS1_30default_config_static_selectorELNS0_4arch9wavefront6targetE0EEEvS10_
; %bb.0:
	.section	.rodata,"a",@progbits
	.p2align	6, 0x0
	.amdhsa_kernel _ZN7rocprim17ROCPRIM_400000_NS6detail17trampoline_kernelINS0_14default_configENS1_21merge_config_selectorINS0_5tupleIJiiEEENS0_10empty_typeEEEZNS1_10merge_implIS3_NS0_12zip_iteratorINS5_IJN6thrust23THRUST_200600_302600_NS6detail15normal_iteratorINSC_10device_ptrIKiEEEESI_EEEEESK_NSA_INS5_IJNSE_INSF_IiEEEESM_EEEEEPS7_SP_SP_NSC_11hip_rocprim7__merge17predicate_wrapperIiiNSC_7greaterIiEEEEEE10hipError_tPvRmT0_T1_T2_T3_T4_T5_mmT6_P12ihipStream_tbEUlT_E_NS1_11comp_targetILNS1_3genE9ELNS1_11target_archE1100ELNS1_3gpuE3ELNS1_3repE0EEENS1_30default_config_static_selectorELNS0_4arch9wavefront6targetE0EEEvS10_
		.amdhsa_group_segment_fixed_size 0
		.amdhsa_private_segment_fixed_size 0
		.amdhsa_kernarg_size 64
		.amdhsa_user_sgpr_count 6
		.amdhsa_user_sgpr_private_segment_buffer 1
		.amdhsa_user_sgpr_dispatch_ptr 0
		.amdhsa_user_sgpr_queue_ptr 0
		.amdhsa_user_sgpr_kernarg_segment_ptr 1
		.amdhsa_user_sgpr_dispatch_id 0
		.amdhsa_user_sgpr_flat_scratch_init 0
		.amdhsa_user_sgpr_private_segment_size 0
		.amdhsa_wavefront_size32 1
		.amdhsa_uses_dynamic_stack 0
		.amdhsa_system_sgpr_private_segment_wavefront_offset 0
		.amdhsa_system_sgpr_workgroup_id_x 1
		.amdhsa_system_sgpr_workgroup_id_y 0
		.amdhsa_system_sgpr_workgroup_id_z 0
		.amdhsa_system_sgpr_workgroup_info 0
		.amdhsa_system_vgpr_workitem_id 0
		.amdhsa_next_free_vgpr 1
		.amdhsa_next_free_sgpr 1
		.amdhsa_reserve_vcc 0
		.amdhsa_reserve_flat_scratch 0
		.amdhsa_float_round_mode_32 0
		.amdhsa_float_round_mode_16_64 0
		.amdhsa_float_denorm_mode_32 3
		.amdhsa_float_denorm_mode_16_64 3
		.amdhsa_dx10_clamp 1
		.amdhsa_ieee_mode 1
		.amdhsa_fp16_overflow 0
		.amdhsa_workgroup_processor_mode 1
		.amdhsa_memory_ordered 1
		.amdhsa_forward_progress 1
		.amdhsa_shared_vgpr_count 0
		.amdhsa_exception_fp_ieee_invalid_op 0
		.amdhsa_exception_fp_denorm_src 0
		.amdhsa_exception_fp_ieee_div_zero 0
		.amdhsa_exception_fp_ieee_overflow 0
		.amdhsa_exception_fp_ieee_underflow 0
		.amdhsa_exception_fp_ieee_inexact 0
		.amdhsa_exception_int_div_zero 0
	.end_amdhsa_kernel
	.section	.text._ZN7rocprim17ROCPRIM_400000_NS6detail17trampoline_kernelINS0_14default_configENS1_21merge_config_selectorINS0_5tupleIJiiEEENS0_10empty_typeEEEZNS1_10merge_implIS3_NS0_12zip_iteratorINS5_IJN6thrust23THRUST_200600_302600_NS6detail15normal_iteratorINSC_10device_ptrIKiEEEESI_EEEEESK_NSA_INS5_IJNSE_INSF_IiEEEESM_EEEEEPS7_SP_SP_NSC_11hip_rocprim7__merge17predicate_wrapperIiiNSC_7greaterIiEEEEEE10hipError_tPvRmT0_T1_T2_T3_T4_T5_mmT6_P12ihipStream_tbEUlT_E_NS1_11comp_targetILNS1_3genE9ELNS1_11target_archE1100ELNS1_3gpuE3ELNS1_3repE0EEENS1_30default_config_static_selectorELNS0_4arch9wavefront6targetE0EEEvS10_,"axG",@progbits,_ZN7rocprim17ROCPRIM_400000_NS6detail17trampoline_kernelINS0_14default_configENS1_21merge_config_selectorINS0_5tupleIJiiEEENS0_10empty_typeEEEZNS1_10merge_implIS3_NS0_12zip_iteratorINS5_IJN6thrust23THRUST_200600_302600_NS6detail15normal_iteratorINSC_10device_ptrIKiEEEESI_EEEEESK_NSA_INS5_IJNSE_INSF_IiEEEESM_EEEEEPS7_SP_SP_NSC_11hip_rocprim7__merge17predicate_wrapperIiiNSC_7greaterIiEEEEEE10hipError_tPvRmT0_T1_T2_T3_T4_T5_mmT6_P12ihipStream_tbEUlT_E_NS1_11comp_targetILNS1_3genE9ELNS1_11target_archE1100ELNS1_3gpuE3ELNS1_3repE0EEENS1_30default_config_static_selectorELNS0_4arch9wavefront6targetE0EEEvS10_,comdat
.Lfunc_end432:
	.size	_ZN7rocprim17ROCPRIM_400000_NS6detail17trampoline_kernelINS0_14default_configENS1_21merge_config_selectorINS0_5tupleIJiiEEENS0_10empty_typeEEEZNS1_10merge_implIS3_NS0_12zip_iteratorINS5_IJN6thrust23THRUST_200600_302600_NS6detail15normal_iteratorINSC_10device_ptrIKiEEEESI_EEEEESK_NSA_INS5_IJNSE_INSF_IiEEEESM_EEEEEPS7_SP_SP_NSC_11hip_rocprim7__merge17predicate_wrapperIiiNSC_7greaterIiEEEEEE10hipError_tPvRmT0_T1_T2_T3_T4_T5_mmT6_P12ihipStream_tbEUlT_E_NS1_11comp_targetILNS1_3genE9ELNS1_11target_archE1100ELNS1_3gpuE3ELNS1_3repE0EEENS1_30default_config_static_selectorELNS0_4arch9wavefront6targetE0EEEvS10_, .Lfunc_end432-_ZN7rocprim17ROCPRIM_400000_NS6detail17trampoline_kernelINS0_14default_configENS1_21merge_config_selectorINS0_5tupleIJiiEEENS0_10empty_typeEEEZNS1_10merge_implIS3_NS0_12zip_iteratorINS5_IJN6thrust23THRUST_200600_302600_NS6detail15normal_iteratorINSC_10device_ptrIKiEEEESI_EEEEESK_NSA_INS5_IJNSE_INSF_IiEEEESM_EEEEEPS7_SP_SP_NSC_11hip_rocprim7__merge17predicate_wrapperIiiNSC_7greaterIiEEEEEE10hipError_tPvRmT0_T1_T2_T3_T4_T5_mmT6_P12ihipStream_tbEUlT_E_NS1_11comp_targetILNS1_3genE9ELNS1_11target_archE1100ELNS1_3gpuE3ELNS1_3repE0EEENS1_30default_config_static_selectorELNS0_4arch9wavefront6targetE0EEEvS10_
                                        ; -- End function
	.set _ZN7rocprim17ROCPRIM_400000_NS6detail17trampoline_kernelINS0_14default_configENS1_21merge_config_selectorINS0_5tupleIJiiEEENS0_10empty_typeEEEZNS1_10merge_implIS3_NS0_12zip_iteratorINS5_IJN6thrust23THRUST_200600_302600_NS6detail15normal_iteratorINSC_10device_ptrIKiEEEESI_EEEEESK_NSA_INS5_IJNSE_INSF_IiEEEESM_EEEEEPS7_SP_SP_NSC_11hip_rocprim7__merge17predicate_wrapperIiiNSC_7greaterIiEEEEEE10hipError_tPvRmT0_T1_T2_T3_T4_T5_mmT6_P12ihipStream_tbEUlT_E_NS1_11comp_targetILNS1_3genE9ELNS1_11target_archE1100ELNS1_3gpuE3ELNS1_3repE0EEENS1_30default_config_static_selectorELNS0_4arch9wavefront6targetE0EEEvS10_.num_vgpr, 0
	.set _ZN7rocprim17ROCPRIM_400000_NS6detail17trampoline_kernelINS0_14default_configENS1_21merge_config_selectorINS0_5tupleIJiiEEENS0_10empty_typeEEEZNS1_10merge_implIS3_NS0_12zip_iteratorINS5_IJN6thrust23THRUST_200600_302600_NS6detail15normal_iteratorINSC_10device_ptrIKiEEEESI_EEEEESK_NSA_INS5_IJNSE_INSF_IiEEEESM_EEEEEPS7_SP_SP_NSC_11hip_rocprim7__merge17predicate_wrapperIiiNSC_7greaterIiEEEEEE10hipError_tPvRmT0_T1_T2_T3_T4_T5_mmT6_P12ihipStream_tbEUlT_E_NS1_11comp_targetILNS1_3genE9ELNS1_11target_archE1100ELNS1_3gpuE3ELNS1_3repE0EEENS1_30default_config_static_selectorELNS0_4arch9wavefront6targetE0EEEvS10_.num_agpr, 0
	.set _ZN7rocprim17ROCPRIM_400000_NS6detail17trampoline_kernelINS0_14default_configENS1_21merge_config_selectorINS0_5tupleIJiiEEENS0_10empty_typeEEEZNS1_10merge_implIS3_NS0_12zip_iteratorINS5_IJN6thrust23THRUST_200600_302600_NS6detail15normal_iteratorINSC_10device_ptrIKiEEEESI_EEEEESK_NSA_INS5_IJNSE_INSF_IiEEEESM_EEEEEPS7_SP_SP_NSC_11hip_rocprim7__merge17predicate_wrapperIiiNSC_7greaterIiEEEEEE10hipError_tPvRmT0_T1_T2_T3_T4_T5_mmT6_P12ihipStream_tbEUlT_E_NS1_11comp_targetILNS1_3genE9ELNS1_11target_archE1100ELNS1_3gpuE3ELNS1_3repE0EEENS1_30default_config_static_selectorELNS0_4arch9wavefront6targetE0EEEvS10_.numbered_sgpr, 0
	.set _ZN7rocprim17ROCPRIM_400000_NS6detail17trampoline_kernelINS0_14default_configENS1_21merge_config_selectorINS0_5tupleIJiiEEENS0_10empty_typeEEEZNS1_10merge_implIS3_NS0_12zip_iteratorINS5_IJN6thrust23THRUST_200600_302600_NS6detail15normal_iteratorINSC_10device_ptrIKiEEEESI_EEEEESK_NSA_INS5_IJNSE_INSF_IiEEEESM_EEEEEPS7_SP_SP_NSC_11hip_rocprim7__merge17predicate_wrapperIiiNSC_7greaterIiEEEEEE10hipError_tPvRmT0_T1_T2_T3_T4_T5_mmT6_P12ihipStream_tbEUlT_E_NS1_11comp_targetILNS1_3genE9ELNS1_11target_archE1100ELNS1_3gpuE3ELNS1_3repE0EEENS1_30default_config_static_selectorELNS0_4arch9wavefront6targetE0EEEvS10_.num_named_barrier, 0
	.set _ZN7rocprim17ROCPRIM_400000_NS6detail17trampoline_kernelINS0_14default_configENS1_21merge_config_selectorINS0_5tupleIJiiEEENS0_10empty_typeEEEZNS1_10merge_implIS3_NS0_12zip_iteratorINS5_IJN6thrust23THRUST_200600_302600_NS6detail15normal_iteratorINSC_10device_ptrIKiEEEESI_EEEEESK_NSA_INS5_IJNSE_INSF_IiEEEESM_EEEEEPS7_SP_SP_NSC_11hip_rocprim7__merge17predicate_wrapperIiiNSC_7greaterIiEEEEEE10hipError_tPvRmT0_T1_T2_T3_T4_T5_mmT6_P12ihipStream_tbEUlT_E_NS1_11comp_targetILNS1_3genE9ELNS1_11target_archE1100ELNS1_3gpuE3ELNS1_3repE0EEENS1_30default_config_static_selectorELNS0_4arch9wavefront6targetE0EEEvS10_.private_seg_size, 0
	.set _ZN7rocprim17ROCPRIM_400000_NS6detail17trampoline_kernelINS0_14default_configENS1_21merge_config_selectorINS0_5tupleIJiiEEENS0_10empty_typeEEEZNS1_10merge_implIS3_NS0_12zip_iteratorINS5_IJN6thrust23THRUST_200600_302600_NS6detail15normal_iteratorINSC_10device_ptrIKiEEEESI_EEEEESK_NSA_INS5_IJNSE_INSF_IiEEEESM_EEEEEPS7_SP_SP_NSC_11hip_rocprim7__merge17predicate_wrapperIiiNSC_7greaterIiEEEEEE10hipError_tPvRmT0_T1_T2_T3_T4_T5_mmT6_P12ihipStream_tbEUlT_E_NS1_11comp_targetILNS1_3genE9ELNS1_11target_archE1100ELNS1_3gpuE3ELNS1_3repE0EEENS1_30default_config_static_selectorELNS0_4arch9wavefront6targetE0EEEvS10_.uses_vcc, 0
	.set _ZN7rocprim17ROCPRIM_400000_NS6detail17trampoline_kernelINS0_14default_configENS1_21merge_config_selectorINS0_5tupleIJiiEEENS0_10empty_typeEEEZNS1_10merge_implIS3_NS0_12zip_iteratorINS5_IJN6thrust23THRUST_200600_302600_NS6detail15normal_iteratorINSC_10device_ptrIKiEEEESI_EEEEESK_NSA_INS5_IJNSE_INSF_IiEEEESM_EEEEEPS7_SP_SP_NSC_11hip_rocprim7__merge17predicate_wrapperIiiNSC_7greaterIiEEEEEE10hipError_tPvRmT0_T1_T2_T3_T4_T5_mmT6_P12ihipStream_tbEUlT_E_NS1_11comp_targetILNS1_3genE9ELNS1_11target_archE1100ELNS1_3gpuE3ELNS1_3repE0EEENS1_30default_config_static_selectorELNS0_4arch9wavefront6targetE0EEEvS10_.uses_flat_scratch, 0
	.set _ZN7rocprim17ROCPRIM_400000_NS6detail17trampoline_kernelINS0_14default_configENS1_21merge_config_selectorINS0_5tupleIJiiEEENS0_10empty_typeEEEZNS1_10merge_implIS3_NS0_12zip_iteratorINS5_IJN6thrust23THRUST_200600_302600_NS6detail15normal_iteratorINSC_10device_ptrIKiEEEESI_EEEEESK_NSA_INS5_IJNSE_INSF_IiEEEESM_EEEEEPS7_SP_SP_NSC_11hip_rocprim7__merge17predicate_wrapperIiiNSC_7greaterIiEEEEEE10hipError_tPvRmT0_T1_T2_T3_T4_T5_mmT6_P12ihipStream_tbEUlT_E_NS1_11comp_targetILNS1_3genE9ELNS1_11target_archE1100ELNS1_3gpuE3ELNS1_3repE0EEENS1_30default_config_static_selectorELNS0_4arch9wavefront6targetE0EEEvS10_.has_dyn_sized_stack, 0
	.set _ZN7rocprim17ROCPRIM_400000_NS6detail17trampoline_kernelINS0_14default_configENS1_21merge_config_selectorINS0_5tupleIJiiEEENS0_10empty_typeEEEZNS1_10merge_implIS3_NS0_12zip_iteratorINS5_IJN6thrust23THRUST_200600_302600_NS6detail15normal_iteratorINSC_10device_ptrIKiEEEESI_EEEEESK_NSA_INS5_IJNSE_INSF_IiEEEESM_EEEEEPS7_SP_SP_NSC_11hip_rocprim7__merge17predicate_wrapperIiiNSC_7greaterIiEEEEEE10hipError_tPvRmT0_T1_T2_T3_T4_T5_mmT6_P12ihipStream_tbEUlT_E_NS1_11comp_targetILNS1_3genE9ELNS1_11target_archE1100ELNS1_3gpuE3ELNS1_3repE0EEENS1_30default_config_static_selectorELNS0_4arch9wavefront6targetE0EEEvS10_.has_recursion, 0
	.set _ZN7rocprim17ROCPRIM_400000_NS6detail17trampoline_kernelINS0_14default_configENS1_21merge_config_selectorINS0_5tupleIJiiEEENS0_10empty_typeEEEZNS1_10merge_implIS3_NS0_12zip_iteratorINS5_IJN6thrust23THRUST_200600_302600_NS6detail15normal_iteratorINSC_10device_ptrIKiEEEESI_EEEEESK_NSA_INS5_IJNSE_INSF_IiEEEESM_EEEEEPS7_SP_SP_NSC_11hip_rocprim7__merge17predicate_wrapperIiiNSC_7greaterIiEEEEEE10hipError_tPvRmT0_T1_T2_T3_T4_T5_mmT6_P12ihipStream_tbEUlT_E_NS1_11comp_targetILNS1_3genE9ELNS1_11target_archE1100ELNS1_3gpuE3ELNS1_3repE0EEENS1_30default_config_static_selectorELNS0_4arch9wavefront6targetE0EEEvS10_.has_indirect_call, 0
	.section	.AMDGPU.csdata,"",@progbits
; Kernel info:
; codeLenInByte = 0
; TotalNumSgprs: 0
; NumVgprs: 0
; ScratchSize: 0
; MemoryBound: 0
; FloatMode: 240
; IeeeMode: 1
; LDSByteSize: 0 bytes/workgroup (compile time only)
; SGPRBlocks: 0
; VGPRBlocks: 0
; NumSGPRsForWavesPerEU: 1
; NumVGPRsForWavesPerEU: 1
; Occupancy: 16
; WaveLimiterHint : 0
; COMPUTE_PGM_RSRC2:SCRATCH_EN: 0
; COMPUTE_PGM_RSRC2:USER_SGPR: 6
; COMPUTE_PGM_RSRC2:TRAP_HANDLER: 0
; COMPUTE_PGM_RSRC2:TGID_X_EN: 1
; COMPUTE_PGM_RSRC2:TGID_Y_EN: 0
; COMPUTE_PGM_RSRC2:TGID_Z_EN: 0
; COMPUTE_PGM_RSRC2:TIDIG_COMP_CNT: 0
	.section	.text._ZN7rocprim17ROCPRIM_400000_NS6detail17trampoline_kernelINS0_14default_configENS1_21merge_config_selectorINS0_5tupleIJiiEEENS0_10empty_typeEEEZNS1_10merge_implIS3_NS0_12zip_iteratorINS5_IJN6thrust23THRUST_200600_302600_NS6detail15normal_iteratorINSC_10device_ptrIKiEEEESI_EEEEESK_NSA_INS5_IJNSE_INSF_IiEEEESM_EEEEEPS7_SP_SP_NSC_11hip_rocprim7__merge17predicate_wrapperIiiNSC_7greaterIiEEEEEE10hipError_tPvRmT0_T1_T2_T3_T4_T5_mmT6_P12ihipStream_tbEUlT_E_NS1_11comp_targetILNS1_3genE8ELNS1_11target_archE1030ELNS1_3gpuE2ELNS1_3repE0EEENS1_30default_config_static_selectorELNS0_4arch9wavefront6targetE0EEEvS10_,"axG",@progbits,_ZN7rocprim17ROCPRIM_400000_NS6detail17trampoline_kernelINS0_14default_configENS1_21merge_config_selectorINS0_5tupleIJiiEEENS0_10empty_typeEEEZNS1_10merge_implIS3_NS0_12zip_iteratorINS5_IJN6thrust23THRUST_200600_302600_NS6detail15normal_iteratorINSC_10device_ptrIKiEEEESI_EEEEESK_NSA_INS5_IJNSE_INSF_IiEEEESM_EEEEEPS7_SP_SP_NSC_11hip_rocprim7__merge17predicate_wrapperIiiNSC_7greaterIiEEEEEE10hipError_tPvRmT0_T1_T2_T3_T4_T5_mmT6_P12ihipStream_tbEUlT_E_NS1_11comp_targetILNS1_3genE8ELNS1_11target_archE1030ELNS1_3gpuE2ELNS1_3repE0EEENS1_30default_config_static_selectorELNS0_4arch9wavefront6targetE0EEEvS10_,comdat
	.protected	_ZN7rocprim17ROCPRIM_400000_NS6detail17trampoline_kernelINS0_14default_configENS1_21merge_config_selectorINS0_5tupleIJiiEEENS0_10empty_typeEEEZNS1_10merge_implIS3_NS0_12zip_iteratorINS5_IJN6thrust23THRUST_200600_302600_NS6detail15normal_iteratorINSC_10device_ptrIKiEEEESI_EEEEESK_NSA_INS5_IJNSE_INSF_IiEEEESM_EEEEEPS7_SP_SP_NSC_11hip_rocprim7__merge17predicate_wrapperIiiNSC_7greaterIiEEEEEE10hipError_tPvRmT0_T1_T2_T3_T4_T5_mmT6_P12ihipStream_tbEUlT_E_NS1_11comp_targetILNS1_3genE8ELNS1_11target_archE1030ELNS1_3gpuE2ELNS1_3repE0EEENS1_30default_config_static_selectorELNS0_4arch9wavefront6targetE0EEEvS10_ ; -- Begin function _ZN7rocprim17ROCPRIM_400000_NS6detail17trampoline_kernelINS0_14default_configENS1_21merge_config_selectorINS0_5tupleIJiiEEENS0_10empty_typeEEEZNS1_10merge_implIS3_NS0_12zip_iteratorINS5_IJN6thrust23THRUST_200600_302600_NS6detail15normal_iteratorINSC_10device_ptrIKiEEEESI_EEEEESK_NSA_INS5_IJNSE_INSF_IiEEEESM_EEEEEPS7_SP_SP_NSC_11hip_rocprim7__merge17predicate_wrapperIiiNSC_7greaterIiEEEEEE10hipError_tPvRmT0_T1_T2_T3_T4_T5_mmT6_P12ihipStream_tbEUlT_E_NS1_11comp_targetILNS1_3genE8ELNS1_11target_archE1030ELNS1_3gpuE2ELNS1_3repE0EEENS1_30default_config_static_selectorELNS0_4arch9wavefront6targetE0EEEvS10_
	.globl	_ZN7rocprim17ROCPRIM_400000_NS6detail17trampoline_kernelINS0_14default_configENS1_21merge_config_selectorINS0_5tupleIJiiEEENS0_10empty_typeEEEZNS1_10merge_implIS3_NS0_12zip_iteratorINS5_IJN6thrust23THRUST_200600_302600_NS6detail15normal_iteratorINSC_10device_ptrIKiEEEESI_EEEEESK_NSA_INS5_IJNSE_INSF_IiEEEESM_EEEEEPS7_SP_SP_NSC_11hip_rocprim7__merge17predicate_wrapperIiiNSC_7greaterIiEEEEEE10hipError_tPvRmT0_T1_T2_T3_T4_T5_mmT6_P12ihipStream_tbEUlT_E_NS1_11comp_targetILNS1_3genE8ELNS1_11target_archE1030ELNS1_3gpuE2ELNS1_3repE0EEENS1_30default_config_static_selectorELNS0_4arch9wavefront6targetE0EEEvS10_
	.p2align	8
	.type	_ZN7rocprim17ROCPRIM_400000_NS6detail17trampoline_kernelINS0_14default_configENS1_21merge_config_selectorINS0_5tupleIJiiEEENS0_10empty_typeEEEZNS1_10merge_implIS3_NS0_12zip_iteratorINS5_IJN6thrust23THRUST_200600_302600_NS6detail15normal_iteratorINSC_10device_ptrIKiEEEESI_EEEEESK_NSA_INS5_IJNSE_INSF_IiEEEESM_EEEEEPS7_SP_SP_NSC_11hip_rocprim7__merge17predicate_wrapperIiiNSC_7greaterIiEEEEEE10hipError_tPvRmT0_T1_T2_T3_T4_T5_mmT6_P12ihipStream_tbEUlT_E_NS1_11comp_targetILNS1_3genE8ELNS1_11target_archE1030ELNS1_3gpuE2ELNS1_3repE0EEENS1_30default_config_static_selectorELNS0_4arch9wavefront6targetE0EEEvS10_,@function
_ZN7rocprim17ROCPRIM_400000_NS6detail17trampoline_kernelINS0_14default_configENS1_21merge_config_selectorINS0_5tupleIJiiEEENS0_10empty_typeEEEZNS1_10merge_implIS3_NS0_12zip_iteratorINS5_IJN6thrust23THRUST_200600_302600_NS6detail15normal_iteratorINSC_10device_ptrIKiEEEESI_EEEEESK_NSA_INS5_IJNSE_INSF_IiEEEESM_EEEEEPS7_SP_SP_NSC_11hip_rocprim7__merge17predicate_wrapperIiiNSC_7greaterIiEEEEEE10hipError_tPvRmT0_T1_T2_T3_T4_T5_mmT6_P12ihipStream_tbEUlT_E_NS1_11comp_targetILNS1_3genE8ELNS1_11target_archE1030ELNS1_3gpuE2ELNS1_3repE0EEENS1_30default_config_static_selectorELNS0_4arch9wavefront6targetE0EEEvS10_: ; @_ZN7rocprim17ROCPRIM_400000_NS6detail17trampoline_kernelINS0_14default_configENS1_21merge_config_selectorINS0_5tupleIJiiEEENS0_10empty_typeEEEZNS1_10merge_implIS3_NS0_12zip_iteratorINS5_IJN6thrust23THRUST_200600_302600_NS6detail15normal_iteratorINSC_10device_ptrIKiEEEESI_EEEEESK_NSA_INS5_IJNSE_INSF_IiEEEESM_EEEEEPS7_SP_SP_NSC_11hip_rocprim7__merge17predicate_wrapperIiiNSC_7greaterIiEEEEEE10hipError_tPvRmT0_T1_T2_T3_T4_T5_mmT6_P12ihipStream_tbEUlT_E_NS1_11comp_targetILNS1_3genE8ELNS1_11target_archE1030ELNS1_3gpuE2ELNS1_3repE0EEENS1_30default_config_static_selectorELNS0_4arch9wavefront6targetE0EEEvS10_
; %bb.0:
	s_clause 0x2
	s_load_dword s2, s[4:5], 0x38
	s_load_dword s0, s[4:5], 0x4c
	s_load_dwordx4 s[12:15], s[4:5], 0x28
	s_waitcnt lgkmcnt(0)
	v_cvt_f32_u32_e32 v1, s2
	s_and_b32 s3, s0, 0xffff
	s_add_u32 s0, s14, s12
	s_addc_u32 s1, s15, s13
	s_sub_i32 s8, 0, s2
	v_rcp_iflag_f32_e32 v1, v1
	s_add_i32 s9, s2, s0
	s_add_i32 s9, s9, -1
	v_mul_f32_e32 v1, 0x4f7ffffe, v1
	v_cvt_u32_f32_e32 v1, v1
	v_readfirstlane_b32 s7, v1
	v_mad_u64_u32 v[0:1], null, s6, s3, v[0:1]
	s_mul_i32 s8, s8, s7
	s_mul_hi_u32 s8, s7, s8
	s_add_i32 s7, s7, s8
	s_mul_hi_u32 s7, s9, s7
	s_mul_i32 s8, s7, s2
	s_sub_i32 s8, s9, s8
	s_add_i32 s9, s7, 1
	s_sub_i32 s10, s8, s2
	s_cmp_ge_u32 s8, s2
	s_cselect_b32 s3, s9, s7
	s_cselect_b32 s6, s10, s8
	s_add_i32 s7, s3, 1
	s_cmp_ge_u32 s6, s2
	s_cselect_b32 s3, s7, s3
	v_cmp_ge_u32_e32 vcc_lo, s3, v0
	s_and_saveexec_b32 s3, vcc_lo
	s_cbranch_execz .LBB433_6
; %bb.1:
	v_mul_lo_u32 v1, v0, s2
	v_mov_b32_e32 v2, 0
	s_load_dwordx4 s[8:11], s[4:5], 0x0
	v_cmp_gt_u64_e32 vcc_lo, s[0:1], v[1:2]
	v_cndmask_b32_e32 v6, s0, v1, vcc_lo
	v_cndmask_b32_e64 v7, s1, 0, vcc_lo
	v_sub_co_u32 v1, vcc_lo, v6, s14
	v_subrev_co_ci_u32_e64 v2, null, s15, v7, vcc_lo
	v_cmp_gt_u64_e64 s0, s[12:13], v[6:7]
	v_cmp_gt_u64_e32 vcc_lo, v[1:2], v[6:7]
	v_cndmask_b32_e64 v5, s13, v7, s0
	v_cndmask_b32_e64 v4, s12, v6, s0
	s_mov_b32 s0, exec_lo
	v_cndmask_b32_e64 v3, v2, 0, vcc_lo
	v_cndmask_b32_e64 v2, v1, 0, vcc_lo
	v_cmpx_lt_u64_e64 v[2:3], v[4:5]
	s_cbranch_execz .LBB433_5
; %bb.2:
	s_load_dwordx2 s[2:3], s[4:5], 0x18
	v_lshlrev_b64 v[6:7], 2, v[6:7]
	s_mov_b32 s1, 0
	s_waitcnt lgkmcnt(0)
	v_add_co_u32 v1, vcc_lo, s2, v6
	v_add_co_ci_u32_e64 v6, null, s3, v7, vcc_lo
	s_inst_prefetch 0x1
	.p2align	6
.LBB433_3:                              ; =>This Inner Loop Header: Depth=1
	v_add_co_u32 v7, vcc_lo, v4, v2
	v_add_co_ci_u32_e64 v8, null, v5, v3, vcc_lo
	v_lshrrev_b64 v[7:8], 1, v[7:8]
	v_lshlrev_b64 v[9:10], 2, v[7:8]
	v_xor_b32_e32 v11, -4, v9
	v_xor_b32_e32 v12, -1, v10
	v_add_co_u32 v9, vcc_lo, s10, v9
	v_add_co_ci_u32_e64 v10, null, s11, v10, vcc_lo
	v_add_co_u32 v11, vcc_lo, v1, v11
	v_add_co_ci_u32_e64 v12, null, v6, v12, vcc_lo
	global_load_dword v9, v[9:10], off
	global_load_dword v10, v[11:12], off
	v_add_co_u32 v11, vcc_lo, v7, 1
	v_add_co_ci_u32_e64 v12, null, 0, v8, vcc_lo
	s_waitcnt vmcnt(0)
	v_cmp_gt_i32_e32 vcc_lo, v10, v9
	v_cndmask_b32_e32 v5, v5, v8, vcc_lo
	v_cndmask_b32_e32 v4, v4, v7, vcc_lo
	v_cndmask_b32_e32 v3, v12, v3, vcc_lo
	v_cndmask_b32_e32 v2, v11, v2, vcc_lo
	v_cmp_ge_u64_e32 vcc_lo, v[2:3], v[4:5]
	s_or_b32 s1, vcc_lo, s1
	s_andn2_b32 exec_lo, exec_lo, s1
	s_cbranch_execnz .LBB433_3
; %bb.4:
	s_inst_prefetch 0x2
	s_or_b32 exec_lo, exec_lo, s1
.LBB433_5:
	s_or_b32 exec_lo, exec_lo, s0
	v_mov_b32_e32 v1, 0
	v_lshlrev_b64 v[0:1], 2, v[0:1]
	s_waitcnt lgkmcnt(0)
	v_add_co_u32 v0, vcc_lo, s8, v0
	v_add_co_ci_u32_e64 v1, null, s9, v1, vcc_lo
	global_store_dword v[0:1], v2, off
.LBB433_6:
	s_endpgm
	.section	.rodata,"a",@progbits
	.p2align	6, 0x0
	.amdhsa_kernel _ZN7rocprim17ROCPRIM_400000_NS6detail17trampoline_kernelINS0_14default_configENS1_21merge_config_selectorINS0_5tupleIJiiEEENS0_10empty_typeEEEZNS1_10merge_implIS3_NS0_12zip_iteratorINS5_IJN6thrust23THRUST_200600_302600_NS6detail15normal_iteratorINSC_10device_ptrIKiEEEESI_EEEEESK_NSA_INS5_IJNSE_INSF_IiEEEESM_EEEEEPS7_SP_SP_NSC_11hip_rocprim7__merge17predicate_wrapperIiiNSC_7greaterIiEEEEEE10hipError_tPvRmT0_T1_T2_T3_T4_T5_mmT6_P12ihipStream_tbEUlT_E_NS1_11comp_targetILNS1_3genE8ELNS1_11target_archE1030ELNS1_3gpuE2ELNS1_3repE0EEENS1_30default_config_static_selectorELNS0_4arch9wavefront6targetE0EEEvS10_
		.amdhsa_group_segment_fixed_size 0
		.amdhsa_private_segment_fixed_size 0
		.amdhsa_kernarg_size 320
		.amdhsa_user_sgpr_count 6
		.amdhsa_user_sgpr_private_segment_buffer 1
		.amdhsa_user_sgpr_dispatch_ptr 0
		.amdhsa_user_sgpr_queue_ptr 0
		.amdhsa_user_sgpr_kernarg_segment_ptr 1
		.amdhsa_user_sgpr_dispatch_id 0
		.amdhsa_user_sgpr_flat_scratch_init 0
		.amdhsa_user_sgpr_private_segment_size 0
		.amdhsa_wavefront_size32 1
		.amdhsa_uses_dynamic_stack 0
		.amdhsa_system_sgpr_private_segment_wavefront_offset 0
		.amdhsa_system_sgpr_workgroup_id_x 1
		.amdhsa_system_sgpr_workgroup_id_y 0
		.amdhsa_system_sgpr_workgroup_id_z 0
		.amdhsa_system_sgpr_workgroup_info 0
		.amdhsa_system_vgpr_workitem_id 0
		.amdhsa_next_free_vgpr 13
		.amdhsa_next_free_sgpr 16
		.amdhsa_reserve_vcc 1
		.amdhsa_reserve_flat_scratch 0
		.amdhsa_float_round_mode_32 0
		.amdhsa_float_round_mode_16_64 0
		.amdhsa_float_denorm_mode_32 3
		.amdhsa_float_denorm_mode_16_64 3
		.amdhsa_dx10_clamp 1
		.amdhsa_ieee_mode 1
		.amdhsa_fp16_overflow 0
		.amdhsa_workgroup_processor_mode 1
		.amdhsa_memory_ordered 1
		.amdhsa_forward_progress 1
		.amdhsa_shared_vgpr_count 0
		.amdhsa_exception_fp_ieee_invalid_op 0
		.amdhsa_exception_fp_denorm_src 0
		.amdhsa_exception_fp_ieee_div_zero 0
		.amdhsa_exception_fp_ieee_overflow 0
		.amdhsa_exception_fp_ieee_underflow 0
		.amdhsa_exception_fp_ieee_inexact 0
		.amdhsa_exception_int_div_zero 0
	.end_amdhsa_kernel
	.section	.text._ZN7rocprim17ROCPRIM_400000_NS6detail17trampoline_kernelINS0_14default_configENS1_21merge_config_selectorINS0_5tupleIJiiEEENS0_10empty_typeEEEZNS1_10merge_implIS3_NS0_12zip_iteratorINS5_IJN6thrust23THRUST_200600_302600_NS6detail15normal_iteratorINSC_10device_ptrIKiEEEESI_EEEEESK_NSA_INS5_IJNSE_INSF_IiEEEESM_EEEEEPS7_SP_SP_NSC_11hip_rocprim7__merge17predicate_wrapperIiiNSC_7greaterIiEEEEEE10hipError_tPvRmT0_T1_T2_T3_T4_T5_mmT6_P12ihipStream_tbEUlT_E_NS1_11comp_targetILNS1_3genE8ELNS1_11target_archE1030ELNS1_3gpuE2ELNS1_3repE0EEENS1_30default_config_static_selectorELNS0_4arch9wavefront6targetE0EEEvS10_,"axG",@progbits,_ZN7rocprim17ROCPRIM_400000_NS6detail17trampoline_kernelINS0_14default_configENS1_21merge_config_selectorINS0_5tupleIJiiEEENS0_10empty_typeEEEZNS1_10merge_implIS3_NS0_12zip_iteratorINS5_IJN6thrust23THRUST_200600_302600_NS6detail15normal_iteratorINSC_10device_ptrIKiEEEESI_EEEEESK_NSA_INS5_IJNSE_INSF_IiEEEESM_EEEEEPS7_SP_SP_NSC_11hip_rocprim7__merge17predicate_wrapperIiiNSC_7greaterIiEEEEEE10hipError_tPvRmT0_T1_T2_T3_T4_T5_mmT6_P12ihipStream_tbEUlT_E_NS1_11comp_targetILNS1_3genE8ELNS1_11target_archE1030ELNS1_3gpuE2ELNS1_3repE0EEENS1_30default_config_static_selectorELNS0_4arch9wavefront6targetE0EEEvS10_,comdat
.Lfunc_end433:
	.size	_ZN7rocprim17ROCPRIM_400000_NS6detail17trampoline_kernelINS0_14default_configENS1_21merge_config_selectorINS0_5tupleIJiiEEENS0_10empty_typeEEEZNS1_10merge_implIS3_NS0_12zip_iteratorINS5_IJN6thrust23THRUST_200600_302600_NS6detail15normal_iteratorINSC_10device_ptrIKiEEEESI_EEEEESK_NSA_INS5_IJNSE_INSF_IiEEEESM_EEEEEPS7_SP_SP_NSC_11hip_rocprim7__merge17predicate_wrapperIiiNSC_7greaterIiEEEEEE10hipError_tPvRmT0_T1_T2_T3_T4_T5_mmT6_P12ihipStream_tbEUlT_E_NS1_11comp_targetILNS1_3genE8ELNS1_11target_archE1030ELNS1_3gpuE2ELNS1_3repE0EEENS1_30default_config_static_selectorELNS0_4arch9wavefront6targetE0EEEvS10_, .Lfunc_end433-_ZN7rocprim17ROCPRIM_400000_NS6detail17trampoline_kernelINS0_14default_configENS1_21merge_config_selectorINS0_5tupleIJiiEEENS0_10empty_typeEEEZNS1_10merge_implIS3_NS0_12zip_iteratorINS5_IJN6thrust23THRUST_200600_302600_NS6detail15normal_iteratorINSC_10device_ptrIKiEEEESI_EEEEESK_NSA_INS5_IJNSE_INSF_IiEEEESM_EEEEEPS7_SP_SP_NSC_11hip_rocprim7__merge17predicate_wrapperIiiNSC_7greaterIiEEEEEE10hipError_tPvRmT0_T1_T2_T3_T4_T5_mmT6_P12ihipStream_tbEUlT_E_NS1_11comp_targetILNS1_3genE8ELNS1_11target_archE1030ELNS1_3gpuE2ELNS1_3repE0EEENS1_30default_config_static_selectorELNS0_4arch9wavefront6targetE0EEEvS10_
                                        ; -- End function
	.set _ZN7rocprim17ROCPRIM_400000_NS6detail17trampoline_kernelINS0_14default_configENS1_21merge_config_selectorINS0_5tupleIJiiEEENS0_10empty_typeEEEZNS1_10merge_implIS3_NS0_12zip_iteratorINS5_IJN6thrust23THRUST_200600_302600_NS6detail15normal_iteratorINSC_10device_ptrIKiEEEESI_EEEEESK_NSA_INS5_IJNSE_INSF_IiEEEESM_EEEEEPS7_SP_SP_NSC_11hip_rocprim7__merge17predicate_wrapperIiiNSC_7greaterIiEEEEEE10hipError_tPvRmT0_T1_T2_T3_T4_T5_mmT6_P12ihipStream_tbEUlT_E_NS1_11comp_targetILNS1_3genE8ELNS1_11target_archE1030ELNS1_3gpuE2ELNS1_3repE0EEENS1_30default_config_static_selectorELNS0_4arch9wavefront6targetE0EEEvS10_.num_vgpr, 13
	.set _ZN7rocprim17ROCPRIM_400000_NS6detail17trampoline_kernelINS0_14default_configENS1_21merge_config_selectorINS0_5tupleIJiiEEENS0_10empty_typeEEEZNS1_10merge_implIS3_NS0_12zip_iteratorINS5_IJN6thrust23THRUST_200600_302600_NS6detail15normal_iteratorINSC_10device_ptrIKiEEEESI_EEEEESK_NSA_INS5_IJNSE_INSF_IiEEEESM_EEEEEPS7_SP_SP_NSC_11hip_rocprim7__merge17predicate_wrapperIiiNSC_7greaterIiEEEEEE10hipError_tPvRmT0_T1_T2_T3_T4_T5_mmT6_P12ihipStream_tbEUlT_E_NS1_11comp_targetILNS1_3genE8ELNS1_11target_archE1030ELNS1_3gpuE2ELNS1_3repE0EEENS1_30default_config_static_selectorELNS0_4arch9wavefront6targetE0EEEvS10_.num_agpr, 0
	.set _ZN7rocprim17ROCPRIM_400000_NS6detail17trampoline_kernelINS0_14default_configENS1_21merge_config_selectorINS0_5tupleIJiiEEENS0_10empty_typeEEEZNS1_10merge_implIS3_NS0_12zip_iteratorINS5_IJN6thrust23THRUST_200600_302600_NS6detail15normal_iteratorINSC_10device_ptrIKiEEEESI_EEEEESK_NSA_INS5_IJNSE_INSF_IiEEEESM_EEEEEPS7_SP_SP_NSC_11hip_rocprim7__merge17predicate_wrapperIiiNSC_7greaterIiEEEEEE10hipError_tPvRmT0_T1_T2_T3_T4_T5_mmT6_P12ihipStream_tbEUlT_E_NS1_11comp_targetILNS1_3genE8ELNS1_11target_archE1030ELNS1_3gpuE2ELNS1_3repE0EEENS1_30default_config_static_selectorELNS0_4arch9wavefront6targetE0EEEvS10_.numbered_sgpr, 16
	.set _ZN7rocprim17ROCPRIM_400000_NS6detail17trampoline_kernelINS0_14default_configENS1_21merge_config_selectorINS0_5tupleIJiiEEENS0_10empty_typeEEEZNS1_10merge_implIS3_NS0_12zip_iteratorINS5_IJN6thrust23THRUST_200600_302600_NS6detail15normal_iteratorINSC_10device_ptrIKiEEEESI_EEEEESK_NSA_INS5_IJNSE_INSF_IiEEEESM_EEEEEPS7_SP_SP_NSC_11hip_rocprim7__merge17predicate_wrapperIiiNSC_7greaterIiEEEEEE10hipError_tPvRmT0_T1_T2_T3_T4_T5_mmT6_P12ihipStream_tbEUlT_E_NS1_11comp_targetILNS1_3genE8ELNS1_11target_archE1030ELNS1_3gpuE2ELNS1_3repE0EEENS1_30default_config_static_selectorELNS0_4arch9wavefront6targetE0EEEvS10_.num_named_barrier, 0
	.set _ZN7rocprim17ROCPRIM_400000_NS6detail17trampoline_kernelINS0_14default_configENS1_21merge_config_selectorINS0_5tupleIJiiEEENS0_10empty_typeEEEZNS1_10merge_implIS3_NS0_12zip_iteratorINS5_IJN6thrust23THRUST_200600_302600_NS6detail15normal_iteratorINSC_10device_ptrIKiEEEESI_EEEEESK_NSA_INS5_IJNSE_INSF_IiEEEESM_EEEEEPS7_SP_SP_NSC_11hip_rocprim7__merge17predicate_wrapperIiiNSC_7greaterIiEEEEEE10hipError_tPvRmT0_T1_T2_T3_T4_T5_mmT6_P12ihipStream_tbEUlT_E_NS1_11comp_targetILNS1_3genE8ELNS1_11target_archE1030ELNS1_3gpuE2ELNS1_3repE0EEENS1_30default_config_static_selectorELNS0_4arch9wavefront6targetE0EEEvS10_.private_seg_size, 0
	.set _ZN7rocprim17ROCPRIM_400000_NS6detail17trampoline_kernelINS0_14default_configENS1_21merge_config_selectorINS0_5tupleIJiiEEENS0_10empty_typeEEEZNS1_10merge_implIS3_NS0_12zip_iteratorINS5_IJN6thrust23THRUST_200600_302600_NS6detail15normal_iteratorINSC_10device_ptrIKiEEEESI_EEEEESK_NSA_INS5_IJNSE_INSF_IiEEEESM_EEEEEPS7_SP_SP_NSC_11hip_rocprim7__merge17predicate_wrapperIiiNSC_7greaterIiEEEEEE10hipError_tPvRmT0_T1_T2_T3_T4_T5_mmT6_P12ihipStream_tbEUlT_E_NS1_11comp_targetILNS1_3genE8ELNS1_11target_archE1030ELNS1_3gpuE2ELNS1_3repE0EEENS1_30default_config_static_selectorELNS0_4arch9wavefront6targetE0EEEvS10_.uses_vcc, 1
	.set _ZN7rocprim17ROCPRIM_400000_NS6detail17trampoline_kernelINS0_14default_configENS1_21merge_config_selectorINS0_5tupleIJiiEEENS0_10empty_typeEEEZNS1_10merge_implIS3_NS0_12zip_iteratorINS5_IJN6thrust23THRUST_200600_302600_NS6detail15normal_iteratorINSC_10device_ptrIKiEEEESI_EEEEESK_NSA_INS5_IJNSE_INSF_IiEEEESM_EEEEEPS7_SP_SP_NSC_11hip_rocprim7__merge17predicate_wrapperIiiNSC_7greaterIiEEEEEE10hipError_tPvRmT0_T1_T2_T3_T4_T5_mmT6_P12ihipStream_tbEUlT_E_NS1_11comp_targetILNS1_3genE8ELNS1_11target_archE1030ELNS1_3gpuE2ELNS1_3repE0EEENS1_30default_config_static_selectorELNS0_4arch9wavefront6targetE0EEEvS10_.uses_flat_scratch, 0
	.set _ZN7rocprim17ROCPRIM_400000_NS6detail17trampoline_kernelINS0_14default_configENS1_21merge_config_selectorINS0_5tupleIJiiEEENS0_10empty_typeEEEZNS1_10merge_implIS3_NS0_12zip_iteratorINS5_IJN6thrust23THRUST_200600_302600_NS6detail15normal_iteratorINSC_10device_ptrIKiEEEESI_EEEEESK_NSA_INS5_IJNSE_INSF_IiEEEESM_EEEEEPS7_SP_SP_NSC_11hip_rocprim7__merge17predicate_wrapperIiiNSC_7greaterIiEEEEEE10hipError_tPvRmT0_T1_T2_T3_T4_T5_mmT6_P12ihipStream_tbEUlT_E_NS1_11comp_targetILNS1_3genE8ELNS1_11target_archE1030ELNS1_3gpuE2ELNS1_3repE0EEENS1_30default_config_static_selectorELNS0_4arch9wavefront6targetE0EEEvS10_.has_dyn_sized_stack, 0
	.set _ZN7rocprim17ROCPRIM_400000_NS6detail17trampoline_kernelINS0_14default_configENS1_21merge_config_selectorINS0_5tupleIJiiEEENS0_10empty_typeEEEZNS1_10merge_implIS3_NS0_12zip_iteratorINS5_IJN6thrust23THRUST_200600_302600_NS6detail15normal_iteratorINSC_10device_ptrIKiEEEESI_EEEEESK_NSA_INS5_IJNSE_INSF_IiEEEESM_EEEEEPS7_SP_SP_NSC_11hip_rocprim7__merge17predicate_wrapperIiiNSC_7greaterIiEEEEEE10hipError_tPvRmT0_T1_T2_T3_T4_T5_mmT6_P12ihipStream_tbEUlT_E_NS1_11comp_targetILNS1_3genE8ELNS1_11target_archE1030ELNS1_3gpuE2ELNS1_3repE0EEENS1_30default_config_static_selectorELNS0_4arch9wavefront6targetE0EEEvS10_.has_recursion, 0
	.set _ZN7rocprim17ROCPRIM_400000_NS6detail17trampoline_kernelINS0_14default_configENS1_21merge_config_selectorINS0_5tupleIJiiEEENS0_10empty_typeEEEZNS1_10merge_implIS3_NS0_12zip_iteratorINS5_IJN6thrust23THRUST_200600_302600_NS6detail15normal_iteratorINSC_10device_ptrIKiEEEESI_EEEEESK_NSA_INS5_IJNSE_INSF_IiEEEESM_EEEEEPS7_SP_SP_NSC_11hip_rocprim7__merge17predicate_wrapperIiiNSC_7greaterIiEEEEEE10hipError_tPvRmT0_T1_T2_T3_T4_T5_mmT6_P12ihipStream_tbEUlT_E_NS1_11comp_targetILNS1_3genE8ELNS1_11target_archE1030ELNS1_3gpuE2ELNS1_3repE0EEENS1_30default_config_static_selectorELNS0_4arch9wavefront6targetE0EEEvS10_.has_indirect_call, 0
	.section	.AMDGPU.csdata,"",@progbits
; Kernel info:
; codeLenInByte = 520
; TotalNumSgprs: 18
; NumVgprs: 13
; ScratchSize: 0
; MemoryBound: 0
; FloatMode: 240
; IeeeMode: 1
; LDSByteSize: 0 bytes/workgroup (compile time only)
; SGPRBlocks: 0
; VGPRBlocks: 1
; NumSGPRsForWavesPerEU: 18
; NumVGPRsForWavesPerEU: 13
; Occupancy: 16
; WaveLimiterHint : 0
; COMPUTE_PGM_RSRC2:SCRATCH_EN: 0
; COMPUTE_PGM_RSRC2:USER_SGPR: 6
; COMPUTE_PGM_RSRC2:TRAP_HANDLER: 0
; COMPUTE_PGM_RSRC2:TGID_X_EN: 1
; COMPUTE_PGM_RSRC2:TGID_Y_EN: 0
; COMPUTE_PGM_RSRC2:TGID_Z_EN: 0
; COMPUTE_PGM_RSRC2:TIDIG_COMP_CNT: 0
	.section	.text._ZN7rocprim17ROCPRIM_400000_NS6detail17trampoline_kernelINS0_14default_configENS1_21merge_config_selectorINS0_5tupleIJiiEEENS0_10empty_typeEEEZNS1_10merge_implIS3_NS0_12zip_iteratorINS5_IJN6thrust23THRUST_200600_302600_NS6detail15normal_iteratorINSC_10device_ptrIKiEEEESI_EEEEESK_NSA_INS5_IJNSE_INSF_IiEEEESM_EEEEEPS7_SP_SP_NSC_11hip_rocprim7__merge17predicate_wrapperIiiNSC_7greaterIiEEEEEE10hipError_tPvRmT0_T1_T2_T3_T4_T5_mmT6_P12ihipStream_tbEUlT_E0_NS1_11comp_targetILNS1_3genE0ELNS1_11target_archE4294967295ELNS1_3gpuE0ELNS1_3repE0EEENS1_30default_config_static_selectorELNS0_4arch9wavefront6targetE0EEEvS10_,"axG",@progbits,_ZN7rocprim17ROCPRIM_400000_NS6detail17trampoline_kernelINS0_14default_configENS1_21merge_config_selectorINS0_5tupleIJiiEEENS0_10empty_typeEEEZNS1_10merge_implIS3_NS0_12zip_iteratorINS5_IJN6thrust23THRUST_200600_302600_NS6detail15normal_iteratorINSC_10device_ptrIKiEEEESI_EEEEESK_NSA_INS5_IJNSE_INSF_IiEEEESM_EEEEEPS7_SP_SP_NSC_11hip_rocprim7__merge17predicate_wrapperIiiNSC_7greaterIiEEEEEE10hipError_tPvRmT0_T1_T2_T3_T4_T5_mmT6_P12ihipStream_tbEUlT_E0_NS1_11comp_targetILNS1_3genE0ELNS1_11target_archE4294967295ELNS1_3gpuE0ELNS1_3repE0EEENS1_30default_config_static_selectorELNS0_4arch9wavefront6targetE0EEEvS10_,comdat
	.protected	_ZN7rocprim17ROCPRIM_400000_NS6detail17trampoline_kernelINS0_14default_configENS1_21merge_config_selectorINS0_5tupleIJiiEEENS0_10empty_typeEEEZNS1_10merge_implIS3_NS0_12zip_iteratorINS5_IJN6thrust23THRUST_200600_302600_NS6detail15normal_iteratorINSC_10device_ptrIKiEEEESI_EEEEESK_NSA_INS5_IJNSE_INSF_IiEEEESM_EEEEEPS7_SP_SP_NSC_11hip_rocprim7__merge17predicate_wrapperIiiNSC_7greaterIiEEEEEE10hipError_tPvRmT0_T1_T2_T3_T4_T5_mmT6_P12ihipStream_tbEUlT_E0_NS1_11comp_targetILNS1_3genE0ELNS1_11target_archE4294967295ELNS1_3gpuE0ELNS1_3repE0EEENS1_30default_config_static_selectorELNS0_4arch9wavefront6targetE0EEEvS10_ ; -- Begin function _ZN7rocprim17ROCPRIM_400000_NS6detail17trampoline_kernelINS0_14default_configENS1_21merge_config_selectorINS0_5tupleIJiiEEENS0_10empty_typeEEEZNS1_10merge_implIS3_NS0_12zip_iteratorINS5_IJN6thrust23THRUST_200600_302600_NS6detail15normal_iteratorINSC_10device_ptrIKiEEEESI_EEEEESK_NSA_INS5_IJNSE_INSF_IiEEEESM_EEEEEPS7_SP_SP_NSC_11hip_rocprim7__merge17predicate_wrapperIiiNSC_7greaterIiEEEEEE10hipError_tPvRmT0_T1_T2_T3_T4_T5_mmT6_P12ihipStream_tbEUlT_E0_NS1_11comp_targetILNS1_3genE0ELNS1_11target_archE4294967295ELNS1_3gpuE0ELNS1_3repE0EEENS1_30default_config_static_selectorELNS0_4arch9wavefront6targetE0EEEvS10_
	.globl	_ZN7rocprim17ROCPRIM_400000_NS6detail17trampoline_kernelINS0_14default_configENS1_21merge_config_selectorINS0_5tupleIJiiEEENS0_10empty_typeEEEZNS1_10merge_implIS3_NS0_12zip_iteratorINS5_IJN6thrust23THRUST_200600_302600_NS6detail15normal_iteratorINSC_10device_ptrIKiEEEESI_EEEEESK_NSA_INS5_IJNSE_INSF_IiEEEESM_EEEEEPS7_SP_SP_NSC_11hip_rocprim7__merge17predicate_wrapperIiiNSC_7greaterIiEEEEEE10hipError_tPvRmT0_T1_T2_T3_T4_T5_mmT6_P12ihipStream_tbEUlT_E0_NS1_11comp_targetILNS1_3genE0ELNS1_11target_archE4294967295ELNS1_3gpuE0ELNS1_3repE0EEENS1_30default_config_static_selectorELNS0_4arch9wavefront6targetE0EEEvS10_
	.p2align	8
	.type	_ZN7rocprim17ROCPRIM_400000_NS6detail17trampoline_kernelINS0_14default_configENS1_21merge_config_selectorINS0_5tupleIJiiEEENS0_10empty_typeEEEZNS1_10merge_implIS3_NS0_12zip_iteratorINS5_IJN6thrust23THRUST_200600_302600_NS6detail15normal_iteratorINSC_10device_ptrIKiEEEESI_EEEEESK_NSA_INS5_IJNSE_INSF_IiEEEESM_EEEEEPS7_SP_SP_NSC_11hip_rocprim7__merge17predicate_wrapperIiiNSC_7greaterIiEEEEEE10hipError_tPvRmT0_T1_T2_T3_T4_T5_mmT6_P12ihipStream_tbEUlT_E0_NS1_11comp_targetILNS1_3genE0ELNS1_11target_archE4294967295ELNS1_3gpuE0ELNS1_3repE0EEENS1_30default_config_static_selectorELNS0_4arch9wavefront6targetE0EEEvS10_,@function
_ZN7rocprim17ROCPRIM_400000_NS6detail17trampoline_kernelINS0_14default_configENS1_21merge_config_selectorINS0_5tupleIJiiEEENS0_10empty_typeEEEZNS1_10merge_implIS3_NS0_12zip_iteratorINS5_IJN6thrust23THRUST_200600_302600_NS6detail15normal_iteratorINSC_10device_ptrIKiEEEESI_EEEEESK_NSA_INS5_IJNSE_INSF_IiEEEESM_EEEEEPS7_SP_SP_NSC_11hip_rocprim7__merge17predicate_wrapperIiiNSC_7greaterIiEEEEEE10hipError_tPvRmT0_T1_T2_T3_T4_T5_mmT6_P12ihipStream_tbEUlT_E0_NS1_11comp_targetILNS1_3genE0ELNS1_11target_archE4294967295ELNS1_3gpuE0ELNS1_3repE0EEENS1_30default_config_static_selectorELNS0_4arch9wavefront6targetE0EEEvS10_: ; @_ZN7rocprim17ROCPRIM_400000_NS6detail17trampoline_kernelINS0_14default_configENS1_21merge_config_selectorINS0_5tupleIJiiEEENS0_10empty_typeEEEZNS1_10merge_implIS3_NS0_12zip_iteratorINS5_IJN6thrust23THRUST_200600_302600_NS6detail15normal_iteratorINSC_10device_ptrIKiEEEESI_EEEEESK_NSA_INS5_IJNSE_INSF_IiEEEESM_EEEEEPS7_SP_SP_NSC_11hip_rocprim7__merge17predicate_wrapperIiiNSC_7greaterIiEEEEEE10hipError_tPvRmT0_T1_T2_T3_T4_T5_mmT6_P12ihipStream_tbEUlT_E0_NS1_11comp_targetILNS1_3genE0ELNS1_11target_archE4294967295ELNS1_3gpuE0ELNS1_3repE0EEENS1_30default_config_static_selectorELNS0_4arch9wavefront6targetE0EEEvS10_
; %bb.0:
	.section	.rodata,"a",@progbits
	.p2align	6, 0x0
	.amdhsa_kernel _ZN7rocprim17ROCPRIM_400000_NS6detail17trampoline_kernelINS0_14default_configENS1_21merge_config_selectorINS0_5tupleIJiiEEENS0_10empty_typeEEEZNS1_10merge_implIS3_NS0_12zip_iteratorINS5_IJN6thrust23THRUST_200600_302600_NS6detail15normal_iteratorINSC_10device_ptrIKiEEEESI_EEEEESK_NSA_INS5_IJNSE_INSF_IiEEEESM_EEEEEPS7_SP_SP_NSC_11hip_rocprim7__merge17predicate_wrapperIiiNSC_7greaterIiEEEEEE10hipError_tPvRmT0_T1_T2_T3_T4_T5_mmT6_P12ihipStream_tbEUlT_E0_NS1_11comp_targetILNS1_3genE0ELNS1_11target_archE4294967295ELNS1_3gpuE0ELNS1_3repE0EEENS1_30default_config_static_selectorELNS0_4arch9wavefront6targetE0EEEvS10_
		.amdhsa_group_segment_fixed_size 0
		.amdhsa_private_segment_fixed_size 0
		.amdhsa_kernarg_size 112
		.amdhsa_user_sgpr_count 6
		.amdhsa_user_sgpr_private_segment_buffer 1
		.amdhsa_user_sgpr_dispatch_ptr 0
		.amdhsa_user_sgpr_queue_ptr 0
		.amdhsa_user_sgpr_kernarg_segment_ptr 1
		.amdhsa_user_sgpr_dispatch_id 0
		.amdhsa_user_sgpr_flat_scratch_init 0
		.amdhsa_user_sgpr_private_segment_size 0
		.amdhsa_wavefront_size32 1
		.amdhsa_uses_dynamic_stack 0
		.amdhsa_system_sgpr_private_segment_wavefront_offset 0
		.amdhsa_system_sgpr_workgroup_id_x 1
		.amdhsa_system_sgpr_workgroup_id_y 0
		.amdhsa_system_sgpr_workgroup_id_z 0
		.amdhsa_system_sgpr_workgroup_info 0
		.amdhsa_system_vgpr_workitem_id 0
		.amdhsa_next_free_vgpr 1
		.amdhsa_next_free_sgpr 1
		.amdhsa_reserve_vcc 0
		.amdhsa_reserve_flat_scratch 0
		.amdhsa_float_round_mode_32 0
		.amdhsa_float_round_mode_16_64 0
		.amdhsa_float_denorm_mode_32 3
		.amdhsa_float_denorm_mode_16_64 3
		.amdhsa_dx10_clamp 1
		.amdhsa_ieee_mode 1
		.amdhsa_fp16_overflow 0
		.amdhsa_workgroup_processor_mode 1
		.amdhsa_memory_ordered 1
		.amdhsa_forward_progress 1
		.amdhsa_shared_vgpr_count 0
		.amdhsa_exception_fp_ieee_invalid_op 0
		.amdhsa_exception_fp_denorm_src 0
		.amdhsa_exception_fp_ieee_div_zero 0
		.amdhsa_exception_fp_ieee_overflow 0
		.amdhsa_exception_fp_ieee_underflow 0
		.amdhsa_exception_fp_ieee_inexact 0
		.amdhsa_exception_int_div_zero 0
	.end_amdhsa_kernel
	.section	.text._ZN7rocprim17ROCPRIM_400000_NS6detail17trampoline_kernelINS0_14default_configENS1_21merge_config_selectorINS0_5tupleIJiiEEENS0_10empty_typeEEEZNS1_10merge_implIS3_NS0_12zip_iteratorINS5_IJN6thrust23THRUST_200600_302600_NS6detail15normal_iteratorINSC_10device_ptrIKiEEEESI_EEEEESK_NSA_INS5_IJNSE_INSF_IiEEEESM_EEEEEPS7_SP_SP_NSC_11hip_rocprim7__merge17predicate_wrapperIiiNSC_7greaterIiEEEEEE10hipError_tPvRmT0_T1_T2_T3_T4_T5_mmT6_P12ihipStream_tbEUlT_E0_NS1_11comp_targetILNS1_3genE0ELNS1_11target_archE4294967295ELNS1_3gpuE0ELNS1_3repE0EEENS1_30default_config_static_selectorELNS0_4arch9wavefront6targetE0EEEvS10_,"axG",@progbits,_ZN7rocprim17ROCPRIM_400000_NS6detail17trampoline_kernelINS0_14default_configENS1_21merge_config_selectorINS0_5tupleIJiiEEENS0_10empty_typeEEEZNS1_10merge_implIS3_NS0_12zip_iteratorINS5_IJN6thrust23THRUST_200600_302600_NS6detail15normal_iteratorINSC_10device_ptrIKiEEEESI_EEEEESK_NSA_INS5_IJNSE_INSF_IiEEEESM_EEEEEPS7_SP_SP_NSC_11hip_rocprim7__merge17predicate_wrapperIiiNSC_7greaterIiEEEEEE10hipError_tPvRmT0_T1_T2_T3_T4_T5_mmT6_P12ihipStream_tbEUlT_E0_NS1_11comp_targetILNS1_3genE0ELNS1_11target_archE4294967295ELNS1_3gpuE0ELNS1_3repE0EEENS1_30default_config_static_selectorELNS0_4arch9wavefront6targetE0EEEvS10_,comdat
.Lfunc_end434:
	.size	_ZN7rocprim17ROCPRIM_400000_NS6detail17trampoline_kernelINS0_14default_configENS1_21merge_config_selectorINS0_5tupleIJiiEEENS0_10empty_typeEEEZNS1_10merge_implIS3_NS0_12zip_iteratorINS5_IJN6thrust23THRUST_200600_302600_NS6detail15normal_iteratorINSC_10device_ptrIKiEEEESI_EEEEESK_NSA_INS5_IJNSE_INSF_IiEEEESM_EEEEEPS7_SP_SP_NSC_11hip_rocprim7__merge17predicate_wrapperIiiNSC_7greaterIiEEEEEE10hipError_tPvRmT0_T1_T2_T3_T4_T5_mmT6_P12ihipStream_tbEUlT_E0_NS1_11comp_targetILNS1_3genE0ELNS1_11target_archE4294967295ELNS1_3gpuE0ELNS1_3repE0EEENS1_30default_config_static_selectorELNS0_4arch9wavefront6targetE0EEEvS10_, .Lfunc_end434-_ZN7rocprim17ROCPRIM_400000_NS6detail17trampoline_kernelINS0_14default_configENS1_21merge_config_selectorINS0_5tupleIJiiEEENS0_10empty_typeEEEZNS1_10merge_implIS3_NS0_12zip_iteratorINS5_IJN6thrust23THRUST_200600_302600_NS6detail15normal_iteratorINSC_10device_ptrIKiEEEESI_EEEEESK_NSA_INS5_IJNSE_INSF_IiEEEESM_EEEEEPS7_SP_SP_NSC_11hip_rocprim7__merge17predicate_wrapperIiiNSC_7greaterIiEEEEEE10hipError_tPvRmT0_T1_T2_T3_T4_T5_mmT6_P12ihipStream_tbEUlT_E0_NS1_11comp_targetILNS1_3genE0ELNS1_11target_archE4294967295ELNS1_3gpuE0ELNS1_3repE0EEENS1_30default_config_static_selectorELNS0_4arch9wavefront6targetE0EEEvS10_
                                        ; -- End function
	.set _ZN7rocprim17ROCPRIM_400000_NS6detail17trampoline_kernelINS0_14default_configENS1_21merge_config_selectorINS0_5tupleIJiiEEENS0_10empty_typeEEEZNS1_10merge_implIS3_NS0_12zip_iteratorINS5_IJN6thrust23THRUST_200600_302600_NS6detail15normal_iteratorINSC_10device_ptrIKiEEEESI_EEEEESK_NSA_INS5_IJNSE_INSF_IiEEEESM_EEEEEPS7_SP_SP_NSC_11hip_rocprim7__merge17predicate_wrapperIiiNSC_7greaterIiEEEEEE10hipError_tPvRmT0_T1_T2_T3_T4_T5_mmT6_P12ihipStream_tbEUlT_E0_NS1_11comp_targetILNS1_3genE0ELNS1_11target_archE4294967295ELNS1_3gpuE0ELNS1_3repE0EEENS1_30default_config_static_selectorELNS0_4arch9wavefront6targetE0EEEvS10_.num_vgpr, 0
	.set _ZN7rocprim17ROCPRIM_400000_NS6detail17trampoline_kernelINS0_14default_configENS1_21merge_config_selectorINS0_5tupleIJiiEEENS0_10empty_typeEEEZNS1_10merge_implIS3_NS0_12zip_iteratorINS5_IJN6thrust23THRUST_200600_302600_NS6detail15normal_iteratorINSC_10device_ptrIKiEEEESI_EEEEESK_NSA_INS5_IJNSE_INSF_IiEEEESM_EEEEEPS7_SP_SP_NSC_11hip_rocprim7__merge17predicate_wrapperIiiNSC_7greaterIiEEEEEE10hipError_tPvRmT0_T1_T2_T3_T4_T5_mmT6_P12ihipStream_tbEUlT_E0_NS1_11comp_targetILNS1_3genE0ELNS1_11target_archE4294967295ELNS1_3gpuE0ELNS1_3repE0EEENS1_30default_config_static_selectorELNS0_4arch9wavefront6targetE0EEEvS10_.num_agpr, 0
	.set _ZN7rocprim17ROCPRIM_400000_NS6detail17trampoline_kernelINS0_14default_configENS1_21merge_config_selectorINS0_5tupleIJiiEEENS0_10empty_typeEEEZNS1_10merge_implIS3_NS0_12zip_iteratorINS5_IJN6thrust23THRUST_200600_302600_NS6detail15normal_iteratorINSC_10device_ptrIKiEEEESI_EEEEESK_NSA_INS5_IJNSE_INSF_IiEEEESM_EEEEEPS7_SP_SP_NSC_11hip_rocprim7__merge17predicate_wrapperIiiNSC_7greaterIiEEEEEE10hipError_tPvRmT0_T1_T2_T3_T4_T5_mmT6_P12ihipStream_tbEUlT_E0_NS1_11comp_targetILNS1_3genE0ELNS1_11target_archE4294967295ELNS1_3gpuE0ELNS1_3repE0EEENS1_30default_config_static_selectorELNS0_4arch9wavefront6targetE0EEEvS10_.numbered_sgpr, 0
	.set _ZN7rocprim17ROCPRIM_400000_NS6detail17trampoline_kernelINS0_14default_configENS1_21merge_config_selectorINS0_5tupleIJiiEEENS0_10empty_typeEEEZNS1_10merge_implIS3_NS0_12zip_iteratorINS5_IJN6thrust23THRUST_200600_302600_NS6detail15normal_iteratorINSC_10device_ptrIKiEEEESI_EEEEESK_NSA_INS5_IJNSE_INSF_IiEEEESM_EEEEEPS7_SP_SP_NSC_11hip_rocprim7__merge17predicate_wrapperIiiNSC_7greaterIiEEEEEE10hipError_tPvRmT0_T1_T2_T3_T4_T5_mmT6_P12ihipStream_tbEUlT_E0_NS1_11comp_targetILNS1_3genE0ELNS1_11target_archE4294967295ELNS1_3gpuE0ELNS1_3repE0EEENS1_30default_config_static_selectorELNS0_4arch9wavefront6targetE0EEEvS10_.num_named_barrier, 0
	.set _ZN7rocprim17ROCPRIM_400000_NS6detail17trampoline_kernelINS0_14default_configENS1_21merge_config_selectorINS0_5tupleIJiiEEENS0_10empty_typeEEEZNS1_10merge_implIS3_NS0_12zip_iteratorINS5_IJN6thrust23THRUST_200600_302600_NS6detail15normal_iteratorINSC_10device_ptrIKiEEEESI_EEEEESK_NSA_INS5_IJNSE_INSF_IiEEEESM_EEEEEPS7_SP_SP_NSC_11hip_rocprim7__merge17predicate_wrapperIiiNSC_7greaterIiEEEEEE10hipError_tPvRmT0_T1_T2_T3_T4_T5_mmT6_P12ihipStream_tbEUlT_E0_NS1_11comp_targetILNS1_3genE0ELNS1_11target_archE4294967295ELNS1_3gpuE0ELNS1_3repE0EEENS1_30default_config_static_selectorELNS0_4arch9wavefront6targetE0EEEvS10_.private_seg_size, 0
	.set _ZN7rocprim17ROCPRIM_400000_NS6detail17trampoline_kernelINS0_14default_configENS1_21merge_config_selectorINS0_5tupleIJiiEEENS0_10empty_typeEEEZNS1_10merge_implIS3_NS0_12zip_iteratorINS5_IJN6thrust23THRUST_200600_302600_NS6detail15normal_iteratorINSC_10device_ptrIKiEEEESI_EEEEESK_NSA_INS5_IJNSE_INSF_IiEEEESM_EEEEEPS7_SP_SP_NSC_11hip_rocprim7__merge17predicate_wrapperIiiNSC_7greaterIiEEEEEE10hipError_tPvRmT0_T1_T2_T3_T4_T5_mmT6_P12ihipStream_tbEUlT_E0_NS1_11comp_targetILNS1_3genE0ELNS1_11target_archE4294967295ELNS1_3gpuE0ELNS1_3repE0EEENS1_30default_config_static_selectorELNS0_4arch9wavefront6targetE0EEEvS10_.uses_vcc, 0
	.set _ZN7rocprim17ROCPRIM_400000_NS6detail17trampoline_kernelINS0_14default_configENS1_21merge_config_selectorINS0_5tupleIJiiEEENS0_10empty_typeEEEZNS1_10merge_implIS3_NS0_12zip_iteratorINS5_IJN6thrust23THRUST_200600_302600_NS6detail15normal_iteratorINSC_10device_ptrIKiEEEESI_EEEEESK_NSA_INS5_IJNSE_INSF_IiEEEESM_EEEEEPS7_SP_SP_NSC_11hip_rocprim7__merge17predicate_wrapperIiiNSC_7greaterIiEEEEEE10hipError_tPvRmT0_T1_T2_T3_T4_T5_mmT6_P12ihipStream_tbEUlT_E0_NS1_11comp_targetILNS1_3genE0ELNS1_11target_archE4294967295ELNS1_3gpuE0ELNS1_3repE0EEENS1_30default_config_static_selectorELNS0_4arch9wavefront6targetE0EEEvS10_.uses_flat_scratch, 0
	.set _ZN7rocprim17ROCPRIM_400000_NS6detail17trampoline_kernelINS0_14default_configENS1_21merge_config_selectorINS0_5tupleIJiiEEENS0_10empty_typeEEEZNS1_10merge_implIS3_NS0_12zip_iteratorINS5_IJN6thrust23THRUST_200600_302600_NS6detail15normal_iteratorINSC_10device_ptrIKiEEEESI_EEEEESK_NSA_INS5_IJNSE_INSF_IiEEEESM_EEEEEPS7_SP_SP_NSC_11hip_rocprim7__merge17predicate_wrapperIiiNSC_7greaterIiEEEEEE10hipError_tPvRmT0_T1_T2_T3_T4_T5_mmT6_P12ihipStream_tbEUlT_E0_NS1_11comp_targetILNS1_3genE0ELNS1_11target_archE4294967295ELNS1_3gpuE0ELNS1_3repE0EEENS1_30default_config_static_selectorELNS0_4arch9wavefront6targetE0EEEvS10_.has_dyn_sized_stack, 0
	.set _ZN7rocprim17ROCPRIM_400000_NS6detail17trampoline_kernelINS0_14default_configENS1_21merge_config_selectorINS0_5tupleIJiiEEENS0_10empty_typeEEEZNS1_10merge_implIS3_NS0_12zip_iteratorINS5_IJN6thrust23THRUST_200600_302600_NS6detail15normal_iteratorINSC_10device_ptrIKiEEEESI_EEEEESK_NSA_INS5_IJNSE_INSF_IiEEEESM_EEEEEPS7_SP_SP_NSC_11hip_rocprim7__merge17predicate_wrapperIiiNSC_7greaterIiEEEEEE10hipError_tPvRmT0_T1_T2_T3_T4_T5_mmT6_P12ihipStream_tbEUlT_E0_NS1_11comp_targetILNS1_3genE0ELNS1_11target_archE4294967295ELNS1_3gpuE0ELNS1_3repE0EEENS1_30default_config_static_selectorELNS0_4arch9wavefront6targetE0EEEvS10_.has_recursion, 0
	.set _ZN7rocprim17ROCPRIM_400000_NS6detail17trampoline_kernelINS0_14default_configENS1_21merge_config_selectorINS0_5tupleIJiiEEENS0_10empty_typeEEEZNS1_10merge_implIS3_NS0_12zip_iteratorINS5_IJN6thrust23THRUST_200600_302600_NS6detail15normal_iteratorINSC_10device_ptrIKiEEEESI_EEEEESK_NSA_INS5_IJNSE_INSF_IiEEEESM_EEEEEPS7_SP_SP_NSC_11hip_rocprim7__merge17predicate_wrapperIiiNSC_7greaterIiEEEEEE10hipError_tPvRmT0_T1_T2_T3_T4_T5_mmT6_P12ihipStream_tbEUlT_E0_NS1_11comp_targetILNS1_3genE0ELNS1_11target_archE4294967295ELNS1_3gpuE0ELNS1_3repE0EEENS1_30default_config_static_selectorELNS0_4arch9wavefront6targetE0EEEvS10_.has_indirect_call, 0
	.section	.AMDGPU.csdata,"",@progbits
; Kernel info:
; codeLenInByte = 0
; TotalNumSgprs: 0
; NumVgprs: 0
; ScratchSize: 0
; MemoryBound: 0
; FloatMode: 240
; IeeeMode: 1
; LDSByteSize: 0 bytes/workgroup (compile time only)
; SGPRBlocks: 0
; VGPRBlocks: 0
; NumSGPRsForWavesPerEU: 1
; NumVGPRsForWavesPerEU: 1
; Occupancy: 16
; WaveLimiterHint : 0
; COMPUTE_PGM_RSRC2:SCRATCH_EN: 0
; COMPUTE_PGM_RSRC2:USER_SGPR: 6
; COMPUTE_PGM_RSRC2:TRAP_HANDLER: 0
; COMPUTE_PGM_RSRC2:TGID_X_EN: 1
; COMPUTE_PGM_RSRC2:TGID_Y_EN: 0
; COMPUTE_PGM_RSRC2:TGID_Z_EN: 0
; COMPUTE_PGM_RSRC2:TIDIG_COMP_CNT: 0
	.section	.text._ZN7rocprim17ROCPRIM_400000_NS6detail17trampoline_kernelINS0_14default_configENS1_21merge_config_selectorINS0_5tupleIJiiEEENS0_10empty_typeEEEZNS1_10merge_implIS3_NS0_12zip_iteratorINS5_IJN6thrust23THRUST_200600_302600_NS6detail15normal_iteratorINSC_10device_ptrIKiEEEESI_EEEEESK_NSA_INS5_IJNSE_INSF_IiEEEESM_EEEEEPS7_SP_SP_NSC_11hip_rocprim7__merge17predicate_wrapperIiiNSC_7greaterIiEEEEEE10hipError_tPvRmT0_T1_T2_T3_T4_T5_mmT6_P12ihipStream_tbEUlT_E0_NS1_11comp_targetILNS1_3genE5ELNS1_11target_archE942ELNS1_3gpuE9ELNS1_3repE0EEENS1_30default_config_static_selectorELNS0_4arch9wavefront6targetE0EEEvS10_,"axG",@progbits,_ZN7rocprim17ROCPRIM_400000_NS6detail17trampoline_kernelINS0_14default_configENS1_21merge_config_selectorINS0_5tupleIJiiEEENS0_10empty_typeEEEZNS1_10merge_implIS3_NS0_12zip_iteratorINS5_IJN6thrust23THRUST_200600_302600_NS6detail15normal_iteratorINSC_10device_ptrIKiEEEESI_EEEEESK_NSA_INS5_IJNSE_INSF_IiEEEESM_EEEEEPS7_SP_SP_NSC_11hip_rocprim7__merge17predicate_wrapperIiiNSC_7greaterIiEEEEEE10hipError_tPvRmT0_T1_T2_T3_T4_T5_mmT6_P12ihipStream_tbEUlT_E0_NS1_11comp_targetILNS1_3genE5ELNS1_11target_archE942ELNS1_3gpuE9ELNS1_3repE0EEENS1_30default_config_static_selectorELNS0_4arch9wavefront6targetE0EEEvS10_,comdat
	.protected	_ZN7rocprim17ROCPRIM_400000_NS6detail17trampoline_kernelINS0_14default_configENS1_21merge_config_selectorINS0_5tupleIJiiEEENS0_10empty_typeEEEZNS1_10merge_implIS3_NS0_12zip_iteratorINS5_IJN6thrust23THRUST_200600_302600_NS6detail15normal_iteratorINSC_10device_ptrIKiEEEESI_EEEEESK_NSA_INS5_IJNSE_INSF_IiEEEESM_EEEEEPS7_SP_SP_NSC_11hip_rocprim7__merge17predicate_wrapperIiiNSC_7greaterIiEEEEEE10hipError_tPvRmT0_T1_T2_T3_T4_T5_mmT6_P12ihipStream_tbEUlT_E0_NS1_11comp_targetILNS1_3genE5ELNS1_11target_archE942ELNS1_3gpuE9ELNS1_3repE0EEENS1_30default_config_static_selectorELNS0_4arch9wavefront6targetE0EEEvS10_ ; -- Begin function _ZN7rocprim17ROCPRIM_400000_NS6detail17trampoline_kernelINS0_14default_configENS1_21merge_config_selectorINS0_5tupleIJiiEEENS0_10empty_typeEEEZNS1_10merge_implIS3_NS0_12zip_iteratorINS5_IJN6thrust23THRUST_200600_302600_NS6detail15normal_iteratorINSC_10device_ptrIKiEEEESI_EEEEESK_NSA_INS5_IJNSE_INSF_IiEEEESM_EEEEEPS7_SP_SP_NSC_11hip_rocprim7__merge17predicate_wrapperIiiNSC_7greaterIiEEEEEE10hipError_tPvRmT0_T1_T2_T3_T4_T5_mmT6_P12ihipStream_tbEUlT_E0_NS1_11comp_targetILNS1_3genE5ELNS1_11target_archE942ELNS1_3gpuE9ELNS1_3repE0EEENS1_30default_config_static_selectorELNS0_4arch9wavefront6targetE0EEEvS10_
	.globl	_ZN7rocprim17ROCPRIM_400000_NS6detail17trampoline_kernelINS0_14default_configENS1_21merge_config_selectorINS0_5tupleIJiiEEENS0_10empty_typeEEEZNS1_10merge_implIS3_NS0_12zip_iteratorINS5_IJN6thrust23THRUST_200600_302600_NS6detail15normal_iteratorINSC_10device_ptrIKiEEEESI_EEEEESK_NSA_INS5_IJNSE_INSF_IiEEEESM_EEEEEPS7_SP_SP_NSC_11hip_rocprim7__merge17predicate_wrapperIiiNSC_7greaterIiEEEEEE10hipError_tPvRmT0_T1_T2_T3_T4_T5_mmT6_P12ihipStream_tbEUlT_E0_NS1_11comp_targetILNS1_3genE5ELNS1_11target_archE942ELNS1_3gpuE9ELNS1_3repE0EEENS1_30default_config_static_selectorELNS0_4arch9wavefront6targetE0EEEvS10_
	.p2align	8
	.type	_ZN7rocprim17ROCPRIM_400000_NS6detail17trampoline_kernelINS0_14default_configENS1_21merge_config_selectorINS0_5tupleIJiiEEENS0_10empty_typeEEEZNS1_10merge_implIS3_NS0_12zip_iteratorINS5_IJN6thrust23THRUST_200600_302600_NS6detail15normal_iteratorINSC_10device_ptrIKiEEEESI_EEEEESK_NSA_INS5_IJNSE_INSF_IiEEEESM_EEEEEPS7_SP_SP_NSC_11hip_rocprim7__merge17predicate_wrapperIiiNSC_7greaterIiEEEEEE10hipError_tPvRmT0_T1_T2_T3_T4_T5_mmT6_P12ihipStream_tbEUlT_E0_NS1_11comp_targetILNS1_3genE5ELNS1_11target_archE942ELNS1_3gpuE9ELNS1_3repE0EEENS1_30default_config_static_selectorELNS0_4arch9wavefront6targetE0EEEvS10_,@function
_ZN7rocprim17ROCPRIM_400000_NS6detail17trampoline_kernelINS0_14default_configENS1_21merge_config_selectorINS0_5tupleIJiiEEENS0_10empty_typeEEEZNS1_10merge_implIS3_NS0_12zip_iteratorINS5_IJN6thrust23THRUST_200600_302600_NS6detail15normal_iteratorINSC_10device_ptrIKiEEEESI_EEEEESK_NSA_INS5_IJNSE_INSF_IiEEEESM_EEEEEPS7_SP_SP_NSC_11hip_rocprim7__merge17predicate_wrapperIiiNSC_7greaterIiEEEEEE10hipError_tPvRmT0_T1_T2_T3_T4_T5_mmT6_P12ihipStream_tbEUlT_E0_NS1_11comp_targetILNS1_3genE5ELNS1_11target_archE942ELNS1_3gpuE9ELNS1_3repE0EEENS1_30default_config_static_selectorELNS0_4arch9wavefront6targetE0EEEvS10_: ; @_ZN7rocprim17ROCPRIM_400000_NS6detail17trampoline_kernelINS0_14default_configENS1_21merge_config_selectorINS0_5tupleIJiiEEENS0_10empty_typeEEEZNS1_10merge_implIS3_NS0_12zip_iteratorINS5_IJN6thrust23THRUST_200600_302600_NS6detail15normal_iteratorINSC_10device_ptrIKiEEEESI_EEEEESK_NSA_INS5_IJNSE_INSF_IiEEEESM_EEEEEPS7_SP_SP_NSC_11hip_rocprim7__merge17predicate_wrapperIiiNSC_7greaterIiEEEEEE10hipError_tPvRmT0_T1_T2_T3_T4_T5_mmT6_P12ihipStream_tbEUlT_E0_NS1_11comp_targetILNS1_3genE5ELNS1_11target_archE942ELNS1_3gpuE9ELNS1_3repE0EEENS1_30default_config_static_selectorELNS0_4arch9wavefront6targetE0EEEvS10_
; %bb.0:
	.section	.rodata,"a",@progbits
	.p2align	6, 0x0
	.amdhsa_kernel _ZN7rocprim17ROCPRIM_400000_NS6detail17trampoline_kernelINS0_14default_configENS1_21merge_config_selectorINS0_5tupleIJiiEEENS0_10empty_typeEEEZNS1_10merge_implIS3_NS0_12zip_iteratorINS5_IJN6thrust23THRUST_200600_302600_NS6detail15normal_iteratorINSC_10device_ptrIKiEEEESI_EEEEESK_NSA_INS5_IJNSE_INSF_IiEEEESM_EEEEEPS7_SP_SP_NSC_11hip_rocprim7__merge17predicate_wrapperIiiNSC_7greaterIiEEEEEE10hipError_tPvRmT0_T1_T2_T3_T4_T5_mmT6_P12ihipStream_tbEUlT_E0_NS1_11comp_targetILNS1_3genE5ELNS1_11target_archE942ELNS1_3gpuE9ELNS1_3repE0EEENS1_30default_config_static_selectorELNS0_4arch9wavefront6targetE0EEEvS10_
		.amdhsa_group_segment_fixed_size 0
		.amdhsa_private_segment_fixed_size 0
		.amdhsa_kernarg_size 112
		.amdhsa_user_sgpr_count 6
		.amdhsa_user_sgpr_private_segment_buffer 1
		.amdhsa_user_sgpr_dispatch_ptr 0
		.amdhsa_user_sgpr_queue_ptr 0
		.amdhsa_user_sgpr_kernarg_segment_ptr 1
		.amdhsa_user_sgpr_dispatch_id 0
		.amdhsa_user_sgpr_flat_scratch_init 0
		.amdhsa_user_sgpr_private_segment_size 0
		.amdhsa_wavefront_size32 1
		.amdhsa_uses_dynamic_stack 0
		.amdhsa_system_sgpr_private_segment_wavefront_offset 0
		.amdhsa_system_sgpr_workgroup_id_x 1
		.amdhsa_system_sgpr_workgroup_id_y 0
		.amdhsa_system_sgpr_workgroup_id_z 0
		.amdhsa_system_sgpr_workgroup_info 0
		.amdhsa_system_vgpr_workitem_id 0
		.amdhsa_next_free_vgpr 1
		.amdhsa_next_free_sgpr 1
		.amdhsa_reserve_vcc 0
		.amdhsa_reserve_flat_scratch 0
		.amdhsa_float_round_mode_32 0
		.amdhsa_float_round_mode_16_64 0
		.amdhsa_float_denorm_mode_32 3
		.amdhsa_float_denorm_mode_16_64 3
		.amdhsa_dx10_clamp 1
		.amdhsa_ieee_mode 1
		.amdhsa_fp16_overflow 0
		.amdhsa_workgroup_processor_mode 1
		.amdhsa_memory_ordered 1
		.amdhsa_forward_progress 1
		.amdhsa_shared_vgpr_count 0
		.amdhsa_exception_fp_ieee_invalid_op 0
		.amdhsa_exception_fp_denorm_src 0
		.amdhsa_exception_fp_ieee_div_zero 0
		.amdhsa_exception_fp_ieee_overflow 0
		.amdhsa_exception_fp_ieee_underflow 0
		.amdhsa_exception_fp_ieee_inexact 0
		.amdhsa_exception_int_div_zero 0
	.end_amdhsa_kernel
	.section	.text._ZN7rocprim17ROCPRIM_400000_NS6detail17trampoline_kernelINS0_14default_configENS1_21merge_config_selectorINS0_5tupleIJiiEEENS0_10empty_typeEEEZNS1_10merge_implIS3_NS0_12zip_iteratorINS5_IJN6thrust23THRUST_200600_302600_NS6detail15normal_iteratorINSC_10device_ptrIKiEEEESI_EEEEESK_NSA_INS5_IJNSE_INSF_IiEEEESM_EEEEEPS7_SP_SP_NSC_11hip_rocprim7__merge17predicate_wrapperIiiNSC_7greaterIiEEEEEE10hipError_tPvRmT0_T1_T2_T3_T4_T5_mmT6_P12ihipStream_tbEUlT_E0_NS1_11comp_targetILNS1_3genE5ELNS1_11target_archE942ELNS1_3gpuE9ELNS1_3repE0EEENS1_30default_config_static_selectorELNS0_4arch9wavefront6targetE0EEEvS10_,"axG",@progbits,_ZN7rocprim17ROCPRIM_400000_NS6detail17trampoline_kernelINS0_14default_configENS1_21merge_config_selectorINS0_5tupleIJiiEEENS0_10empty_typeEEEZNS1_10merge_implIS3_NS0_12zip_iteratorINS5_IJN6thrust23THRUST_200600_302600_NS6detail15normal_iteratorINSC_10device_ptrIKiEEEESI_EEEEESK_NSA_INS5_IJNSE_INSF_IiEEEESM_EEEEEPS7_SP_SP_NSC_11hip_rocprim7__merge17predicate_wrapperIiiNSC_7greaterIiEEEEEE10hipError_tPvRmT0_T1_T2_T3_T4_T5_mmT6_P12ihipStream_tbEUlT_E0_NS1_11comp_targetILNS1_3genE5ELNS1_11target_archE942ELNS1_3gpuE9ELNS1_3repE0EEENS1_30default_config_static_selectorELNS0_4arch9wavefront6targetE0EEEvS10_,comdat
.Lfunc_end435:
	.size	_ZN7rocprim17ROCPRIM_400000_NS6detail17trampoline_kernelINS0_14default_configENS1_21merge_config_selectorINS0_5tupleIJiiEEENS0_10empty_typeEEEZNS1_10merge_implIS3_NS0_12zip_iteratorINS5_IJN6thrust23THRUST_200600_302600_NS6detail15normal_iteratorINSC_10device_ptrIKiEEEESI_EEEEESK_NSA_INS5_IJNSE_INSF_IiEEEESM_EEEEEPS7_SP_SP_NSC_11hip_rocprim7__merge17predicate_wrapperIiiNSC_7greaterIiEEEEEE10hipError_tPvRmT0_T1_T2_T3_T4_T5_mmT6_P12ihipStream_tbEUlT_E0_NS1_11comp_targetILNS1_3genE5ELNS1_11target_archE942ELNS1_3gpuE9ELNS1_3repE0EEENS1_30default_config_static_selectorELNS0_4arch9wavefront6targetE0EEEvS10_, .Lfunc_end435-_ZN7rocprim17ROCPRIM_400000_NS6detail17trampoline_kernelINS0_14default_configENS1_21merge_config_selectorINS0_5tupleIJiiEEENS0_10empty_typeEEEZNS1_10merge_implIS3_NS0_12zip_iteratorINS5_IJN6thrust23THRUST_200600_302600_NS6detail15normal_iteratorINSC_10device_ptrIKiEEEESI_EEEEESK_NSA_INS5_IJNSE_INSF_IiEEEESM_EEEEEPS7_SP_SP_NSC_11hip_rocprim7__merge17predicate_wrapperIiiNSC_7greaterIiEEEEEE10hipError_tPvRmT0_T1_T2_T3_T4_T5_mmT6_P12ihipStream_tbEUlT_E0_NS1_11comp_targetILNS1_3genE5ELNS1_11target_archE942ELNS1_3gpuE9ELNS1_3repE0EEENS1_30default_config_static_selectorELNS0_4arch9wavefront6targetE0EEEvS10_
                                        ; -- End function
	.set _ZN7rocprim17ROCPRIM_400000_NS6detail17trampoline_kernelINS0_14default_configENS1_21merge_config_selectorINS0_5tupleIJiiEEENS0_10empty_typeEEEZNS1_10merge_implIS3_NS0_12zip_iteratorINS5_IJN6thrust23THRUST_200600_302600_NS6detail15normal_iteratorINSC_10device_ptrIKiEEEESI_EEEEESK_NSA_INS5_IJNSE_INSF_IiEEEESM_EEEEEPS7_SP_SP_NSC_11hip_rocprim7__merge17predicate_wrapperIiiNSC_7greaterIiEEEEEE10hipError_tPvRmT0_T1_T2_T3_T4_T5_mmT6_P12ihipStream_tbEUlT_E0_NS1_11comp_targetILNS1_3genE5ELNS1_11target_archE942ELNS1_3gpuE9ELNS1_3repE0EEENS1_30default_config_static_selectorELNS0_4arch9wavefront6targetE0EEEvS10_.num_vgpr, 0
	.set _ZN7rocprim17ROCPRIM_400000_NS6detail17trampoline_kernelINS0_14default_configENS1_21merge_config_selectorINS0_5tupleIJiiEEENS0_10empty_typeEEEZNS1_10merge_implIS3_NS0_12zip_iteratorINS5_IJN6thrust23THRUST_200600_302600_NS6detail15normal_iteratorINSC_10device_ptrIKiEEEESI_EEEEESK_NSA_INS5_IJNSE_INSF_IiEEEESM_EEEEEPS7_SP_SP_NSC_11hip_rocprim7__merge17predicate_wrapperIiiNSC_7greaterIiEEEEEE10hipError_tPvRmT0_T1_T2_T3_T4_T5_mmT6_P12ihipStream_tbEUlT_E0_NS1_11comp_targetILNS1_3genE5ELNS1_11target_archE942ELNS1_3gpuE9ELNS1_3repE0EEENS1_30default_config_static_selectorELNS0_4arch9wavefront6targetE0EEEvS10_.num_agpr, 0
	.set _ZN7rocprim17ROCPRIM_400000_NS6detail17trampoline_kernelINS0_14default_configENS1_21merge_config_selectorINS0_5tupleIJiiEEENS0_10empty_typeEEEZNS1_10merge_implIS3_NS0_12zip_iteratorINS5_IJN6thrust23THRUST_200600_302600_NS6detail15normal_iteratorINSC_10device_ptrIKiEEEESI_EEEEESK_NSA_INS5_IJNSE_INSF_IiEEEESM_EEEEEPS7_SP_SP_NSC_11hip_rocprim7__merge17predicate_wrapperIiiNSC_7greaterIiEEEEEE10hipError_tPvRmT0_T1_T2_T3_T4_T5_mmT6_P12ihipStream_tbEUlT_E0_NS1_11comp_targetILNS1_3genE5ELNS1_11target_archE942ELNS1_3gpuE9ELNS1_3repE0EEENS1_30default_config_static_selectorELNS0_4arch9wavefront6targetE0EEEvS10_.numbered_sgpr, 0
	.set _ZN7rocprim17ROCPRIM_400000_NS6detail17trampoline_kernelINS0_14default_configENS1_21merge_config_selectorINS0_5tupleIJiiEEENS0_10empty_typeEEEZNS1_10merge_implIS3_NS0_12zip_iteratorINS5_IJN6thrust23THRUST_200600_302600_NS6detail15normal_iteratorINSC_10device_ptrIKiEEEESI_EEEEESK_NSA_INS5_IJNSE_INSF_IiEEEESM_EEEEEPS7_SP_SP_NSC_11hip_rocprim7__merge17predicate_wrapperIiiNSC_7greaterIiEEEEEE10hipError_tPvRmT0_T1_T2_T3_T4_T5_mmT6_P12ihipStream_tbEUlT_E0_NS1_11comp_targetILNS1_3genE5ELNS1_11target_archE942ELNS1_3gpuE9ELNS1_3repE0EEENS1_30default_config_static_selectorELNS0_4arch9wavefront6targetE0EEEvS10_.num_named_barrier, 0
	.set _ZN7rocprim17ROCPRIM_400000_NS6detail17trampoline_kernelINS0_14default_configENS1_21merge_config_selectorINS0_5tupleIJiiEEENS0_10empty_typeEEEZNS1_10merge_implIS3_NS0_12zip_iteratorINS5_IJN6thrust23THRUST_200600_302600_NS6detail15normal_iteratorINSC_10device_ptrIKiEEEESI_EEEEESK_NSA_INS5_IJNSE_INSF_IiEEEESM_EEEEEPS7_SP_SP_NSC_11hip_rocprim7__merge17predicate_wrapperIiiNSC_7greaterIiEEEEEE10hipError_tPvRmT0_T1_T2_T3_T4_T5_mmT6_P12ihipStream_tbEUlT_E0_NS1_11comp_targetILNS1_3genE5ELNS1_11target_archE942ELNS1_3gpuE9ELNS1_3repE0EEENS1_30default_config_static_selectorELNS0_4arch9wavefront6targetE0EEEvS10_.private_seg_size, 0
	.set _ZN7rocprim17ROCPRIM_400000_NS6detail17trampoline_kernelINS0_14default_configENS1_21merge_config_selectorINS0_5tupleIJiiEEENS0_10empty_typeEEEZNS1_10merge_implIS3_NS0_12zip_iteratorINS5_IJN6thrust23THRUST_200600_302600_NS6detail15normal_iteratorINSC_10device_ptrIKiEEEESI_EEEEESK_NSA_INS5_IJNSE_INSF_IiEEEESM_EEEEEPS7_SP_SP_NSC_11hip_rocprim7__merge17predicate_wrapperIiiNSC_7greaterIiEEEEEE10hipError_tPvRmT0_T1_T2_T3_T4_T5_mmT6_P12ihipStream_tbEUlT_E0_NS1_11comp_targetILNS1_3genE5ELNS1_11target_archE942ELNS1_3gpuE9ELNS1_3repE0EEENS1_30default_config_static_selectorELNS0_4arch9wavefront6targetE0EEEvS10_.uses_vcc, 0
	.set _ZN7rocprim17ROCPRIM_400000_NS6detail17trampoline_kernelINS0_14default_configENS1_21merge_config_selectorINS0_5tupleIJiiEEENS0_10empty_typeEEEZNS1_10merge_implIS3_NS0_12zip_iteratorINS5_IJN6thrust23THRUST_200600_302600_NS6detail15normal_iteratorINSC_10device_ptrIKiEEEESI_EEEEESK_NSA_INS5_IJNSE_INSF_IiEEEESM_EEEEEPS7_SP_SP_NSC_11hip_rocprim7__merge17predicate_wrapperIiiNSC_7greaterIiEEEEEE10hipError_tPvRmT0_T1_T2_T3_T4_T5_mmT6_P12ihipStream_tbEUlT_E0_NS1_11comp_targetILNS1_3genE5ELNS1_11target_archE942ELNS1_3gpuE9ELNS1_3repE0EEENS1_30default_config_static_selectorELNS0_4arch9wavefront6targetE0EEEvS10_.uses_flat_scratch, 0
	.set _ZN7rocprim17ROCPRIM_400000_NS6detail17trampoline_kernelINS0_14default_configENS1_21merge_config_selectorINS0_5tupleIJiiEEENS0_10empty_typeEEEZNS1_10merge_implIS3_NS0_12zip_iteratorINS5_IJN6thrust23THRUST_200600_302600_NS6detail15normal_iteratorINSC_10device_ptrIKiEEEESI_EEEEESK_NSA_INS5_IJNSE_INSF_IiEEEESM_EEEEEPS7_SP_SP_NSC_11hip_rocprim7__merge17predicate_wrapperIiiNSC_7greaterIiEEEEEE10hipError_tPvRmT0_T1_T2_T3_T4_T5_mmT6_P12ihipStream_tbEUlT_E0_NS1_11comp_targetILNS1_3genE5ELNS1_11target_archE942ELNS1_3gpuE9ELNS1_3repE0EEENS1_30default_config_static_selectorELNS0_4arch9wavefront6targetE0EEEvS10_.has_dyn_sized_stack, 0
	.set _ZN7rocprim17ROCPRIM_400000_NS6detail17trampoline_kernelINS0_14default_configENS1_21merge_config_selectorINS0_5tupleIJiiEEENS0_10empty_typeEEEZNS1_10merge_implIS3_NS0_12zip_iteratorINS5_IJN6thrust23THRUST_200600_302600_NS6detail15normal_iteratorINSC_10device_ptrIKiEEEESI_EEEEESK_NSA_INS5_IJNSE_INSF_IiEEEESM_EEEEEPS7_SP_SP_NSC_11hip_rocprim7__merge17predicate_wrapperIiiNSC_7greaterIiEEEEEE10hipError_tPvRmT0_T1_T2_T3_T4_T5_mmT6_P12ihipStream_tbEUlT_E0_NS1_11comp_targetILNS1_3genE5ELNS1_11target_archE942ELNS1_3gpuE9ELNS1_3repE0EEENS1_30default_config_static_selectorELNS0_4arch9wavefront6targetE0EEEvS10_.has_recursion, 0
	.set _ZN7rocprim17ROCPRIM_400000_NS6detail17trampoline_kernelINS0_14default_configENS1_21merge_config_selectorINS0_5tupleIJiiEEENS0_10empty_typeEEEZNS1_10merge_implIS3_NS0_12zip_iteratorINS5_IJN6thrust23THRUST_200600_302600_NS6detail15normal_iteratorINSC_10device_ptrIKiEEEESI_EEEEESK_NSA_INS5_IJNSE_INSF_IiEEEESM_EEEEEPS7_SP_SP_NSC_11hip_rocprim7__merge17predicate_wrapperIiiNSC_7greaterIiEEEEEE10hipError_tPvRmT0_T1_T2_T3_T4_T5_mmT6_P12ihipStream_tbEUlT_E0_NS1_11comp_targetILNS1_3genE5ELNS1_11target_archE942ELNS1_3gpuE9ELNS1_3repE0EEENS1_30default_config_static_selectorELNS0_4arch9wavefront6targetE0EEEvS10_.has_indirect_call, 0
	.section	.AMDGPU.csdata,"",@progbits
; Kernel info:
; codeLenInByte = 0
; TotalNumSgprs: 0
; NumVgprs: 0
; ScratchSize: 0
; MemoryBound: 0
; FloatMode: 240
; IeeeMode: 1
; LDSByteSize: 0 bytes/workgroup (compile time only)
; SGPRBlocks: 0
; VGPRBlocks: 0
; NumSGPRsForWavesPerEU: 1
; NumVGPRsForWavesPerEU: 1
; Occupancy: 16
; WaveLimiterHint : 0
; COMPUTE_PGM_RSRC2:SCRATCH_EN: 0
; COMPUTE_PGM_RSRC2:USER_SGPR: 6
; COMPUTE_PGM_RSRC2:TRAP_HANDLER: 0
; COMPUTE_PGM_RSRC2:TGID_X_EN: 1
; COMPUTE_PGM_RSRC2:TGID_Y_EN: 0
; COMPUTE_PGM_RSRC2:TGID_Z_EN: 0
; COMPUTE_PGM_RSRC2:TIDIG_COMP_CNT: 0
	.section	.text._ZN7rocprim17ROCPRIM_400000_NS6detail17trampoline_kernelINS0_14default_configENS1_21merge_config_selectorINS0_5tupleIJiiEEENS0_10empty_typeEEEZNS1_10merge_implIS3_NS0_12zip_iteratorINS5_IJN6thrust23THRUST_200600_302600_NS6detail15normal_iteratorINSC_10device_ptrIKiEEEESI_EEEEESK_NSA_INS5_IJNSE_INSF_IiEEEESM_EEEEEPS7_SP_SP_NSC_11hip_rocprim7__merge17predicate_wrapperIiiNSC_7greaterIiEEEEEE10hipError_tPvRmT0_T1_T2_T3_T4_T5_mmT6_P12ihipStream_tbEUlT_E0_NS1_11comp_targetILNS1_3genE4ELNS1_11target_archE910ELNS1_3gpuE8ELNS1_3repE0EEENS1_30default_config_static_selectorELNS0_4arch9wavefront6targetE0EEEvS10_,"axG",@progbits,_ZN7rocprim17ROCPRIM_400000_NS6detail17trampoline_kernelINS0_14default_configENS1_21merge_config_selectorINS0_5tupleIJiiEEENS0_10empty_typeEEEZNS1_10merge_implIS3_NS0_12zip_iteratorINS5_IJN6thrust23THRUST_200600_302600_NS6detail15normal_iteratorINSC_10device_ptrIKiEEEESI_EEEEESK_NSA_INS5_IJNSE_INSF_IiEEEESM_EEEEEPS7_SP_SP_NSC_11hip_rocprim7__merge17predicate_wrapperIiiNSC_7greaterIiEEEEEE10hipError_tPvRmT0_T1_T2_T3_T4_T5_mmT6_P12ihipStream_tbEUlT_E0_NS1_11comp_targetILNS1_3genE4ELNS1_11target_archE910ELNS1_3gpuE8ELNS1_3repE0EEENS1_30default_config_static_selectorELNS0_4arch9wavefront6targetE0EEEvS10_,comdat
	.protected	_ZN7rocprim17ROCPRIM_400000_NS6detail17trampoline_kernelINS0_14default_configENS1_21merge_config_selectorINS0_5tupleIJiiEEENS0_10empty_typeEEEZNS1_10merge_implIS3_NS0_12zip_iteratorINS5_IJN6thrust23THRUST_200600_302600_NS6detail15normal_iteratorINSC_10device_ptrIKiEEEESI_EEEEESK_NSA_INS5_IJNSE_INSF_IiEEEESM_EEEEEPS7_SP_SP_NSC_11hip_rocprim7__merge17predicate_wrapperIiiNSC_7greaterIiEEEEEE10hipError_tPvRmT0_T1_T2_T3_T4_T5_mmT6_P12ihipStream_tbEUlT_E0_NS1_11comp_targetILNS1_3genE4ELNS1_11target_archE910ELNS1_3gpuE8ELNS1_3repE0EEENS1_30default_config_static_selectorELNS0_4arch9wavefront6targetE0EEEvS10_ ; -- Begin function _ZN7rocprim17ROCPRIM_400000_NS6detail17trampoline_kernelINS0_14default_configENS1_21merge_config_selectorINS0_5tupleIJiiEEENS0_10empty_typeEEEZNS1_10merge_implIS3_NS0_12zip_iteratorINS5_IJN6thrust23THRUST_200600_302600_NS6detail15normal_iteratorINSC_10device_ptrIKiEEEESI_EEEEESK_NSA_INS5_IJNSE_INSF_IiEEEESM_EEEEEPS7_SP_SP_NSC_11hip_rocprim7__merge17predicate_wrapperIiiNSC_7greaterIiEEEEEE10hipError_tPvRmT0_T1_T2_T3_T4_T5_mmT6_P12ihipStream_tbEUlT_E0_NS1_11comp_targetILNS1_3genE4ELNS1_11target_archE910ELNS1_3gpuE8ELNS1_3repE0EEENS1_30default_config_static_selectorELNS0_4arch9wavefront6targetE0EEEvS10_
	.globl	_ZN7rocprim17ROCPRIM_400000_NS6detail17trampoline_kernelINS0_14default_configENS1_21merge_config_selectorINS0_5tupleIJiiEEENS0_10empty_typeEEEZNS1_10merge_implIS3_NS0_12zip_iteratorINS5_IJN6thrust23THRUST_200600_302600_NS6detail15normal_iteratorINSC_10device_ptrIKiEEEESI_EEEEESK_NSA_INS5_IJNSE_INSF_IiEEEESM_EEEEEPS7_SP_SP_NSC_11hip_rocprim7__merge17predicate_wrapperIiiNSC_7greaterIiEEEEEE10hipError_tPvRmT0_T1_T2_T3_T4_T5_mmT6_P12ihipStream_tbEUlT_E0_NS1_11comp_targetILNS1_3genE4ELNS1_11target_archE910ELNS1_3gpuE8ELNS1_3repE0EEENS1_30default_config_static_selectorELNS0_4arch9wavefront6targetE0EEEvS10_
	.p2align	8
	.type	_ZN7rocprim17ROCPRIM_400000_NS6detail17trampoline_kernelINS0_14default_configENS1_21merge_config_selectorINS0_5tupleIJiiEEENS0_10empty_typeEEEZNS1_10merge_implIS3_NS0_12zip_iteratorINS5_IJN6thrust23THRUST_200600_302600_NS6detail15normal_iteratorINSC_10device_ptrIKiEEEESI_EEEEESK_NSA_INS5_IJNSE_INSF_IiEEEESM_EEEEEPS7_SP_SP_NSC_11hip_rocprim7__merge17predicate_wrapperIiiNSC_7greaterIiEEEEEE10hipError_tPvRmT0_T1_T2_T3_T4_T5_mmT6_P12ihipStream_tbEUlT_E0_NS1_11comp_targetILNS1_3genE4ELNS1_11target_archE910ELNS1_3gpuE8ELNS1_3repE0EEENS1_30default_config_static_selectorELNS0_4arch9wavefront6targetE0EEEvS10_,@function
_ZN7rocprim17ROCPRIM_400000_NS6detail17trampoline_kernelINS0_14default_configENS1_21merge_config_selectorINS0_5tupleIJiiEEENS0_10empty_typeEEEZNS1_10merge_implIS3_NS0_12zip_iteratorINS5_IJN6thrust23THRUST_200600_302600_NS6detail15normal_iteratorINSC_10device_ptrIKiEEEESI_EEEEESK_NSA_INS5_IJNSE_INSF_IiEEEESM_EEEEEPS7_SP_SP_NSC_11hip_rocprim7__merge17predicate_wrapperIiiNSC_7greaterIiEEEEEE10hipError_tPvRmT0_T1_T2_T3_T4_T5_mmT6_P12ihipStream_tbEUlT_E0_NS1_11comp_targetILNS1_3genE4ELNS1_11target_archE910ELNS1_3gpuE8ELNS1_3repE0EEENS1_30default_config_static_selectorELNS0_4arch9wavefront6targetE0EEEvS10_: ; @_ZN7rocprim17ROCPRIM_400000_NS6detail17trampoline_kernelINS0_14default_configENS1_21merge_config_selectorINS0_5tupleIJiiEEENS0_10empty_typeEEEZNS1_10merge_implIS3_NS0_12zip_iteratorINS5_IJN6thrust23THRUST_200600_302600_NS6detail15normal_iteratorINSC_10device_ptrIKiEEEESI_EEEEESK_NSA_INS5_IJNSE_INSF_IiEEEESM_EEEEEPS7_SP_SP_NSC_11hip_rocprim7__merge17predicate_wrapperIiiNSC_7greaterIiEEEEEE10hipError_tPvRmT0_T1_T2_T3_T4_T5_mmT6_P12ihipStream_tbEUlT_E0_NS1_11comp_targetILNS1_3genE4ELNS1_11target_archE910ELNS1_3gpuE8ELNS1_3repE0EEENS1_30default_config_static_selectorELNS0_4arch9wavefront6targetE0EEEvS10_
; %bb.0:
	.section	.rodata,"a",@progbits
	.p2align	6, 0x0
	.amdhsa_kernel _ZN7rocprim17ROCPRIM_400000_NS6detail17trampoline_kernelINS0_14default_configENS1_21merge_config_selectorINS0_5tupleIJiiEEENS0_10empty_typeEEEZNS1_10merge_implIS3_NS0_12zip_iteratorINS5_IJN6thrust23THRUST_200600_302600_NS6detail15normal_iteratorINSC_10device_ptrIKiEEEESI_EEEEESK_NSA_INS5_IJNSE_INSF_IiEEEESM_EEEEEPS7_SP_SP_NSC_11hip_rocprim7__merge17predicate_wrapperIiiNSC_7greaterIiEEEEEE10hipError_tPvRmT0_T1_T2_T3_T4_T5_mmT6_P12ihipStream_tbEUlT_E0_NS1_11comp_targetILNS1_3genE4ELNS1_11target_archE910ELNS1_3gpuE8ELNS1_3repE0EEENS1_30default_config_static_selectorELNS0_4arch9wavefront6targetE0EEEvS10_
		.amdhsa_group_segment_fixed_size 0
		.amdhsa_private_segment_fixed_size 0
		.amdhsa_kernarg_size 112
		.amdhsa_user_sgpr_count 6
		.amdhsa_user_sgpr_private_segment_buffer 1
		.amdhsa_user_sgpr_dispatch_ptr 0
		.amdhsa_user_sgpr_queue_ptr 0
		.amdhsa_user_sgpr_kernarg_segment_ptr 1
		.amdhsa_user_sgpr_dispatch_id 0
		.amdhsa_user_sgpr_flat_scratch_init 0
		.amdhsa_user_sgpr_private_segment_size 0
		.amdhsa_wavefront_size32 1
		.amdhsa_uses_dynamic_stack 0
		.amdhsa_system_sgpr_private_segment_wavefront_offset 0
		.amdhsa_system_sgpr_workgroup_id_x 1
		.amdhsa_system_sgpr_workgroup_id_y 0
		.amdhsa_system_sgpr_workgroup_id_z 0
		.amdhsa_system_sgpr_workgroup_info 0
		.amdhsa_system_vgpr_workitem_id 0
		.amdhsa_next_free_vgpr 1
		.amdhsa_next_free_sgpr 1
		.amdhsa_reserve_vcc 0
		.amdhsa_reserve_flat_scratch 0
		.amdhsa_float_round_mode_32 0
		.amdhsa_float_round_mode_16_64 0
		.amdhsa_float_denorm_mode_32 3
		.amdhsa_float_denorm_mode_16_64 3
		.amdhsa_dx10_clamp 1
		.amdhsa_ieee_mode 1
		.amdhsa_fp16_overflow 0
		.amdhsa_workgroup_processor_mode 1
		.amdhsa_memory_ordered 1
		.amdhsa_forward_progress 1
		.amdhsa_shared_vgpr_count 0
		.amdhsa_exception_fp_ieee_invalid_op 0
		.amdhsa_exception_fp_denorm_src 0
		.amdhsa_exception_fp_ieee_div_zero 0
		.amdhsa_exception_fp_ieee_overflow 0
		.amdhsa_exception_fp_ieee_underflow 0
		.amdhsa_exception_fp_ieee_inexact 0
		.amdhsa_exception_int_div_zero 0
	.end_amdhsa_kernel
	.section	.text._ZN7rocprim17ROCPRIM_400000_NS6detail17trampoline_kernelINS0_14default_configENS1_21merge_config_selectorINS0_5tupleIJiiEEENS0_10empty_typeEEEZNS1_10merge_implIS3_NS0_12zip_iteratorINS5_IJN6thrust23THRUST_200600_302600_NS6detail15normal_iteratorINSC_10device_ptrIKiEEEESI_EEEEESK_NSA_INS5_IJNSE_INSF_IiEEEESM_EEEEEPS7_SP_SP_NSC_11hip_rocprim7__merge17predicate_wrapperIiiNSC_7greaterIiEEEEEE10hipError_tPvRmT0_T1_T2_T3_T4_T5_mmT6_P12ihipStream_tbEUlT_E0_NS1_11comp_targetILNS1_3genE4ELNS1_11target_archE910ELNS1_3gpuE8ELNS1_3repE0EEENS1_30default_config_static_selectorELNS0_4arch9wavefront6targetE0EEEvS10_,"axG",@progbits,_ZN7rocprim17ROCPRIM_400000_NS6detail17trampoline_kernelINS0_14default_configENS1_21merge_config_selectorINS0_5tupleIJiiEEENS0_10empty_typeEEEZNS1_10merge_implIS3_NS0_12zip_iteratorINS5_IJN6thrust23THRUST_200600_302600_NS6detail15normal_iteratorINSC_10device_ptrIKiEEEESI_EEEEESK_NSA_INS5_IJNSE_INSF_IiEEEESM_EEEEEPS7_SP_SP_NSC_11hip_rocprim7__merge17predicate_wrapperIiiNSC_7greaterIiEEEEEE10hipError_tPvRmT0_T1_T2_T3_T4_T5_mmT6_P12ihipStream_tbEUlT_E0_NS1_11comp_targetILNS1_3genE4ELNS1_11target_archE910ELNS1_3gpuE8ELNS1_3repE0EEENS1_30default_config_static_selectorELNS0_4arch9wavefront6targetE0EEEvS10_,comdat
.Lfunc_end436:
	.size	_ZN7rocprim17ROCPRIM_400000_NS6detail17trampoline_kernelINS0_14default_configENS1_21merge_config_selectorINS0_5tupleIJiiEEENS0_10empty_typeEEEZNS1_10merge_implIS3_NS0_12zip_iteratorINS5_IJN6thrust23THRUST_200600_302600_NS6detail15normal_iteratorINSC_10device_ptrIKiEEEESI_EEEEESK_NSA_INS5_IJNSE_INSF_IiEEEESM_EEEEEPS7_SP_SP_NSC_11hip_rocprim7__merge17predicate_wrapperIiiNSC_7greaterIiEEEEEE10hipError_tPvRmT0_T1_T2_T3_T4_T5_mmT6_P12ihipStream_tbEUlT_E0_NS1_11comp_targetILNS1_3genE4ELNS1_11target_archE910ELNS1_3gpuE8ELNS1_3repE0EEENS1_30default_config_static_selectorELNS0_4arch9wavefront6targetE0EEEvS10_, .Lfunc_end436-_ZN7rocprim17ROCPRIM_400000_NS6detail17trampoline_kernelINS0_14default_configENS1_21merge_config_selectorINS0_5tupleIJiiEEENS0_10empty_typeEEEZNS1_10merge_implIS3_NS0_12zip_iteratorINS5_IJN6thrust23THRUST_200600_302600_NS6detail15normal_iteratorINSC_10device_ptrIKiEEEESI_EEEEESK_NSA_INS5_IJNSE_INSF_IiEEEESM_EEEEEPS7_SP_SP_NSC_11hip_rocprim7__merge17predicate_wrapperIiiNSC_7greaterIiEEEEEE10hipError_tPvRmT0_T1_T2_T3_T4_T5_mmT6_P12ihipStream_tbEUlT_E0_NS1_11comp_targetILNS1_3genE4ELNS1_11target_archE910ELNS1_3gpuE8ELNS1_3repE0EEENS1_30default_config_static_selectorELNS0_4arch9wavefront6targetE0EEEvS10_
                                        ; -- End function
	.set _ZN7rocprim17ROCPRIM_400000_NS6detail17trampoline_kernelINS0_14default_configENS1_21merge_config_selectorINS0_5tupleIJiiEEENS0_10empty_typeEEEZNS1_10merge_implIS3_NS0_12zip_iteratorINS5_IJN6thrust23THRUST_200600_302600_NS6detail15normal_iteratorINSC_10device_ptrIKiEEEESI_EEEEESK_NSA_INS5_IJNSE_INSF_IiEEEESM_EEEEEPS7_SP_SP_NSC_11hip_rocprim7__merge17predicate_wrapperIiiNSC_7greaterIiEEEEEE10hipError_tPvRmT0_T1_T2_T3_T4_T5_mmT6_P12ihipStream_tbEUlT_E0_NS1_11comp_targetILNS1_3genE4ELNS1_11target_archE910ELNS1_3gpuE8ELNS1_3repE0EEENS1_30default_config_static_selectorELNS0_4arch9wavefront6targetE0EEEvS10_.num_vgpr, 0
	.set _ZN7rocprim17ROCPRIM_400000_NS6detail17trampoline_kernelINS0_14default_configENS1_21merge_config_selectorINS0_5tupleIJiiEEENS0_10empty_typeEEEZNS1_10merge_implIS3_NS0_12zip_iteratorINS5_IJN6thrust23THRUST_200600_302600_NS6detail15normal_iteratorINSC_10device_ptrIKiEEEESI_EEEEESK_NSA_INS5_IJNSE_INSF_IiEEEESM_EEEEEPS7_SP_SP_NSC_11hip_rocprim7__merge17predicate_wrapperIiiNSC_7greaterIiEEEEEE10hipError_tPvRmT0_T1_T2_T3_T4_T5_mmT6_P12ihipStream_tbEUlT_E0_NS1_11comp_targetILNS1_3genE4ELNS1_11target_archE910ELNS1_3gpuE8ELNS1_3repE0EEENS1_30default_config_static_selectorELNS0_4arch9wavefront6targetE0EEEvS10_.num_agpr, 0
	.set _ZN7rocprim17ROCPRIM_400000_NS6detail17trampoline_kernelINS0_14default_configENS1_21merge_config_selectorINS0_5tupleIJiiEEENS0_10empty_typeEEEZNS1_10merge_implIS3_NS0_12zip_iteratorINS5_IJN6thrust23THRUST_200600_302600_NS6detail15normal_iteratorINSC_10device_ptrIKiEEEESI_EEEEESK_NSA_INS5_IJNSE_INSF_IiEEEESM_EEEEEPS7_SP_SP_NSC_11hip_rocprim7__merge17predicate_wrapperIiiNSC_7greaterIiEEEEEE10hipError_tPvRmT0_T1_T2_T3_T4_T5_mmT6_P12ihipStream_tbEUlT_E0_NS1_11comp_targetILNS1_3genE4ELNS1_11target_archE910ELNS1_3gpuE8ELNS1_3repE0EEENS1_30default_config_static_selectorELNS0_4arch9wavefront6targetE0EEEvS10_.numbered_sgpr, 0
	.set _ZN7rocprim17ROCPRIM_400000_NS6detail17trampoline_kernelINS0_14default_configENS1_21merge_config_selectorINS0_5tupleIJiiEEENS0_10empty_typeEEEZNS1_10merge_implIS3_NS0_12zip_iteratorINS5_IJN6thrust23THRUST_200600_302600_NS6detail15normal_iteratorINSC_10device_ptrIKiEEEESI_EEEEESK_NSA_INS5_IJNSE_INSF_IiEEEESM_EEEEEPS7_SP_SP_NSC_11hip_rocprim7__merge17predicate_wrapperIiiNSC_7greaterIiEEEEEE10hipError_tPvRmT0_T1_T2_T3_T4_T5_mmT6_P12ihipStream_tbEUlT_E0_NS1_11comp_targetILNS1_3genE4ELNS1_11target_archE910ELNS1_3gpuE8ELNS1_3repE0EEENS1_30default_config_static_selectorELNS0_4arch9wavefront6targetE0EEEvS10_.num_named_barrier, 0
	.set _ZN7rocprim17ROCPRIM_400000_NS6detail17trampoline_kernelINS0_14default_configENS1_21merge_config_selectorINS0_5tupleIJiiEEENS0_10empty_typeEEEZNS1_10merge_implIS3_NS0_12zip_iteratorINS5_IJN6thrust23THRUST_200600_302600_NS6detail15normal_iteratorINSC_10device_ptrIKiEEEESI_EEEEESK_NSA_INS5_IJNSE_INSF_IiEEEESM_EEEEEPS7_SP_SP_NSC_11hip_rocprim7__merge17predicate_wrapperIiiNSC_7greaterIiEEEEEE10hipError_tPvRmT0_T1_T2_T3_T4_T5_mmT6_P12ihipStream_tbEUlT_E0_NS1_11comp_targetILNS1_3genE4ELNS1_11target_archE910ELNS1_3gpuE8ELNS1_3repE0EEENS1_30default_config_static_selectorELNS0_4arch9wavefront6targetE0EEEvS10_.private_seg_size, 0
	.set _ZN7rocprim17ROCPRIM_400000_NS6detail17trampoline_kernelINS0_14default_configENS1_21merge_config_selectorINS0_5tupleIJiiEEENS0_10empty_typeEEEZNS1_10merge_implIS3_NS0_12zip_iteratorINS5_IJN6thrust23THRUST_200600_302600_NS6detail15normal_iteratorINSC_10device_ptrIKiEEEESI_EEEEESK_NSA_INS5_IJNSE_INSF_IiEEEESM_EEEEEPS7_SP_SP_NSC_11hip_rocprim7__merge17predicate_wrapperIiiNSC_7greaterIiEEEEEE10hipError_tPvRmT0_T1_T2_T3_T4_T5_mmT6_P12ihipStream_tbEUlT_E0_NS1_11comp_targetILNS1_3genE4ELNS1_11target_archE910ELNS1_3gpuE8ELNS1_3repE0EEENS1_30default_config_static_selectorELNS0_4arch9wavefront6targetE0EEEvS10_.uses_vcc, 0
	.set _ZN7rocprim17ROCPRIM_400000_NS6detail17trampoline_kernelINS0_14default_configENS1_21merge_config_selectorINS0_5tupleIJiiEEENS0_10empty_typeEEEZNS1_10merge_implIS3_NS0_12zip_iteratorINS5_IJN6thrust23THRUST_200600_302600_NS6detail15normal_iteratorINSC_10device_ptrIKiEEEESI_EEEEESK_NSA_INS5_IJNSE_INSF_IiEEEESM_EEEEEPS7_SP_SP_NSC_11hip_rocprim7__merge17predicate_wrapperIiiNSC_7greaterIiEEEEEE10hipError_tPvRmT0_T1_T2_T3_T4_T5_mmT6_P12ihipStream_tbEUlT_E0_NS1_11comp_targetILNS1_3genE4ELNS1_11target_archE910ELNS1_3gpuE8ELNS1_3repE0EEENS1_30default_config_static_selectorELNS0_4arch9wavefront6targetE0EEEvS10_.uses_flat_scratch, 0
	.set _ZN7rocprim17ROCPRIM_400000_NS6detail17trampoline_kernelINS0_14default_configENS1_21merge_config_selectorINS0_5tupleIJiiEEENS0_10empty_typeEEEZNS1_10merge_implIS3_NS0_12zip_iteratorINS5_IJN6thrust23THRUST_200600_302600_NS6detail15normal_iteratorINSC_10device_ptrIKiEEEESI_EEEEESK_NSA_INS5_IJNSE_INSF_IiEEEESM_EEEEEPS7_SP_SP_NSC_11hip_rocprim7__merge17predicate_wrapperIiiNSC_7greaterIiEEEEEE10hipError_tPvRmT0_T1_T2_T3_T4_T5_mmT6_P12ihipStream_tbEUlT_E0_NS1_11comp_targetILNS1_3genE4ELNS1_11target_archE910ELNS1_3gpuE8ELNS1_3repE0EEENS1_30default_config_static_selectorELNS0_4arch9wavefront6targetE0EEEvS10_.has_dyn_sized_stack, 0
	.set _ZN7rocprim17ROCPRIM_400000_NS6detail17trampoline_kernelINS0_14default_configENS1_21merge_config_selectorINS0_5tupleIJiiEEENS0_10empty_typeEEEZNS1_10merge_implIS3_NS0_12zip_iteratorINS5_IJN6thrust23THRUST_200600_302600_NS6detail15normal_iteratorINSC_10device_ptrIKiEEEESI_EEEEESK_NSA_INS5_IJNSE_INSF_IiEEEESM_EEEEEPS7_SP_SP_NSC_11hip_rocprim7__merge17predicate_wrapperIiiNSC_7greaterIiEEEEEE10hipError_tPvRmT0_T1_T2_T3_T4_T5_mmT6_P12ihipStream_tbEUlT_E0_NS1_11comp_targetILNS1_3genE4ELNS1_11target_archE910ELNS1_3gpuE8ELNS1_3repE0EEENS1_30default_config_static_selectorELNS0_4arch9wavefront6targetE0EEEvS10_.has_recursion, 0
	.set _ZN7rocprim17ROCPRIM_400000_NS6detail17trampoline_kernelINS0_14default_configENS1_21merge_config_selectorINS0_5tupleIJiiEEENS0_10empty_typeEEEZNS1_10merge_implIS3_NS0_12zip_iteratorINS5_IJN6thrust23THRUST_200600_302600_NS6detail15normal_iteratorINSC_10device_ptrIKiEEEESI_EEEEESK_NSA_INS5_IJNSE_INSF_IiEEEESM_EEEEEPS7_SP_SP_NSC_11hip_rocprim7__merge17predicate_wrapperIiiNSC_7greaterIiEEEEEE10hipError_tPvRmT0_T1_T2_T3_T4_T5_mmT6_P12ihipStream_tbEUlT_E0_NS1_11comp_targetILNS1_3genE4ELNS1_11target_archE910ELNS1_3gpuE8ELNS1_3repE0EEENS1_30default_config_static_selectorELNS0_4arch9wavefront6targetE0EEEvS10_.has_indirect_call, 0
	.section	.AMDGPU.csdata,"",@progbits
; Kernel info:
; codeLenInByte = 0
; TotalNumSgprs: 0
; NumVgprs: 0
; ScratchSize: 0
; MemoryBound: 0
; FloatMode: 240
; IeeeMode: 1
; LDSByteSize: 0 bytes/workgroup (compile time only)
; SGPRBlocks: 0
; VGPRBlocks: 0
; NumSGPRsForWavesPerEU: 1
; NumVGPRsForWavesPerEU: 1
; Occupancy: 16
; WaveLimiterHint : 0
; COMPUTE_PGM_RSRC2:SCRATCH_EN: 0
; COMPUTE_PGM_RSRC2:USER_SGPR: 6
; COMPUTE_PGM_RSRC2:TRAP_HANDLER: 0
; COMPUTE_PGM_RSRC2:TGID_X_EN: 1
; COMPUTE_PGM_RSRC2:TGID_Y_EN: 0
; COMPUTE_PGM_RSRC2:TGID_Z_EN: 0
; COMPUTE_PGM_RSRC2:TIDIG_COMP_CNT: 0
	.section	.text._ZN7rocprim17ROCPRIM_400000_NS6detail17trampoline_kernelINS0_14default_configENS1_21merge_config_selectorINS0_5tupleIJiiEEENS0_10empty_typeEEEZNS1_10merge_implIS3_NS0_12zip_iteratorINS5_IJN6thrust23THRUST_200600_302600_NS6detail15normal_iteratorINSC_10device_ptrIKiEEEESI_EEEEESK_NSA_INS5_IJNSE_INSF_IiEEEESM_EEEEEPS7_SP_SP_NSC_11hip_rocprim7__merge17predicate_wrapperIiiNSC_7greaterIiEEEEEE10hipError_tPvRmT0_T1_T2_T3_T4_T5_mmT6_P12ihipStream_tbEUlT_E0_NS1_11comp_targetILNS1_3genE3ELNS1_11target_archE908ELNS1_3gpuE7ELNS1_3repE0EEENS1_30default_config_static_selectorELNS0_4arch9wavefront6targetE0EEEvS10_,"axG",@progbits,_ZN7rocprim17ROCPRIM_400000_NS6detail17trampoline_kernelINS0_14default_configENS1_21merge_config_selectorINS0_5tupleIJiiEEENS0_10empty_typeEEEZNS1_10merge_implIS3_NS0_12zip_iteratorINS5_IJN6thrust23THRUST_200600_302600_NS6detail15normal_iteratorINSC_10device_ptrIKiEEEESI_EEEEESK_NSA_INS5_IJNSE_INSF_IiEEEESM_EEEEEPS7_SP_SP_NSC_11hip_rocprim7__merge17predicate_wrapperIiiNSC_7greaterIiEEEEEE10hipError_tPvRmT0_T1_T2_T3_T4_T5_mmT6_P12ihipStream_tbEUlT_E0_NS1_11comp_targetILNS1_3genE3ELNS1_11target_archE908ELNS1_3gpuE7ELNS1_3repE0EEENS1_30default_config_static_selectorELNS0_4arch9wavefront6targetE0EEEvS10_,comdat
	.protected	_ZN7rocprim17ROCPRIM_400000_NS6detail17trampoline_kernelINS0_14default_configENS1_21merge_config_selectorINS0_5tupleIJiiEEENS0_10empty_typeEEEZNS1_10merge_implIS3_NS0_12zip_iteratorINS5_IJN6thrust23THRUST_200600_302600_NS6detail15normal_iteratorINSC_10device_ptrIKiEEEESI_EEEEESK_NSA_INS5_IJNSE_INSF_IiEEEESM_EEEEEPS7_SP_SP_NSC_11hip_rocprim7__merge17predicate_wrapperIiiNSC_7greaterIiEEEEEE10hipError_tPvRmT0_T1_T2_T3_T4_T5_mmT6_P12ihipStream_tbEUlT_E0_NS1_11comp_targetILNS1_3genE3ELNS1_11target_archE908ELNS1_3gpuE7ELNS1_3repE0EEENS1_30default_config_static_selectorELNS0_4arch9wavefront6targetE0EEEvS10_ ; -- Begin function _ZN7rocprim17ROCPRIM_400000_NS6detail17trampoline_kernelINS0_14default_configENS1_21merge_config_selectorINS0_5tupleIJiiEEENS0_10empty_typeEEEZNS1_10merge_implIS3_NS0_12zip_iteratorINS5_IJN6thrust23THRUST_200600_302600_NS6detail15normal_iteratorINSC_10device_ptrIKiEEEESI_EEEEESK_NSA_INS5_IJNSE_INSF_IiEEEESM_EEEEEPS7_SP_SP_NSC_11hip_rocprim7__merge17predicate_wrapperIiiNSC_7greaterIiEEEEEE10hipError_tPvRmT0_T1_T2_T3_T4_T5_mmT6_P12ihipStream_tbEUlT_E0_NS1_11comp_targetILNS1_3genE3ELNS1_11target_archE908ELNS1_3gpuE7ELNS1_3repE0EEENS1_30default_config_static_selectorELNS0_4arch9wavefront6targetE0EEEvS10_
	.globl	_ZN7rocprim17ROCPRIM_400000_NS6detail17trampoline_kernelINS0_14default_configENS1_21merge_config_selectorINS0_5tupleIJiiEEENS0_10empty_typeEEEZNS1_10merge_implIS3_NS0_12zip_iteratorINS5_IJN6thrust23THRUST_200600_302600_NS6detail15normal_iteratorINSC_10device_ptrIKiEEEESI_EEEEESK_NSA_INS5_IJNSE_INSF_IiEEEESM_EEEEEPS7_SP_SP_NSC_11hip_rocprim7__merge17predicate_wrapperIiiNSC_7greaterIiEEEEEE10hipError_tPvRmT0_T1_T2_T3_T4_T5_mmT6_P12ihipStream_tbEUlT_E0_NS1_11comp_targetILNS1_3genE3ELNS1_11target_archE908ELNS1_3gpuE7ELNS1_3repE0EEENS1_30default_config_static_selectorELNS0_4arch9wavefront6targetE0EEEvS10_
	.p2align	8
	.type	_ZN7rocprim17ROCPRIM_400000_NS6detail17trampoline_kernelINS0_14default_configENS1_21merge_config_selectorINS0_5tupleIJiiEEENS0_10empty_typeEEEZNS1_10merge_implIS3_NS0_12zip_iteratorINS5_IJN6thrust23THRUST_200600_302600_NS6detail15normal_iteratorINSC_10device_ptrIKiEEEESI_EEEEESK_NSA_INS5_IJNSE_INSF_IiEEEESM_EEEEEPS7_SP_SP_NSC_11hip_rocprim7__merge17predicate_wrapperIiiNSC_7greaterIiEEEEEE10hipError_tPvRmT0_T1_T2_T3_T4_T5_mmT6_P12ihipStream_tbEUlT_E0_NS1_11comp_targetILNS1_3genE3ELNS1_11target_archE908ELNS1_3gpuE7ELNS1_3repE0EEENS1_30default_config_static_selectorELNS0_4arch9wavefront6targetE0EEEvS10_,@function
_ZN7rocprim17ROCPRIM_400000_NS6detail17trampoline_kernelINS0_14default_configENS1_21merge_config_selectorINS0_5tupleIJiiEEENS0_10empty_typeEEEZNS1_10merge_implIS3_NS0_12zip_iteratorINS5_IJN6thrust23THRUST_200600_302600_NS6detail15normal_iteratorINSC_10device_ptrIKiEEEESI_EEEEESK_NSA_INS5_IJNSE_INSF_IiEEEESM_EEEEEPS7_SP_SP_NSC_11hip_rocprim7__merge17predicate_wrapperIiiNSC_7greaterIiEEEEEE10hipError_tPvRmT0_T1_T2_T3_T4_T5_mmT6_P12ihipStream_tbEUlT_E0_NS1_11comp_targetILNS1_3genE3ELNS1_11target_archE908ELNS1_3gpuE7ELNS1_3repE0EEENS1_30default_config_static_selectorELNS0_4arch9wavefront6targetE0EEEvS10_: ; @_ZN7rocprim17ROCPRIM_400000_NS6detail17trampoline_kernelINS0_14default_configENS1_21merge_config_selectorINS0_5tupleIJiiEEENS0_10empty_typeEEEZNS1_10merge_implIS3_NS0_12zip_iteratorINS5_IJN6thrust23THRUST_200600_302600_NS6detail15normal_iteratorINSC_10device_ptrIKiEEEESI_EEEEESK_NSA_INS5_IJNSE_INSF_IiEEEESM_EEEEEPS7_SP_SP_NSC_11hip_rocprim7__merge17predicate_wrapperIiiNSC_7greaterIiEEEEEE10hipError_tPvRmT0_T1_T2_T3_T4_T5_mmT6_P12ihipStream_tbEUlT_E0_NS1_11comp_targetILNS1_3genE3ELNS1_11target_archE908ELNS1_3gpuE7ELNS1_3repE0EEENS1_30default_config_static_selectorELNS0_4arch9wavefront6targetE0EEEvS10_
; %bb.0:
	.section	.rodata,"a",@progbits
	.p2align	6, 0x0
	.amdhsa_kernel _ZN7rocprim17ROCPRIM_400000_NS6detail17trampoline_kernelINS0_14default_configENS1_21merge_config_selectorINS0_5tupleIJiiEEENS0_10empty_typeEEEZNS1_10merge_implIS3_NS0_12zip_iteratorINS5_IJN6thrust23THRUST_200600_302600_NS6detail15normal_iteratorINSC_10device_ptrIKiEEEESI_EEEEESK_NSA_INS5_IJNSE_INSF_IiEEEESM_EEEEEPS7_SP_SP_NSC_11hip_rocprim7__merge17predicate_wrapperIiiNSC_7greaterIiEEEEEE10hipError_tPvRmT0_T1_T2_T3_T4_T5_mmT6_P12ihipStream_tbEUlT_E0_NS1_11comp_targetILNS1_3genE3ELNS1_11target_archE908ELNS1_3gpuE7ELNS1_3repE0EEENS1_30default_config_static_selectorELNS0_4arch9wavefront6targetE0EEEvS10_
		.amdhsa_group_segment_fixed_size 0
		.amdhsa_private_segment_fixed_size 0
		.amdhsa_kernarg_size 112
		.amdhsa_user_sgpr_count 6
		.amdhsa_user_sgpr_private_segment_buffer 1
		.amdhsa_user_sgpr_dispatch_ptr 0
		.amdhsa_user_sgpr_queue_ptr 0
		.amdhsa_user_sgpr_kernarg_segment_ptr 1
		.amdhsa_user_sgpr_dispatch_id 0
		.amdhsa_user_sgpr_flat_scratch_init 0
		.amdhsa_user_sgpr_private_segment_size 0
		.amdhsa_wavefront_size32 1
		.amdhsa_uses_dynamic_stack 0
		.amdhsa_system_sgpr_private_segment_wavefront_offset 0
		.amdhsa_system_sgpr_workgroup_id_x 1
		.amdhsa_system_sgpr_workgroup_id_y 0
		.amdhsa_system_sgpr_workgroup_id_z 0
		.amdhsa_system_sgpr_workgroup_info 0
		.amdhsa_system_vgpr_workitem_id 0
		.amdhsa_next_free_vgpr 1
		.amdhsa_next_free_sgpr 1
		.amdhsa_reserve_vcc 0
		.amdhsa_reserve_flat_scratch 0
		.amdhsa_float_round_mode_32 0
		.amdhsa_float_round_mode_16_64 0
		.amdhsa_float_denorm_mode_32 3
		.amdhsa_float_denorm_mode_16_64 3
		.amdhsa_dx10_clamp 1
		.amdhsa_ieee_mode 1
		.amdhsa_fp16_overflow 0
		.amdhsa_workgroup_processor_mode 1
		.amdhsa_memory_ordered 1
		.amdhsa_forward_progress 1
		.amdhsa_shared_vgpr_count 0
		.amdhsa_exception_fp_ieee_invalid_op 0
		.amdhsa_exception_fp_denorm_src 0
		.amdhsa_exception_fp_ieee_div_zero 0
		.amdhsa_exception_fp_ieee_overflow 0
		.amdhsa_exception_fp_ieee_underflow 0
		.amdhsa_exception_fp_ieee_inexact 0
		.amdhsa_exception_int_div_zero 0
	.end_amdhsa_kernel
	.section	.text._ZN7rocprim17ROCPRIM_400000_NS6detail17trampoline_kernelINS0_14default_configENS1_21merge_config_selectorINS0_5tupleIJiiEEENS0_10empty_typeEEEZNS1_10merge_implIS3_NS0_12zip_iteratorINS5_IJN6thrust23THRUST_200600_302600_NS6detail15normal_iteratorINSC_10device_ptrIKiEEEESI_EEEEESK_NSA_INS5_IJNSE_INSF_IiEEEESM_EEEEEPS7_SP_SP_NSC_11hip_rocprim7__merge17predicate_wrapperIiiNSC_7greaterIiEEEEEE10hipError_tPvRmT0_T1_T2_T3_T4_T5_mmT6_P12ihipStream_tbEUlT_E0_NS1_11comp_targetILNS1_3genE3ELNS1_11target_archE908ELNS1_3gpuE7ELNS1_3repE0EEENS1_30default_config_static_selectorELNS0_4arch9wavefront6targetE0EEEvS10_,"axG",@progbits,_ZN7rocprim17ROCPRIM_400000_NS6detail17trampoline_kernelINS0_14default_configENS1_21merge_config_selectorINS0_5tupleIJiiEEENS0_10empty_typeEEEZNS1_10merge_implIS3_NS0_12zip_iteratorINS5_IJN6thrust23THRUST_200600_302600_NS6detail15normal_iteratorINSC_10device_ptrIKiEEEESI_EEEEESK_NSA_INS5_IJNSE_INSF_IiEEEESM_EEEEEPS7_SP_SP_NSC_11hip_rocprim7__merge17predicate_wrapperIiiNSC_7greaterIiEEEEEE10hipError_tPvRmT0_T1_T2_T3_T4_T5_mmT6_P12ihipStream_tbEUlT_E0_NS1_11comp_targetILNS1_3genE3ELNS1_11target_archE908ELNS1_3gpuE7ELNS1_3repE0EEENS1_30default_config_static_selectorELNS0_4arch9wavefront6targetE0EEEvS10_,comdat
.Lfunc_end437:
	.size	_ZN7rocprim17ROCPRIM_400000_NS6detail17trampoline_kernelINS0_14default_configENS1_21merge_config_selectorINS0_5tupleIJiiEEENS0_10empty_typeEEEZNS1_10merge_implIS3_NS0_12zip_iteratorINS5_IJN6thrust23THRUST_200600_302600_NS6detail15normal_iteratorINSC_10device_ptrIKiEEEESI_EEEEESK_NSA_INS5_IJNSE_INSF_IiEEEESM_EEEEEPS7_SP_SP_NSC_11hip_rocprim7__merge17predicate_wrapperIiiNSC_7greaterIiEEEEEE10hipError_tPvRmT0_T1_T2_T3_T4_T5_mmT6_P12ihipStream_tbEUlT_E0_NS1_11comp_targetILNS1_3genE3ELNS1_11target_archE908ELNS1_3gpuE7ELNS1_3repE0EEENS1_30default_config_static_selectorELNS0_4arch9wavefront6targetE0EEEvS10_, .Lfunc_end437-_ZN7rocprim17ROCPRIM_400000_NS6detail17trampoline_kernelINS0_14default_configENS1_21merge_config_selectorINS0_5tupleIJiiEEENS0_10empty_typeEEEZNS1_10merge_implIS3_NS0_12zip_iteratorINS5_IJN6thrust23THRUST_200600_302600_NS6detail15normal_iteratorINSC_10device_ptrIKiEEEESI_EEEEESK_NSA_INS5_IJNSE_INSF_IiEEEESM_EEEEEPS7_SP_SP_NSC_11hip_rocprim7__merge17predicate_wrapperIiiNSC_7greaterIiEEEEEE10hipError_tPvRmT0_T1_T2_T3_T4_T5_mmT6_P12ihipStream_tbEUlT_E0_NS1_11comp_targetILNS1_3genE3ELNS1_11target_archE908ELNS1_3gpuE7ELNS1_3repE0EEENS1_30default_config_static_selectorELNS0_4arch9wavefront6targetE0EEEvS10_
                                        ; -- End function
	.set _ZN7rocprim17ROCPRIM_400000_NS6detail17trampoline_kernelINS0_14default_configENS1_21merge_config_selectorINS0_5tupleIJiiEEENS0_10empty_typeEEEZNS1_10merge_implIS3_NS0_12zip_iteratorINS5_IJN6thrust23THRUST_200600_302600_NS6detail15normal_iteratorINSC_10device_ptrIKiEEEESI_EEEEESK_NSA_INS5_IJNSE_INSF_IiEEEESM_EEEEEPS7_SP_SP_NSC_11hip_rocprim7__merge17predicate_wrapperIiiNSC_7greaterIiEEEEEE10hipError_tPvRmT0_T1_T2_T3_T4_T5_mmT6_P12ihipStream_tbEUlT_E0_NS1_11comp_targetILNS1_3genE3ELNS1_11target_archE908ELNS1_3gpuE7ELNS1_3repE0EEENS1_30default_config_static_selectorELNS0_4arch9wavefront6targetE0EEEvS10_.num_vgpr, 0
	.set _ZN7rocprim17ROCPRIM_400000_NS6detail17trampoline_kernelINS0_14default_configENS1_21merge_config_selectorINS0_5tupleIJiiEEENS0_10empty_typeEEEZNS1_10merge_implIS3_NS0_12zip_iteratorINS5_IJN6thrust23THRUST_200600_302600_NS6detail15normal_iteratorINSC_10device_ptrIKiEEEESI_EEEEESK_NSA_INS5_IJNSE_INSF_IiEEEESM_EEEEEPS7_SP_SP_NSC_11hip_rocprim7__merge17predicate_wrapperIiiNSC_7greaterIiEEEEEE10hipError_tPvRmT0_T1_T2_T3_T4_T5_mmT6_P12ihipStream_tbEUlT_E0_NS1_11comp_targetILNS1_3genE3ELNS1_11target_archE908ELNS1_3gpuE7ELNS1_3repE0EEENS1_30default_config_static_selectorELNS0_4arch9wavefront6targetE0EEEvS10_.num_agpr, 0
	.set _ZN7rocprim17ROCPRIM_400000_NS6detail17trampoline_kernelINS0_14default_configENS1_21merge_config_selectorINS0_5tupleIJiiEEENS0_10empty_typeEEEZNS1_10merge_implIS3_NS0_12zip_iteratorINS5_IJN6thrust23THRUST_200600_302600_NS6detail15normal_iteratorINSC_10device_ptrIKiEEEESI_EEEEESK_NSA_INS5_IJNSE_INSF_IiEEEESM_EEEEEPS7_SP_SP_NSC_11hip_rocprim7__merge17predicate_wrapperIiiNSC_7greaterIiEEEEEE10hipError_tPvRmT0_T1_T2_T3_T4_T5_mmT6_P12ihipStream_tbEUlT_E0_NS1_11comp_targetILNS1_3genE3ELNS1_11target_archE908ELNS1_3gpuE7ELNS1_3repE0EEENS1_30default_config_static_selectorELNS0_4arch9wavefront6targetE0EEEvS10_.numbered_sgpr, 0
	.set _ZN7rocprim17ROCPRIM_400000_NS6detail17trampoline_kernelINS0_14default_configENS1_21merge_config_selectorINS0_5tupleIJiiEEENS0_10empty_typeEEEZNS1_10merge_implIS3_NS0_12zip_iteratorINS5_IJN6thrust23THRUST_200600_302600_NS6detail15normal_iteratorINSC_10device_ptrIKiEEEESI_EEEEESK_NSA_INS5_IJNSE_INSF_IiEEEESM_EEEEEPS7_SP_SP_NSC_11hip_rocprim7__merge17predicate_wrapperIiiNSC_7greaterIiEEEEEE10hipError_tPvRmT0_T1_T2_T3_T4_T5_mmT6_P12ihipStream_tbEUlT_E0_NS1_11comp_targetILNS1_3genE3ELNS1_11target_archE908ELNS1_3gpuE7ELNS1_3repE0EEENS1_30default_config_static_selectorELNS0_4arch9wavefront6targetE0EEEvS10_.num_named_barrier, 0
	.set _ZN7rocprim17ROCPRIM_400000_NS6detail17trampoline_kernelINS0_14default_configENS1_21merge_config_selectorINS0_5tupleIJiiEEENS0_10empty_typeEEEZNS1_10merge_implIS3_NS0_12zip_iteratorINS5_IJN6thrust23THRUST_200600_302600_NS6detail15normal_iteratorINSC_10device_ptrIKiEEEESI_EEEEESK_NSA_INS5_IJNSE_INSF_IiEEEESM_EEEEEPS7_SP_SP_NSC_11hip_rocprim7__merge17predicate_wrapperIiiNSC_7greaterIiEEEEEE10hipError_tPvRmT0_T1_T2_T3_T4_T5_mmT6_P12ihipStream_tbEUlT_E0_NS1_11comp_targetILNS1_3genE3ELNS1_11target_archE908ELNS1_3gpuE7ELNS1_3repE0EEENS1_30default_config_static_selectorELNS0_4arch9wavefront6targetE0EEEvS10_.private_seg_size, 0
	.set _ZN7rocprim17ROCPRIM_400000_NS6detail17trampoline_kernelINS0_14default_configENS1_21merge_config_selectorINS0_5tupleIJiiEEENS0_10empty_typeEEEZNS1_10merge_implIS3_NS0_12zip_iteratorINS5_IJN6thrust23THRUST_200600_302600_NS6detail15normal_iteratorINSC_10device_ptrIKiEEEESI_EEEEESK_NSA_INS5_IJNSE_INSF_IiEEEESM_EEEEEPS7_SP_SP_NSC_11hip_rocprim7__merge17predicate_wrapperIiiNSC_7greaterIiEEEEEE10hipError_tPvRmT0_T1_T2_T3_T4_T5_mmT6_P12ihipStream_tbEUlT_E0_NS1_11comp_targetILNS1_3genE3ELNS1_11target_archE908ELNS1_3gpuE7ELNS1_3repE0EEENS1_30default_config_static_selectorELNS0_4arch9wavefront6targetE0EEEvS10_.uses_vcc, 0
	.set _ZN7rocprim17ROCPRIM_400000_NS6detail17trampoline_kernelINS0_14default_configENS1_21merge_config_selectorINS0_5tupleIJiiEEENS0_10empty_typeEEEZNS1_10merge_implIS3_NS0_12zip_iteratorINS5_IJN6thrust23THRUST_200600_302600_NS6detail15normal_iteratorINSC_10device_ptrIKiEEEESI_EEEEESK_NSA_INS5_IJNSE_INSF_IiEEEESM_EEEEEPS7_SP_SP_NSC_11hip_rocprim7__merge17predicate_wrapperIiiNSC_7greaterIiEEEEEE10hipError_tPvRmT0_T1_T2_T3_T4_T5_mmT6_P12ihipStream_tbEUlT_E0_NS1_11comp_targetILNS1_3genE3ELNS1_11target_archE908ELNS1_3gpuE7ELNS1_3repE0EEENS1_30default_config_static_selectorELNS0_4arch9wavefront6targetE0EEEvS10_.uses_flat_scratch, 0
	.set _ZN7rocprim17ROCPRIM_400000_NS6detail17trampoline_kernelINS0_14default_configENS1_21merge_config_selectorINS0_5tupleIJiiEEENS0_10empty_typeEEEZNS1_10merge_implIS3_NS0_12zip_iteratorINS5_IJN6thrust23THRUST_200600_302600_NS6detail15normal_iteratorINSC_10device_ptrIKiEEEESI_EEEEESK_NSA_INS5_IJNSE_INSF_IiEEEESM_EEEEEPS7_SP_SP_NSC_11hip_rocprim7__merge17predicate_wrapperIiiNSC_7greaterIiEEEEEE10hipError_tPvRmT0_T1_T2_T3_T4_T5_mmT6_P12ihipStream_tbEUlT_E0_NS1_11comp_targetILNS1_3genE3ELNS1_11target_archE908ELNS1_3gpuE7ELNS1_3repE0EEENS1_30default_config_static_selectorELNS0_4arch9wavefront6targetE0EEEvS10_.has_dyn_sized_stack, 0
	.set _ZN7rocprim17ROCPRIM_400000_NS6detail17trampoline_kernelINS0_14default_configENS1_21merge_config_selectorINS0_5tupleIJiiEEENS0_10empty_typeEEEZNS1_10merge_implIS3_NS0_12zip_iteratorINS5_IJN6thrust23THRUST_200600_302600_NS6detail15normal_iteratorINSC_10device_ptrIKiEEEESI_EEEEESK_NSA_INS5_IJNSE_INSF_IiEEEESM_EEEEEPS7_SP_SP_NSC_11hip_rocprim7__merge17predicate_wrapperIiiNSC_7greaterIiEEEEEE10hipError_tPvRmT0_T1_T2_T3_T4_T5_mmT6_P12ihipStream_tbEUlT_E0_NS1_11comp_targetILNS1_3genE3ELNS1_11target_archE908ELNS1_3gpuE7ELNS1_3repE0EEENS1_30default_config_static_selectorELNS0_4arch9wavefront6targetE0EEEvS10_.has_recursion, 0
	.set _ZN7rocprim17ROCPRIM_400000_NS6detail17trampoline_kernelINS0_14default_configENS1_21merge_config_selectorINS0_5tupleIJiiEEENS0_10empty_typeEEEZNS1_10merge_implIS3_NS0_12zip_iteratorINS5_IJN6thrust23THRUST_200600_302600_NS6detail15normal_iteratorINSC_10device_ptrIKiEEEESI_EEEEESK_NSA_INS5_IJNSE_INSF_IiEEEESM_EEEEEPS7_SP_SP_NSC_11hip_rocprim7__merge17predicate_wrapperIiiNSC_7greaterIiEEEEEE10hipError_tPvRmT0_T1_T2_T3_T4_T5_mmT6_P12ihipStream_tbEUlT_E0_NS1_11comp_targetILNS1_3genE3ELNS1_11target_archE908ELNS1_3gpuE7ELNS1_3repE0EEENS1_30default_config_static_selectorELNS0_4arch9wavefront6targetE0EEEvS10_.has_indirect_call, 0
	.section	.AMDGPU.csdata,"",@progbits
; Kernel info:
; codeLenInByte = 0
; TotalNumSgprs: 0
; NumVgprs: 0
; ScratchSize: 0
; MemoryBound: 0
; FloatMode: 240
; IeeeMode: 1
; LDSByteSize: 0 bytes/workgroup (compile time only)
; SGPRBlocks: 0
; VGPRBlocks: 0
; NumSGPRsForWavesPerEU: 1
; NumVGPRsForWavesPerEU: 1
; Occupancy: 16
; WaveLimiterHint : 0
; COMPUTE_PGM_RSRC2:SCRATCH_EN: 0
; COMPUTE_PGM_RSRC2:USER_SGPR: 6
; COMPUTE_PGM_RSRC2:TRAP_HANDLER: 0
; COMPUTE_PGM_RSRC2:TGID_X_EN: 1
; COMPUTE_PGM_RSRC2:TGID_Y_EN: 0
; COMPUTE_PGM_RSRC2:TGID_Z_EN: 0
; COMPUTE_PGM_RSRC2:TIDIG_COMP_CNT: 0
	.section	.text._ZN7rocprim17ROCPRIM_400000_NS6detail17trampoline_kernelINS0_14default_configENS1_21merge_config_selectorINS0_5tupleIJiiEEENS0_10empty_typeEEEZNS1_10merge_implIS3_NS0_12zip_iteratorINS5_IJN6thrust23THRUST_200600_302600_NS6detail15normal_iteratorINSC_10device_ptrIKiEEEESI_EEEEESK_NSA_INS5_IJNSE_INSF_IiEEEESM_EEEEEPS7_SP_SP_NSC_11hip_rocprim7__merge17predicate_wrapperIiiNSC_7greaterIiEEEEEE10hipError_tPvRmT0_T1_T2_T3_T4_T5_mmT6_P12ihipStream_tbEUlT_E0_NS1_11comp_targetILNS1_3genE2ELNS1_11target_archE906ELNS1_3gpuE6ELNS1_3repE0EEENS1_30default_config_static_selectorELNS0_4arch9wavefront6targetE0EEEvS10_,"axG",@progbits,_ZN7rocprim17ROCPRIM_400000_NS6detail17trampoline_kernelINS0_14default_configENS1_21merge_config_selectorINS0_5tupleIJiiEEENS0_10empty_typeEEEZNS1_10merge_implIS3_NS0_12zip_iteratorINS5_IJN6thrust23THRUST_200600_302600_NS6detail15normal_iteratorINSC_10device_ptrIKiEEEESI_EEEEESK_NSA_INS5_IJNSE_INSF_IiEEEESM_EEEEEPS7_SP_SP_NSC_11hip_rocprim7__merge17predicate_wrapperIiiNSC_7greaterIiEEEEEE10hipError_tPvRmT0_T1_T2_T3_T4_T5_mmT6_P12ihipStream_tbEUlT_E0_NS1_11comp_targetILNS1_3genE2ELNS1_11target_archE906ELNS1_3gpuE6ELNS1_3repE0EEENS1_30default_config_static_selectorELNS0_4arch9wavefront6targetE0EEEvS10_,comdat
	.protected	_ZN7rocprim17ROCPRIM_400000_NS6detail17trampoline_kernelINS0_14default_configENS1_21merge_config_selectorINS0_5tupleIJiiEEENS0_10empty_typeEEEZNS1_10merge_implIS3_NS0_12zip_iteratorINS5_IJN6thrust23THRUST_200600_302600_NS6detail15normal_iteratorINSC_10device_ptrIKiEEEESI_EEEEESK_NSA_INS5_IJNSE_INSF_IiEEEESM_EEEEEPS7_SP_SP_NSC_11hip_rocprim7__merge17predicate_wrapperIiiNSC_7greaterIiEEEEEE10hipError_tPvRmT0_T1_T2_T3_T4_T5_mmT6_P12ihipStream_tbEUlT_E0_NS1_11comp_targetILNS1_3genE2ELNS1_11target_archE906ELNS1_3gpuE6ELNS1_3repE0EEENS1_30default_config_static_selectorELNS0_4arch9wavefront6targetE0EEEvS10_ ; -- Begin function _ZN7rocprim17ROCPRIM_400000_NS6detail17trampoline_kernelINS0_14default_configENS1_21merge_config_selectorINS0_5tupleIJiiEEENS0_10empty_typeEEEZNS1_10merge_implIS3_NS0_12zip_iteratorINS5_IJN6thrust23THRUST_200600_302600_NS6detail15normal_iteratorINSC_10device_ptrIKiEEEESI_EEEEESK_NSA_INS5_IJNSE_INSF_IiEEEESM_EEEEEPS7_SP_SP_NSC_11hip_rocprim7__merge17predicate_wrapperIiiNSC_7greaterIiEEEEEE10hipError_tPvRmT0_T1_T2_T3_T4_T5_mmT6_P12ihipStream_tbEUlT_E0_NS1_11comp_targetILNS1_3genE2ELNS1_11target_archE906ELNS1_3gpuE6ELNS1_3repE0EEENS1_30default_config_static_selectorELNS0_4arch9wavefront6targetE0EEEvS10_
	.globl	_ZN7rocprim17ROCPRIM_400000_NS6detail17trampoline_kernelINS0_14default_configENS1_21merge_config_selectorINS0_5tupleIJiiEEENS0_10empty_typeEEEZNS1_10merge_implIS3_NS0_12zip_iteratorINS5_IJN6thrust23THRUST_200600_302600_NS6detail15normal_iteratorINSC_10device_ptrIKiEEEESI_EEEEESK_NSA_INS5_IJNSE_INSF_IiEEEESM_EEEEEPS7_SP_SP_NSC_11hip_rocprim7__merge17predicate_wrapperIiiNSC_7greaterIiEEEEEE10hipError_tPvRmT0_T1_T2_T3_T4_T5_mmT6_P12ihipStream_tbEUlT_E0_NS1_11comp_targetILNS1_3genE2ELNS1_11target_archE906ELNS1_3gpuE6ELNS1_3repE0EEENS1_30default_config_static_selectorELNS0_4arch9wavefront6targetE0EEEvS10_
	.p2align	8
	.type	_ZN7rocprim17ROCPRIM_400000_NS6detail17trampoline_kernelINS0_14default_configENS1_21merge_config_selectorINS0_5tupleIJiiEEENS0_10empty_typeEEEZNS1_10merge_implIS3_NS0_12zip_iteratorINS5_IJN6thrust23THRUST_200600_302600_NS6detail15normal_iteratorINSC_10device_ptrIKiEEEESI_EEEEESK_NSA_INS5_IJNSE_INSF_IiEEEESM_EEEEEPS7_SP_SP_NSC_11hip_rocprim7__merge17predicate_wrapperIiiNSC_7greaterIiEEEEEE10hipError_tPvRmT0_T1_T2_T3_T4_T5_mmT6_P12ihipStream_tbEUlT_E0_NS1_11comp_targetILNS1_3genE2ELNS1_11target_archE906ELNS1_3gpuE6ELNS1_3repE0EEENS1_30default_config_static_selectorELNS0_4arch9wavefront6targetE0EEEvS10_,@function
_ZN7rocprim17ROCPRIM_400000_NS6detail17trampoline_kernelINS0_14default_configENS1_21merge_config_selectorINS0_5tupleIJiiEEENS0_10empty_typeEEEZNS1_10merge_implIS3_NS0_12zip_iteratorINS5_IJN6thrust23THRUST_200600_302600_NS6detail15normal_iteratorINSC_10device_ptrIKiEEEESI_EEEEESK_NSA_INS5_IJNSE_INSF_IiEEEESM_EEEEEPS7_SP_SP_NSC_11hip_rocprim7__merge17predicate_wrapperIiiNSC_7greaterIiEEEEEE10hipError_tPvRmT0_T1_T2_T3_T4_T5_mmT6_P12ihipStream_tbEUlT_E0_NS1_11comp_targetILNS1_3genE2ELNS1_11target_archE906ELNS1_3gpuE6ELNS1_3repE0EEENS1_30default_config_static_selectorELNS0_4arch9wavefront6targetE0EEEvS10_: ; @_ZN7rocprim17ROCPRIM_400000_NS6detail17trampoline_kernelINS0_14default_configENS1_21merge_config_selectorINS0_5tupleIJiiEEENS0_10empty_typeEEEZNS1_10merge_implIS3_NS0_12zip_iteratorINS5_IJN6thrust23THRUST_200600_302600_NS6detail15normal_iteratorINSC_10device_ptrIKiEEEESI_EEEEESK_NSA_INS5_IJNSE_INSF_IiEEEESM_EEEEEPS7_SP_SP_NSC_11hip_rocprim7__merge17predicate_wrapperIiiNSC_7greaterIiEEEEEE10hipError_tPvRmT0_T1_T2_T3_T4_T5_mmT6_P12ihipStream_tbEUlT_E0_NS1_11comp_targetILNS1_3genE2ELNS1_11target_archE906ELNS1_3gpuE6ELNS1_3repE0EEENS1_30default_config_static_selectorELNS0_4arch9wavefront6targetE0EEEvS10_
; %bb.0:
	.section	.rodata,"a",@progbits
	.p2align	6, 0x0
	.amdhsa_kernel _ZN7rocprim17ROCPRIM_400000_NS6detail17trampoline_kernelINS0_14default_configENS1_21merge_config_selectorINS0_5tupleIJiiEEENS0_10empty_typeEEEZNS1_10merge_implIS3_NS0_12zip_iteratorINS5_IJN6thrust23THRUST_200600_302600_NS6detail15normal_iteratorINSC_10device_ptrIKiEEEESI_EEEEESK_NSA_INS5_IJNSE_INSF_IiEEEESM_EEEEEPS7_SP_SP_NSC_11hip_rocprim7__merge17predicate_wrapperIiiNSC_7greaterIiEEEEEE10hipError_tPvRmT0_T1_T2_T3_T4_T5_mmT6_P12ihipStream_tbEUlT_E0_NS1_11comp_targetILNS1_3genE2ELNS1_11target_archE906ELNS1_3gpuE6ELNS1_3repE0EEENS1_30default_config_static_selectorELNS0_4arch9wavefront6targetE0EEEvS10_
		.amdhsa_group_segment_fixed_size 0
		.amdhsa_private_segment_fixed_size 0
		.amdhsa_kernarg_size 112
		.amdhsa_user_sgpr_count 6
		.amdhsa_user_sgpr_private_segment_buffer 1
		.amdhsa_user_sgpr_dispatch_ptr 0
		.amdhsa_user_sgpr_queue_ptr 0
		.amdhsa_user_sgpr_kernarg_segment_ptr 1
		.amdhsa_user_sgpr_dispatch_id 0
		.amdhsa_user_sgpr_flat_scratch_init 0
		.amdhsa_user_sgpr_private_segment_size 0
		.amdhsa_wavefront_size32 1
		.amdhsa_uses_dynamic_stack 0
		.amdhsa_system_sgpr_private_segment_wavefront_offset 0
		.amdhsa_system_sgpr_workgroup_id_x 1
		.amdhsa_system_sgpr_workgroup_id_y 0
		.amdhsa_system_sgpr_workgroup_id_z 0
		.amdhsa_system_sgpr_workgroup_info 0
		.amdhsa_system_vgpr_workitem_id 0
		.amdhsa_next_free_vgpr 1
		.amdhsa_next_free_sgpr 1
		.amdhsa_reserve_vcc 0
		.amdhsa_reserve_flat_scratch 0
		.amdhsa_float_round_mode_32 0
		.amdhsa_float_round_mode_16_64 0
		.amdhsa_float_denorm_mode_32 3
		.amdhsa_float_denorm_mode_16_64 3
		.amdhsa_dx10_clamp 1
		.amdhsa_ieee_mode 1
		.amdhsa_fp16_overflow 0
		.amdhsa_workgroup_processor_mode 1
		.amdhsa_memory_ordered 1
		.amdhsa_forward_progress 1
		.amdhsa_shared_vgpr_count 0
		.amdhsa_exception_fp_ieee_invalid_op 0
		.amdhsa_exception_fp_denorm_src 0
		.amdhsa_exception_fp_ieee_div_zero 0
		.amdhsa_exception_fp_ieee_overflow 0
		.amdhsa_exception_fp_ieee_underflow 0
		.amdhsa_exception_fp_ieee_inexact 0
		.amdhsa_exception_int_div_zero 0
	.end_amdhsa_kernel
	.section	.text._ZN7rocprim17ROCPRIM_400000_NS6detail17trampoline_kernelINS0_14default_configENS1_21merge_config_selectorINS0_5tupleIJiiEEENS0_10empty_typeEEEZNS1_10merge_implIS3_NS0_12zip_iteratorINS5_IJN6thrust23THRUST_200600_302600_NS6detail15normal_iteratorINSC_10device_ptrIKiEEEESI_EEEEESK_NSA_INS5_IJNSE_INSF_IiEEEESM_EEEEEPS7_SP_SP_NSC_11hip_rocprim7__merge17predicate_wrapperIiiNSC_7greaterIiEEEEEE10hipError_tPvRmT0_T1_T2_T3_T4_T5_mmT6_P12ihipStream_tbEUlT_E0_NS1_11comp_targetILNS1_3genE2ELNS1_11target_archE906ELNS1_3gpuE6ELNS1_3repE0EEENS1_30default_config_static_selectorELNS0_4arch9wavefront6targetE0EEEvS10_,"axG",@progbits,_ZN7rocprim17ROCPRIM_400000_NS6detail17trampoline_kernelINS0_14default_configENS1_21merge_config_selectorINS0_5tupleIJiiEEENS0_10empty_typeEEEZNS1_10merge_implIS3_NS0_12zip_iteratorINS5_IJN6thrust23THRUST_200600_302600_NS6detail15normal_iteratorINSC_10device_ptrIKiEEEESI_EEEEESK_NSA_INS5_IJNSE_INSF_IiEEEESM_EEEEEPS7_SP_SP_NSC_11hip_rocprim7__merge17predicate_wrapperIiiNSC_7greaterIiEEEEEE10hipError_tPvRmT0_T1_T2_T3_T4_T5_mmT6_P12ihipStream_tbEUlT_E0_NS1_11comp_targetILNS1_3genE2ELNS1_11target_archE906ELNS1_3gpuE6ELNS1_3repE0EEENS1_30default_config_static_selectorELNS0_4arch9wavefront6targetE0EEEvS10_,comdat
.Lfunc_end438:
	.size	_ZN7rocprim17ROCPRIM_400000_NS6detail17trampoline_kernelINS0_14default_configENS1_21merge_config_selectorINS0_5tupleIJiiEEENS0_10empty_typeEEEZNS1_10merge_implIS3_NS0_12zip_iteratorINS5_IJN6thrust23THRUST_200600_302600_NS6detail15normal_iteratorINSC_10device_ptrIKiEEEESI_EEEEESK_NSA_INS5_IJNSE_INSF_IiEEEESM_EEEEEPS7_SP_SP_NSC_11hip_rocprim7__merge17predicate_wrapperIiiNSC_7greaterIiEEEEEE10hipError_tPvRmT0_T1_T2_T3_T4_T5_mmT6_P12ihipStream_tbEUlT_E0_NS1_11comp_targetILNS1_3genE2ELNS1_11target_archE906ELNS1_3gpuE6ELNS1_3repE0EEENS1_30default_config_static_selectorELNS0_4arch9wavefront6targetE0EEEvS10_, .Lfunc_end438-_ZN7rocprim17ROCPRIM_400000_NS6detail17trampoline_kernelINS0_14default_configENS1_21merge_config_selectorINS0_5tupleIJiiEEENS0_10empty_typeEEEZNS1_10merge_implIS3_NS0_12zip_iteratorINS5_IJN6thrust23THRUST_200600_302600_NS6detail15normal_iteratorINSC_10device_ptrIKiEEEESI_EEEEESK_NSA_INS5_IJNSE_INSF_IiEEEESM_EEEEEPS7_SP_SP_NSC_11hip_rocprim7__merge17predicate_wrapperIiiNSC_7greaterIiEEEEEE10hipError_tPvRmT0_T1_T2_T3_T4_T5_mmT6_P12ihipStream_tbEUlT_E0_NS1_11comp_targetILNS1_3genE2ELNS1_11target_archE906ELNS1_3gpuE6ELNS1_3repE0EEENS1_30default_config_static_selectorELNS0_4arch9wavefront6targetE0EEEvS10_
                                        ; -- End function
	.set _ZN7rocprim17ROCPRIM_400000_NS6detail17trampoline_kernelINS0_14default_configENS1_21merge_config_selectorINS0_5tupleIJiiEEENS0_10empty_typeEEEZNS1_10merge_implIS3_NS0_12zip_iteratorINS5_IJN6thrust23THRUST_200600_302600_NS6detail15normal_iteratorINSC_10device_ptrIKiEEEESI_EEEEESK_NSA_INS5_IJNSE_INSF_IiEEEESM_EEEEEPS7_SP_SP_NSC_11hip_rocprim7__merge17predicate_wrapperIiiNSC_7greaterIiEEEEEE10hipError_tPvRmT0_T1_T2_T3_T4_T5_mmT6_P12ihipStream_tbEUlT_E0_NS1_11comp_targetILNS1_3genE2ELNS1_11target_archE906ELNS1_3gpuE6ELNS1_3repE0EEENS1_30default_config_static_selectorELNS0_4arch9wavefront6targetE0EEEvS10_.num_vgpr, 0
	.set _ZN7rocprim17ROCPRIM_400000_NS6detail17trampoline_kernelINS0_14default_configENS1_21merge_config_selectorINS0_5tupleIJiiEEENS0_10empty_typeEEEZNS1_10merge_implIS3_NS0_12zip_iteratorINS5_IJN6thrust23THRUST_200600_302600_NS6detail15normal_iteratorINSC_10device_ptrIKiEEEESI_EEEEESK_NSA_INS5_IJNSE_INSF_IiEEEESM_EEEEEPS7_SP_SP_NSC_11hip_rocprim7__merge17predicate_wrapperIiiNSC_7greaterIiEEEEEE10hipError_tPvRmT0_T1_T2_T3_T4_T5_mmT6_P12ihipStream_tbEUlT_E0_NS1_11comp_targetILNS1_3genE2ELNS1_11target_archE906ELNS1_3gpuE6ELNS1_3repE0EEENS1_30default_config_static_selectorELNS0_4arch9wavefront6targetE0EEEvS10_.num_agpr, 0
	.set _ZN7rocprim17ROCPRIM_400000_NS6detail17trampoline_kernelINS0_14default_configENS1_21merge_config_selectorINS0_5tupleIJiiEEENS0_10empty_typeEEEZNS1_10merge_implIS3_NS0_12zip_iteratorINS5_IJN6thrust23THRUST_200600_302600_NS6detail15normal_iteratorINSC_10device_ptrIKiEEEESI_EEEEESK_NSA_INS5_IJNSE_INSF_IiEEEESM_EEEEEPS7_SP_SP_NSC_11hip_rocprim7__merge17predicate_wrapperIiiNSC_7greaterIiEEEEEE10hipError_tPvRmT0_T1_T2_T3_T4_T5_mmT6_P12ihipStream_tbEUlT_E0_NS1_11comp_targetILNS1_3genE2ELNS1_11target_archE906ELNS1_3gpuE6ELNS1_3repE0EEENS1_30default_config_static_selectorELNS0_4arch9wavefront6targetE0EEEvS10_.numbered_sgpr, 0
	.set _ZN7rocprim17ROCPRIM_400000_NS6detail17trampoline_kernelINS0_14default_configENS1_21merge_config_selectorINS0_5tupleIJiiEEENS0_10empty_typeEEEZNS1_10merge_implIS3_NS0_12zip_iteratorINS5_IJN6thrust23THRUST_200600_302600_NS6detail15normal_iteratorINSC_10device_ptrIKiEEEESI_EEEEESK_NSA_INS5_IJNSE_INSF_IiEEEESM_EEEEEPS7_SP_SP_NSC_11hip_rocprim7__merge17predicate_wrapperIiiNSC_7greaterIiEEEEEE10hipError_tPvRmT0_T1_T2_T3_T4_T5_mmT6_P12ihipStream_tbEUlT_E0_NS1_11comp_targetILNS1_3genE2ELNS1_11target_archE906ELNS1_3gpuE6ELNS1_3repE0EEENS1_30default_config_static_selectorELNS0_4arch9wavefront6targetE0EEEvS10_.num_named_barrier, 0
	.set _ZN7rocprim17ROCPRIM_400000_NS6detail17trampoline_kernelINS0_14default_configENS1_21merge_config_selectorINS0_5tupleIJiiEEENS0_10empty_typeEEEZNS1_10merge_implIS3_NS0_12zip_iteratorINS5_IJN6thrust23THRUST_200600_302600_NS6detail15normal_iteratorINSC_10device_ptrIKiEEEESI_EEEEESK_NSA_INS5_IJNSE_INSF_IiEEEESM_EEEEEPS7_SP_SP_NSC_11hip_rocprim7__merge17predicate_wrapperIiiNSC_7greaterIiEEEEEE10hipError_tPvRmT0_T1_T2_T3_T4_T5_mmT6_P12ihipStream_tbEUlT_E0_NS1_11comp_targetILNS1_3genE2ELNS1_11target_archE906ELNS1_3gpuE6ELNS1_3repE0EEENS1_30default_config_static_selectorELNS0_4arch9wavefront6targetE0EEEvS10_.private_seg_size, 0
	.set _ZN7rocprim17ROCPRIM_400000_NS6detail17trampoline_kernelINS0_14default_configENS1_21merge_config_selectorINS0_5tupleIJiiEEENS0_10empty_typeEEEZNS1_10merge_implIS3_NS0_12zip_iteratorINS5_IJN6thrust23THRUST_200600_302600_NS6detail15normal_iteratorINSC_10device_ptrIKiEEEESI_EEEEESK_NSA_INS5_IJNSE_INSF_IiEEEESM_EEEEEPS7_SP_SP_NSC_11hip_rocprim7__merge17predicate_wrapperIiiNSC_7greaterIiEEEEEE10hipError_tPvRmT0_T1_T2_T3_T4_T5_mmT6_P12ihipStream_tbEUlT_E0_NS1_11comp_targetILNS1_3genE2ELNS1_11target_archE906ELNS1_3gpuE6ELNS1_3repE0EEENS1_30default_config_static_selectorELNS0_4arch9wavefront6targetE0EEEvS10_.uses_vcc, 0
	.set _ZN7rocprim17ROCPRIM_400000_NS6detail17trampoline_kernelINS0_14default_configENS1_21merge_config_selectorINS0_5tupleIJiiEEENS0_10empty_typeEEEZNS1_10merge_implIS3_NS0_12zip_iteratorINS5_IJN6thrust23THRUST_200600_302600_NS6detail15normal_iteratorINSC_10device_ptrIKiEEEESI_EEEEESK_NSA_INS5_IJNSE_INSF_IiEEEESM_EEEEEPS7_SP_SP_NSC_11hip_rocprim7__merge17predicate_wrapperIiiNSC_7greaterIiEEEEEE10hipError_tPvRmT0_T1_T2_T3_T4_T5_mmT6_P12ihipStream_tbEUlT_E0_NS1_11comp_targetILNS1_3genE2ELNS1_11target_archE906ELNS1_3gpuE6ELNS1_3repE0EEENS1_30default_config_static_selectorELNS0_4arch9wavefront6targetE0EEEvS10_.uses_flat_scratch, 0
	.set _ZN7rocprim17ROCPRIM_400000_NS6detail17trampoline_kernelINS0_14default_configENS1_21merge_config_selectorINS0_5tupleIJiiEEENS0_10empty_typeEEEZNS1_10merge_implIS3_NS0_12zip_iteratorINS5_IJN6thrust23THRUST_200600_302600_NS6detail15normal_iteratorINSC_10device_ptrIKiEEEESI_EEEEESK_NSA_INS5_IJNSE_INSF_IiEEEESM_EEEEEPS7_SP_SP_NSC_11hip_rocprim7__merge17predicate_wrapperIiiNSC_7greaterIiEEEEEE10hipError_tPvRmT0_T1_T2_T3_T4_T5_mmT6_P12ihipStream_tbEUlT_E0_NS1_11comp_targetILNS1_3genE2ELNS1_11target_archE906ELNS1_3gpuE6ELNS1_3repE0EEENS1_30default_config_static_selectorELNS0_4arch9wavefront6targetE0EEEvS10_.has_dyn_sized_stack, 0
	.set _ZN7rocprim17ROCPRIM_400000_NS6detail17trampoline_kernelINS0_14default_configENS1_21merge_config_selectorINS0_5tupleIJiiEEENS0_10empty_typeEEEZNS1_10merge_implIS3_NS0_12zip_iteratorINS5_IJN6thrust23THRUST_200600_302600_NS6detail15normal_iteratorINSC_10device_ptrIKiEEEESI_EEEEESK_NSA_INS5_IJNSE_INSF_IiEEEESM_EEEEEPS7_SP_SP_NSC_11hip_rocprim7__merge17predicate_wrapperIiiNSC_7greaterIiEEEEEE10hipError_tPvRmT0_T1_T2_T3_T4_T5_mmT6_P12ihipStream_tbEUlT_E0_NS1_11comp_targetILNS1_3genE2ELNS1_11target_archE906ELNS1_3gpuE6ELNS1_3repE0EEENS1_30default_config_static_selectorELNS0_4arch9wavefront6targetE0EEEvS10_.has_recursion, 0
	.set _ZN7rocprim17ROCPRIM_400000_NS6detail17trampoline_kernelINS0_14default_configENS1_21merge_config_selectorINS0_5tupleIJiiEEENS0_10empty_typeEEEZNS1_10merge_implIS3_NS0_12zip_iteratorINS5_IJN6thrust23THRUST_200600_302600_NS6detail15normal_iteratorINSC_10device_ptrIKiEEEESI_EEEEESK_NSA_INS5_IJNSE_INSF_IiEEEESM_EEEEEPS7_SP_SP_NSC_11hip_rocprim7__merge17predicate_wrapperIiiNSC_7greaterIiEEEEEE10hipError_tPvRmT0_T1_T2_T3_T4_T5_mmT6_P12ihipStream_tbEUlT_E0_NS1_11comp_targetILNS1_3genE2ELNS1_11target_archE906ELNS1_3gpuE6ELNS1_3repE0EEENS1_30default_config_static_selectorELNS0_4arch9wavefront6targetE0EEEvS10_.has_indirect_call, 0
	.section	.AMDGPU.csdata,"",@progbits
; Kernel info:
; codeLenInByte = 0
; TotalNumSgprs: 0
; NumVgprs: 0
; ScratchSize: 0
; MemoryBound: 0
; FloatMode: 240
; IeeeMode: 1
; LDSByteSize: 0 bytes/workgroup (compile time only)
; SGPRBlocks: 0
; VGPRBlocks: 0
; NumSGPRsForWavesPerEU: 1
; NumVGPRsForWavesPerEU: 1
; Occupancy: 16
; WaveLimiterHint : 0
; COMPUTE_PGM_RSRC2:SCRATCH_EN: 0
; COMPUTE_PGM_RSRC2:USER_SGPR: 6
; COMPUTE_PGM_RSRC2:TRAP_HANDLER: 0
; COMPUTE_PGM_RSRC2:TGID_X_EN: 1
; COMPUTE_PGM_RSRC2:TGID_Y_EN: 0
; COMPUTE_PGM_RSRC2:TGID_Z_EN: 0
; COMPUTE_PGM_RSRC2:TIDIG_COMP_CNT: 0
	.section	.text._ZN7rocprim17ROCPRIM_400000_NS6detail17trampoline_kernelINS0_14default_configENS1_21merge_config_selectorINS0_5tupleIJiiEEENS0_10empty_typeEEEZNS1_10merge_implIS3_NS0_12zip_iteratorINS5_IJN6thrust23THRUST_200600_302600_NS6detail15normal_iteratorINSC_10device_ptrIKiEEEESI_EEEEESK_NSA_INS5_IJNSE_INSF_IiEEEESM_EEEEEPS7_SP_SP_NSC_11hip_rocprim7__merge17predicate_wrapperIiiNSC_7greaterIiEEEEEE10hipError_tPvRmT0_T1_T2_T3_T4_T5_mmT6_P12ihipStream_tbEUlT_E0_NS1_11comp_targetILNS1_3genE10ELNS1_11target_archE1201ELNS1_3gpuE5ELNS1_3repE0EEENS1_30default_config_static_selectorELNS0_4arch9wavefront6targetE0EEEvS10_,"axG",@progbits,_ZN7rocprim17ROCPRIM_400000_NS6detail17trampoline_kernelINS0_14default_configENS1_21merge_config_selectorINS0_5tupleIJiiEEENS0_10empty_typeEEEZNS1_10merge_implIS3_NS0_12zip_iteratorINS5_IJN6thrust23THRUST_200600_302600_NS6detail15normal_iteratorINSC_10device_ptrIKiEEEESI_EEEEESK_NSA_INS5_IJNSE_INSF_IiEEEESM_EEEEEPS7_SP_SP_NSC_11hip_rocprim7__merge17predicate_wrapperIiiNSC_7greaterIiEEEEEE10hipError_tPvRmT0_T1_T2_T3_T4_T5_mmT6_P12ihipStream_tbEUlT_E0_NS1_11comp_targetILNS1_3genE10ELNS1_11target_archE1201ELNS1_3gpuE5ELNS1_3repE0EEENS1_30default_config_static_selectorELNS0_4arch9wavefront6targetE0EEEvS10_,comdat
	.protected	_ZN7rocprim17ROCPRIM_400000_NS6detail17trampoline_kernelINS0_14default_configENS1_21merge_config_selectorINS0_5tupleIJiiEEENS0_10empty_typeEEEZNS1_10merge_implIS3_NS0_12zip_iteratorINS5_IJN6thrust23THRUST_200600_302600_NS6detail15normal_iteratorINSC_10device_ptrIKiEEEESI_EEEEESK_NSA_INS5_IJNSE_INSF_IiEEEESM_EEEEEPS7_SP_SP_NSC_11hip_rocprim7__merge17predicate_wrapperIiiNSC_7greaterIiEEEEEE10hipError_tPvRmT0_T1_T2_T3_T4_T5_mmT6_P12ihipStream_tbEUlT_E0_NS1_11comp_targetILNS1_3genE10ELNS1_11target_archE1201ELNS1_3gpuE5ELNS1_3repE0EEENS1_30default_config_static_selectorELNS0_4arch9wavefront6targetE0EEEvS10_ ; -- Begin function _ZN7rocprim17ROCPRIM_400000_NS6detail17trampoline_kernelINS0_14default_configENS1_21merge_config_selectorINS0_5tupleIJiiEEENS0_10empty_typeEEEZNS1_10merge_implIS3_NS0_12zip_iteratorINS5_IJN6thrust23THRUST_200600_302600_NS6detail15normal_iteratorINSC_10device_ptrIKiEEEESI_EEEEESK_NSA_INS5_IJNSE_INSF_IiEEEESM_EEEEEPS7_SP_SP_NSC_11hip_rocprim7__merge17predicate_wrapperIiiNSC_7greaterIiEEEEEE10hipError_tPvRmT0_T1_T2_T3_T4_T5_mmT6_P12ihipStream_tbEUlT_E0_NS1_11comp_targetILNS1_3genE10ELNS1_11target_archE1201ELNS1_3gpuE5ELNS1_3repE0EEENS1_30default_config_static_selectorELNS0_4arch9wavefront6targetE0EEEvS10_
	.globl	_ZN7rocprim17ROCPRIM_400000_NS6detail17trampoline_kernelINS0_14default_configENS1_21merge_config_selectorINS0_5tupleIJiiEEENS0_10empty_typeEEEZNS1_10merge_implIS3_NS0_12zip_iteratorINS5_IJN6thrust23THRUST_200600_302600_NS6detail15normal_iteratorINSC_10device_ptrIKiEEEESI_EEEEESK_NSA_INS5_IJNSE_INSF_IiEEEESM_EEEEEPS7_SP_SP_NSC_11hip_rocprim7__merge17predicate_wrapperIiiNSC_7greaterIiEEEEEE10hipError_tPvRmT0_T1_T2_T3_T4_T5_mmT6_P12ihipStream_tbEUlT_E0_NS1_11comp_targetILNS1_3genE10ELNS1_11target_archE1201ELNS1_3gpuE5ELNS1_3repE0EEENS1_30default_config_static_selectorELNS0_4arch9wavefront6targetE0EEEvS10_
	.p2align	8
	.type	_ZN7rocprim17ROCPRIM_400000_NS6detail17trampoline_kernelINS0_14default_configENS1_21merge_config_selectorINS0_5tupleIJiiEEENS0_10empty_typeEEEZNS1_10merge_implIS3_NS0_12zip_iteratorINS5_IJN6thrust23THRUST_200600_302600_NS6detail15normal_iteratorINSC_10device_ptrIKiEEEESI_EEEEESK_NSA_INS5_IJNSE_INSF_IiEEEESM_EEEEEPS7_SP_SP_NSC_11hip_rocprim7__merge17predicate_wrapperIiiNSC_7greaterIiEEEEEE10hipError_tPvRmT0_T1_T2_T3_T4_T5_mmT6_P12ihipStream_tbEUlT_E0_NS1_11comp_targetILNS1_3genE10ELNS1_11target_archE1201ELNS1_3gpuE5ELNS1_3repE0EEENS1_30default_config_static_selectorELNS0_4arch9wavefront6targetE0EEEvS10_,@function
_ZN7rocprim17ROCPRIM_400000_NS6detail17trampoline_kernelINS0_14default_configENS1_21merge_config_selectorINS0_5tupleIJiiEEENS0_10empty_typeEEEZNS1_10merge_implIS3_NS0_12zip_iteratorINS5_IJN6thrust23THRUST_200600_302600_NS6detail15normal_iteratorINSC_10device_ptrIKiEEEESI_EEEEESK_NSA_INS5_IJNSE_INSF_IiEEEESM_EEEEEPS7_SP_SP_NSC_11hip_rocprim7__merge17predicate_wrapperIiiNSC_7greaterIiEEEEEE10hipError_tPvRmT0_T1_T2_T3_T4_T5_mmT6_P12ihipStream_tbEUlT_E0_NS1_11comp_targetILNS1_3genE10ELNS1_11target_archE1201ELNS1_3gpuE5ELNS1_3repE0EEENS1_30default_config_static_selectorELNS0_4arch9wavefront6targetE0EEEvS10_: ; @_ZN7rocprim17ROCPRIM_400000_NS6detail17trampoline_kernelINS0_14default_configENS1_21merge_config_selectorINS0_5tupleIJiiEEENS0_10empty_typeEEEZNS1_10merge_implIS3_NS0_12zip_iteratorINS5_IJN6thrust23THRUST_200600_302600_NS6detail15normal_iteratorINSC_10device_ptrIKiEEEESI_EEEEESK_NSA_INS5_IJNSE_INSF_IiEEEESM_EEEEEPS7_SP_SP_NSC_11hip_rocprim7__merge17predicate_wrapperIiiNSC_7greaterIiEEEEEE10hipError_tPvRmT0_T1_T2_T3_T4_T5_mmT6_P12ihipStream_tbEUlT_E0_NS1_11comp_targetILNS1_3genE10ELNS1_11target_archE1201ELNS1_3gpuE5ELNS1_3repE0EEENS1_30default_config_static_selectorELNS0_4arch9wavefront6targetE0EEEvS10_
; %bb.0:
	.section	.rodata,"a",@progbits
	.p2align	6, 0x0
	.amdhsa_kernel _ZN7rocprim17ROCPRIM_400000_NS6detail17trampoline_kernelINS0_14default_configENS1_21merge_config_selectorINS0_5tupleIJiiEEENS0_10empty_typeEEEZNS1_10merge_implIS3_NS0_12zip_iteratorINS5_IJN6thrust23THRUST_200600_302600_NS6detail15normal_iteratorINSC_10device_ptrIKiEEEESI_EEEEESK_NSA_INS5_IJNSE_INSF_IiEEEESM_EEEEEPS7_SP_SP_NSC_11hip_rocprim7__merge17predicate_wrapperIiiNSC_7greaterIiEEEEEE10hipError_tPvRmT0_T1_T2_T3_T4_T5_mmT6_P12ihipStream_tbEUlT_E0_NS1_11comp_targetILNS1_3genE10ELNS1_11target_archE1201ELNS1_3gpuE5ELNS1_3repE0EEENS1_30default_config_static_selectorELNS0_4arch9wavefront6targetE0EEEvS10_
		.amdhsa_group_segment_fixed_size 0
		.amdhsa_private_segment_fixed_size 0
		.amdhsa_kernarg_size 112
		.amdhsa_user_sgpr_count 6
		.amdhsa_user_sgpr_private_segment_buffer 1
		.amdhsa_user_sgpr_dispatch_ptr 0
		.amdhsa_user_sgpr_queue_ptr 0
		.amdhsa_user_sgpr_kernarg_segment_ptr 1
		.amdhsa_user_sgpr_dispatch_id 0
		.amdhsa_user_sgpr_flat_scratch_init 0
		.amdhsa_user_sgpr_private_segment_size 0
		.amdhsa_wavefront_size32 1
		.amdhsa_uses_dynamic_stack 0
		.amdhsa_system_sgpr_private_segment_wavefront_offset 0
		.amdhsa_system_sgpr_workgroup_id_x 1
		.amdhsa_system_sgpr_workgroup_id_y 0
		.amdhsa_system_sgpr_workgroup_id_z 0
		.amdhsa_system_sgpr_workgroup_info 0
		.amdhsa_system_vgpr_workitem_id 0
		.amdhsa_next_free_vgpr 1
		.amdhsa_next_free_sgpr 1
		.amdhsa_reserve_vcc 0
		.amdhsa_reserve_flat_scratch 0
		.amdhsa_float_round_mode_32 0
		.amdhsa_float_round_mode_16_64 0
		.amdhsa_float_denorm_mode_32 3
		.amdhsa_float_denorm_mode_16_64 3
		.amdhsa_dx10_clamp 1
		.amdhsa_ieee_mode 1
		.amdhsa_fp16_overflow 0
		.amdhsa_workgroup_processor_mode 1
		.amdhsa_memory_ordered 1
		.amdhsa_forward_progress 1
		.amdhsa_shared_vgpr_count 0
		.amdhsa_exception_fp_ieee_invalid_op 0
		.amdhsa_exception_fp_denorm_src 0
		.amdhsa_exception_fp_ieee_div_zero 0
		.amdhsa_exception_fp_ieee_overflow 0
		.amdhsa_exception_fp_ieee_underflow 0
		.amdhsa_exception_fp_ieee_inexact 0
		.amdhsa_exception_int_div_zero 0
	.end_amdhsa_kernel
	.section	.text._ZN7rocprim17ROCPRIM_400000_NS6detail17trampoline_kernelINS0_14default_configENS1_21merge_config_selectorINS0_5tupleIJiiEEENS0_10empty_typeEEEZNS1_10merge_implIS3_NS0_12zip_iteratorINS5_IJN6thrust23THRUST_200600_302600_NS6detail15normal_iteratorINSC_10device_ptrIKiEEEESI_EEEEESK_NSA_INS5_IJNSE_INSF_IiEEEESM_EEEEEPS7_SP_SP_NSC_11hip_rocprim7__merge17predicate_wrapperIiiNSC_7greaterIiEEEEEE10hipError_tPvRmT0_T1_T2_T3_T4_T5_mmT6_P12ihipStream_tbEUlT_E0_NS1_11comp_targetILNS1_3genE10ELNS1_11target_archE1201ELNS1_3gpuE5ELNS1_3repE0EEENS1_30default_config_static_selectorELNS0_4arch9wavefront6targetE0EEEvS10_,"axG",@progbits,_ZN7rocprim17ROCPRIM_400000_NS6detail17trampoline_kernelINS0_14default_configENS1_21merge_config_selectorINS0_5tupleIJiiEEENS0_10empty_typeEEEZNS1_10merge_implIS3_NS0_12zip_iteratorINS5_IJN6thrust23THRUST_200600_302600_NS6detail15normal_iteratorINSC_10device_ptrIKiEEEESI_EEEEESK_NSA_INS5_IJNSE_INSF_IiEEEESM_EEEEEPS7_SP_SP_NSC_11hip_rocprim7__merge17predicate_wrapperIiiNSC_7greaterIiEEEEEE10hipError_tPvRmT0_T1_T2_T3_T4_T5_mmT6_P12ihipStream_tbEUlT_E0_NS1_11comp_targetILNS1_3genE10ELNS1_11target_archE1201ELNS1_3gpuE5ELNS1_3repE0EEENS1_30default_config_static_selectorELNS0_4arch9wavefront6targetE0EEEvS10_,comdat
.Lfunc_end439:
	.size	_ZN7rocprim17ROCPRIM_400000_NS6detail17trampoline_kernelINS0_14default_configENS1_21merge_config_selectorINS0_5tupleIJiiEEENS0_10empty_typeEEEZNS1_10merge_implIS3_NS0_12zip_iteratorINS5_IJN6thrust23THRUST_200600_302600_NS6detail15normal_iteratorINSC_10device_ptrIKiEEEESI_EEEEESK_NSA_INS5_IJNSE_INSF_IiEEEESM_EEEEEPS7_SP_SP_NSC_11hip_rocprim7__merge17predicate_wrapperIiiNSC_7greaterIiEEEEEE10hipError_tPvRmT0_T1_T2_T3_T4_T5_mmT6_P12ihipStream_tbEUlT_E0_NS1_11comp_targetILNS1_3genE10ELNS1_11target_archE1201ELNS1_3gpuE5ELNS1_3repE0EEENS1_30default_config_static_selectorELNS0_4arch9wavefront6targetE0EEEvS10_, .Lfunc_end439-_ZN7rocprim17ROCPRIM_400000_NS6detail17trampoline_kernelINS0_14default_configENS1_21merge_config_selectorINS0_5tupleIJiiEEENS0_10empty_typeEEEZNS1_10merge_implIS3_NS0_12zip_iteratorINS5_IJN6thrust23THRUST_200600_302600_NS6detail15normal_iteratorINSC_10device_ptrIKiEEEESI_EEEEESK_NSA_INS5_IJNSE_INSF_IiEEEESM_EEEEEPS7_SP_SP_NSC_11hip_rocprim7__merge17predicate_wrapperIiiNSC_7greaterIiEEEEEE10hipError_tPvRmT0_T1_T2_T3_T4_T5_mmT6_P12ihipStream_tbEUlT_E0_NS1_11comp_targetILNS1_3genE10ELNS1_11target_archE1201ELNS1_3gpuE5ELNS1_3repE0EEENS1_30default_config_static_selectorELNS0_4arch9wavefront6targetE0EEEvS10_
                                        ; -- End function
	.set _ZN7rocprim17ROCPRIM_400000_NS6detail17trampoline_kernelINS0_14default_configENS1_21merge_config_selectorINS0_5tupleIJiiEEENS0_10empty_typeEEEZNS1_10merge_implIS3_NS0_12zip_iteratorINS5_IJN6thrust23THRUST_200600_302600_NS6detail15normal_iteratorINSC_10device_ptrIKiEEEESI_EEEEESK_NSA_INS5_IJNSE_INSF_IiEEEESM_EEEEEPS7_SP_SP_NSC_11hip_rocprim7__merge17predicate_wrapperIiiNSC_7greaterIiEEEEEE10hipError_tPvRmT0_T1_T2_T3_T4_T5_mmT6_P12ihipStream_tbEUlT_E0_NS1_11comp_targetILNS1_3genE10ELNS1_11target_archE1201ELNS1_3gpuE5ELNS1_3repE0EEENS1_30default_config_static_selectorELNS0_4arch9wavefront6targetE0EEEvS10_.num_vgpr, 0
	.set _ZN7rocprim17ROCPRIM_400000_NS6detail17trampoline_kernelINS0_14default_configENS1_21merge_config_selectorINS0_5tupleIJiiEEENS0_10empty_typeEEEZNS1_10merge_implIS3_NS0_12zip_iteratorINS5_IJN6thrust23THRUST_200600_302600_NS6detail15normal_iteratorINSC_10device_ptrIKiEEEESI_EEEEESK_NSA_INS5_IJNSE_INSF_IiEEEESM_EEEEEPS7_SP_SP_NSC_11hip_rocprim7__merge17predicate_wrapperIiiNSC_7greaterIiEEEEEE10hipError_tPvRmT0_T1_T2_T3_T4_T5_mmT6_P12ihipStream_tbEUlT_E0_NS1_11comp_targetILNS1_3genE10ELNS1_11target_archE1201ELNS1_3gpuE5ELNS1_3repE0EEENS1_30default_config_static_selectorELNS0_4arch9wavefront6targetE0EEEvS10_.num_agpr, 0
	.set _ZN7rocprim17ROCPRIM_400000_NS6detail17trampoline_kernelINS0_14default_configENS1_21merge_config_selectorINS0_5tupleIJiiEEENS0_10empty_typeEEEZNS1_10merge_implIS3_NS0_12zip_iteratorINS5_IJN6thrust23THRUST_200600_302600_NS6detail15normal_iteratorINSC_10device_ptrIKiEEEESI_EEEEESK_NSA_INS5_IJNSE_INSF_IiEEEESM_EEEEEPS7_SP_SP_NSC_11hip_rocprim7__merge17predicate_wrapperIiiNSC_7greaterIiEEEEEE10hipError_tPvRmT0_T1_T2_T3_T4_T5_mmT6_P12ihipStream_tbEUlT_E0_NS1_11comp_targetILNS1_3genE10ELNS1_11target_archE1201ELNS1_3gpuE5ELNS1_3repE0EEENS1_30default_config_static_selectorELNS0_4arch9wavefront6targetE0EEEvS10_.numbered_sgpr, 0
	.set _ZN7rocprim17ROCPRIM_400000_NS6detail17trampoline_kernelINS0_14default_configENS1_21merge_config_selectorINS0_5tupleIJiiEEENS0_10empty_typeEEEZNS1_10merge_implIS3_NS0_12zip_iteratorINS5_IJN6thrust23THRUST_200600_302600_NS6detail15normal_iteratorINSC_10device_ptrIKiEEEESI_EEEEESK_NSA_INS5_IJNSE_INSF_IiEEEESM_EEEEEPS7_SP_SP_NSC_11hip_rocprim7__merge17predicate_wrapperIiiNSC_7greaterIiEEEEEE10hipError_tPvRmT0_T1_T2_T3_T4_T5_mmT6_P12ihipStream_tbEUlT_E0_NS1_11comp_targetILNS1_3genE10ELNS1_11target_archE1201ELNS1_3gpuE5ELNS1_3repE0EEENS1_30default_config_static_selectorELNS0_4arch9wavefront6targetE0EEEvS10_.num_named_barrier, 0
	.set _ZN7rocprim17ROCPRIM_400000_NS6detail17trampoline_kernelINS0_14default_configENS1_21merge_config_selectorINS0_5tupleIJiiEEENS0_10empty_typeEEEZNS1_10merge_implIS3_NS0_12zip_iteratorINS5_IJN6thrust23THRUST_200600_302600_NS6detail15normal_iteratorINSC_10device_ptrIKiEEEESI_EEEEESK_NSA_INS5_IJNSE_INSF_IiEEEESM_EEEEEPS7_SP_SP_NSC_11hip_rocprim7__merge17predicate_wrapperIiiNSC_7greaterIiEEEEEE10hipError_tPvRmT0_T1_T2_T3_T4_T5_mmT6_P12ihipStream_tbEUlT_E0_NS1_11comp_targetILNS1_3genE10ELNS1_11target_archE1201ELNS1_3gpuE5ELNS1_3repE0EEENS1_30default_config_static_selectorELNS0_4arch9wavefront6targetE0EEEvS10_.private_seg_size, 0
	.set _ZN7rocprim17ROCPRIM_400000_NS6detail17trampoline_kernelINS0_14default_configENS1_21merge_config_selectorINS0_5tupleIJiiEEENS0_10empty_typeEEEZNS1_10merge_implIS3_NS0_12zip_iteratorINS5_IJN6thrust23THRUST_200600_302600_NS6detail15normal_iteratorINSC_10device_ptrIKiEEEESI_EEEEESK_NSA_INS5_IJNSE_INSF_IiEEEESM_EEEEEPS7_SP_SP_NSC_11hip_rocprim7__merge17predicate_wrapperIiiNSC_7greaterIiEEEEEE10hipError_tPvRmT0_T1_T2_T3_T4_T5_mmT6_P12ihipStream_tbEUlT_E0_NS1_11comp_targetILNS1_3genE10ELNS1_11target_archE1201ELNS1_3gpuE5ELNS1_3repE0EEENS1_30default_config_static_selectorELNS0_4arch9wavefront6targetE0EEEvS10_.uses_vcc, 0
	.set _ZN7rocprim17ROCPRIM_400000_NS6detail17trampoline_kernelINS0_14default_configENS1_21merge_config_selectorINS0_5tupleIJiiEEENS0_10empty_typeEEEZNS1_10merge_implIS3_NS0_12zip_iteratorINS5_IJN6thrust23THRUST_200600_302600_NS6detail15normal_iteratorINSC_10device_ptrIKiEEEESI_EEEEESK_NSA_INS5_IJNSE_INSF_IiEEEESM_EEEEEPS7_SP_SP_NSC_11hip_rocprim7__merge17predicate_wrapperIiiNSC_7greaterIiEEEEEE10hipError_tPvRmT0_T1_T2_T3_T4_T5_mmT6_P12ihipStream_tbEUlT_E0_NS1_11comp_targetILNS1_3genE10ELNS1_11target_archE1201ELNS1_3gpuE5ELNS1_3repE0EEENS1_30default_config_static_selectorELNS0_4arch9wavefront6targetE0EEEvS10_.uses_flat_scratch, 0
	.set _ZN7rocprim17ROCPRIM_400000_NS6detail17trampoline_kernelINS0_14default_configENS1_21merge_config_selectorINS0_5tupleIJiiEEENS0_10empty_typeEEEZNS1_10merge_implIS3_NS0_12zip_iteratorINS5_IJN6thrust23THRUST_200600_302600_NS6detail15normal_iteratorINSC_10device_ptrIKiEEEESI_EEEEESK_NSA_INS5_IJNSE_INSF_IiEEEESM_EEEEEPS7_SP_SP_NSC_11hip_rocprim7__merge17predicate_wrapperIiiNSC_7greaterIiEEEEEE10hipError_tPvRmT0_T1_T2_T3_T4_T5_mmT6_P12ihipStream_tbEUlT_E0_NS1_11comp_targetILNS1_3genE10ELNS1_11target_archE1201ELNS1_3gpuE5ELNS1_3repE0EEENS1_30default_config_static_selectorELNS0_4arch9wavefront6targetE0EEEvS10_.has_dyn_sized_stack, 0
	.set _ZN7rocprim17ROCPRIM_400000_NS6detail17trampoline_kernelINS0_14default_configENS1_21merge_config_selectorINS0_5tupleIJiiEEENS0_10empty_typeEEEZNS1_10merge_implIS3_NS0_12zip_iteratorINS5_IJN6thrust23THRUST_200600_302600_NS6detail15normal_iteratorINSC_10device_ptrIKiEEEESI_EEEEESK_NSA_INS5_IJNSE_INSF_IiEEEESM_EEEEEPS7_SP_SP_NSC_11hip_rocprim7__merge17predicate_wrapperIiiNSC_7greaterIiEEEEEE10hipError_tPvRmT0_T1_T2_T3_T4_T5_mmT6_P12ihipStream_tbEUlT_E0_NS1_11comp_targetILNS1_3genE10ELNS1_11target_archE1201ELNS1_3gpuE5ELNS1_3repE0EEENS1_30default_config_static_selectorELNS0_4arch9wavefront6targetE0EEEvS10_.has_recursion, 0
	.set _ZN7rocprim17ROCPRIM_400000_NS6detail17trampoline_kernelINS0_14default_configENS1_21merge_config_selectorINS0_5tupleIJiiEEENS0_10empty_typeEEEZNS1_10merge_implIS3_NS0_12zip_iteratorINS5_IJN6thrust23THRUST_200600_302600_NS6detail15normal_iteratorINSC_10device_ptrIKiEEEESI_EEEEESK_NSA_INS5_IJNSE_INSF_IiEEEESM_EEEEEPS7_SP_SP_NSC_11hip_rocprim7__merge17predicate_wrapperIiiNSC_7greaterIiEEEEEE10hipError_tPvRmT0_T1_T2_T3_T4_T5_mmT6_P12ihipStream_tbEUlT_E0_NS1_11comp_targetILNS1_3genE10ELNS1_11target_archE1201ELNS1_3gpuE5ELNS1_3repE0EEENS1_30default_config_static_selectorELNS0_4arch9wavefront6targetE0EEEvS10_.has_indirect_call, 0
	.section	.AMDGPU.csdata,"",@progbits
; Kernel info:
; codeLenInByte = 0
; TotalNumSgprs: 0
; NumVgprs: 0
; ScratchSize: 0
; MemoryBound: 0
; FloatMode: 240
; IeeeMode: 1
; LDSByteSize: 0 bytes/workgroup (compile time only)
; SGPRBlocks: 0
; VGPRBlocks: 0
; NumSGPRsForWavesPerEU: 1
; NumVGPRsForWavesPerEU: 1
; Occupancy: 16
; WaveLimiterHint : 0
; COMPUTE_PGM_RSRC2:SCRATCH_EN: 0
; COMPUTE_PGM_RSRC2:USER_SGPR: 6
; COMPUTE_PGM_RSRC2:TRAP_HANDLER: 0
; COMPUTE_PGM_RSRC2:TGID_X_EN: 1
; COMPUTE_PGM_RSRC2:TGID_Y_EN: 0
; COMPUTE_PGM_RSRC2:TGID_Z_EN: 0
; COMPUTE_PGM_RSRC2:TIDIG_COMP_CNT: 0
	.section	.text._ZN7rocprim17ROCPRIM_400000_NS6detail17trampoline_kernelINS0_14default_configENS1_21merge_config_selectorINS0_5tupleIJiiEEENS0_10empty_typeEEEZNS1_10merge_implIS3_NS0_12zip_iteratorINS5_IJN6thrust23THRUST_200600_302600_NS6detail15normal_iteratorINSC_10device_ptrIKiEEEESI_EEEEESK_NSA_INS5_IJNSE_INSF_IiEEEESM_EEEEEPS7_SP_SP_NSC_11hip_rocprim7__merge17predicate_wrapperIiiNSC_7greaterIiEEEEEE10hipError_tPvRmT0_T1_T2_T3_T4_T5_mmT6_P12ihipStream_tbEUlT_E0_NS1_11comp_targetILNS1_3genE10ELNS1_11target_archE1200ELNS1_3gpuE4ELNS1_3repE0EEENS1_30default_config_static_selectorELNS0_4arch9wavefront6targetE0EEEvS10_,"axG",@progbits,_ZN7rocprim17ROCPRIM_400000_NS6detail17trampoline_kernelINS0_14default_configENS1_21merge_config_selectorINS0_5tupleIJiiEEENS0_10empty_typeEEEZNS1_10merge_implIS3_NS0_12zip_iteratorINS5_IJN6thrust23THRUST_200600_302600_NS6detail15normal_iteratorINSC_10device_ptrIKiEEEESI_EEEEESK_NSA_INS5_IJNSE_INSF_IiEEEESM_EEEEEPS7_SP_SP_NSC_11hip_rocprim7__merge17predicate_wrapperIiiNSC_7greaterIiEEEEEE10hipError_tPvRmT0_T1_T2_T3_T4_T5_mmT6_P12ihipStream_tbEUlT_E0_NS1_11comp_targetILNS1_3genE10ELNS1_11target_archE1200ELNS1_3gpuE4ELNS1_3repE0EEENS1_30default_config_static_selectorELNS0_4arch9wavefront6targetE0EEEvS10_,comdat
	.protected	_ZN7rocprim17ROCPRIM_400000_NS6detail17trampoline_kernelINS0_14default_configENS1_21merge_config_selectorINS0_5tupleIJiiEEENS0_10empty_typeEEEZNS1_10merge_implIS3_NS0_12zip_iteratorINS5_IJN6thrust23THRUST_200600_302600_NS6detail15normal_iteratorINSC_10device_ptrIKiEEEESI_EEEEESK_NSA_INS5_IJNSE_INSF_IiEEEESM_EEEEEPS7_SP_SP_NSC_11hip_rocprim7__merge17predicate_wrapperIiiNSC_7greaterIiEEEEEE10hipError_tPvRmT0_T1_T2_T3_T4_T5_mmT6_P12ihipStream_tbEUlT_E0_NS1_11comp_targetILNS1_3genE10ELNS1_11target_archE1200ELNS1_3gpuE4ELNS1_3repE0EEENS1_30default_config_static_selectorELNS0_4arch9wavefront6targetE0EEEvS10_ ; -- Begin function _ZN7rocprim17ROCPRIM_400000_NS6detail17trampoline_kernelINS0_14default_configENS1_21merge_config_selectorINS0_5tupleIJiiEEENS0_10empty_typeEEEZNS1_10merge_implIS3_NS0_12zip_iteratorINS5_IJN6thrust23THRUST_200600_302600_NS6detail15normal_iteratorINSC_10device_ptrIKiEEEESI_EEEEESK_NSA_INS5_IJNSE_INSF_IiEEEESM_EEEEEPS7_SP_SP_NSC_11hip_rocprim7__merge17predicate_wrapperIiiNSC_7greaterIiEEEEEE10hipError_tPvRmT0_T1_T2_T3_T4_T5_mmT6_P12ihipStream_tbEUlT_E0_NS1_11comp_targetILNS1_3genE10ELNS1_11target_archE1200ELNS1_3gpuE4ELNS1_3repE0EEENS1_30default_config_static_selectorELNS0_4arch9wavefront6targetE0EEEvS10_
	.globl	_ZN7rocprim17ROCPRIM_400000_NS6detail17trampoline_kernelINS0_14default_configENS1_21merge_config_selectorINS0_5tupleIJiiEEENS0_10empty_typeEEEZNS1_10merge_implIS3_NS0_12zip_iteratorINS5_IJN6thrust23THRUST_200600_302600_NS6detail15normal_iteratorINSC_10device_ptrIKiEEEESI_EEEEESK_NSA_INS5_IJNSE_INSF_IiEEEESM_EEEEEPS7_SP_SP_NSC_11hip_rocprim7__merge17predicate_wrapperIiiNSC_7greaterIiEEEEEE10hipError_tPvRmT0_T1_T2_T3_T4_T5_mmT6_P12ihipStream_tbEUlT_E0_NS1_11comp_targetILNS1_3genE10ELNS1_11target_archE1200ELNS1_3gpuE4ELNS1_3repE0EEENS1_30default_config_static_selectorELNS0_4arch9wavefront6targetE0EEEvS10_
	.p2align	8
	.type	_ZN7rocprim17ROCPRIM_400000_NS6detail17trampoline_kernelINS0_14default_configENS1_21merge_config_selectorINS0_5tupleIJiiEEENS0_10empty_typeEEEZNS1_10merge_implIS3_NS0_12zip_iteratorINS5_IJN6thrust23THRUST_200600_302600_NS6detail15normal_iteratorINSC_10device_ptrIKiEEEESI_EEEEESK_NSA_INS5_IJNSE_INSF_IiEEEESM_EEEEEPS7_SP_SP_NSC_11hip_rocprim7__merge17predicate_wrapperIiiNSC_7greaterIiEEEEEE10hipError_tPvRmT0_T1_T2_T3_T4_T5_mmT6_P12ihipStream_tbEUlT_E0_NS1_11comp_targetILNS1_3genE10ELNS1_11target_archE1200ELNS1_3gpuE4ELNS1_3repE0EEENS1_30default_config_static_selectorELNS0_4arch9wavefront6targetE0EEEvS10_,@function
_ZN7rocprim17ROCPRIM_400000_NS6detail17trampoline_kernelINS0_14default_configENS1_21merge_config_selectorINS0_5tupleIJiiEEENS0_10empty_typeEEEZNS1_10merge_implIS3_NS0_12zip_iteratorINS5_IJN6thrust23THRUST_200600_302600_NS6detail15normal_iteratorINSC_10device_ptrIKiEEEESI_EEEEESK_NSA_INS5_IJNSE_INSF_IiEEEESM_EEEEEPS7_SP_SP_NSC_11hip_rocprim7__merge17predicate_wrapperIiiNSC_7greaterIiEEEEEE10hipError_tPvRmT0_T1_T2_T3_T4_T5_mmT6_P12ihipStream_tbEUlT_E0_NS1_11comp_targetILNS1_3genE10ELNS1_11target_archE1200ELNS1_3gpuE4ELNS1_3repE0EEENS1_30default_config_static_selectorELNS0_4arch9wavefront6targetE0EEEvS10_: ; @_ZN7rocprim17ROCPRIM_400000_NS6detail17trampoline_kernelINS0_14default_configENS1_21merge_config_selectorINS0_5tupleIJiiEEENS0_10empty_typeEEEZNS1_10merge_implIS3_NS0_12zip_iteratorINS5_IJN6thrust23THRUST_200600_302600_NS6detail15normal_iteratorINSC_10device_ptrIKiEEEESI_EEEEESK_NSA_INS5_IJNSE_INSF_IiEEEESM_EEEEEPS7_SP_SP_NSC_11hip_rocprim7__merge17predicate_wrapperIiiNSC_7greaterIiEEEEEE10hipError_tPvRmT0_T1_T2_T3_T4_T5_mmT6_P12ihipStream_tbEUlT_E0_NS1_11comp_targetILNS1_3genE10ELNS1_11target_archE1200ELNS1_3gpuE4ELNS1_3repE0EEENS1_30default_config_static_selectorELNS0_4arch9wavefront6targetE0EEEvS10_
; %bb.0:
	.section	.rodata,"a",@progbits
	.p2align	6, 0x0
	.amdhsa_kernel _ZN7rocprim17ROCPRIM_400000_NS6detail17trampoline_kernelINS0_14default_configENS1_21merge_config_selectorINS0_5tupleIJiiEEENS0_10empty_typeEEEZNS1_10merge_implIS3_NS0_12zip_iteratorINS5_IJN6thrust23THRUST_200600_302600_NS6detail15normal_iteratorINSC_10device_ptrIKiEEEESI_EEEEESK_NSA_INS5_IJNSE_INSF_IiEEEESM_EEEEEPS7_SP_SP_NSC_11hip_rocprim7__merge17predicate_wrapperIiiNSC_7greaterIiEEEEEE10hipError_tPvRmT0_T1_T2_T3_T4_T5_mmT6_P12ihipStream_tbEUlT_E0_NS1_11comp_targetILNS1_3genE10ELNS1_11target_archE1200ELNS1_3gpuE4ELNS1_3repE0EEENS1_30default_config_static_selectorELNS0_4arch9wavefront6targetE0EEEvS10_
		.amdhsa_group_segment_fixed_size 0
		.amdhsa_private_segment_fixed_size 0
		.amdhsa_kernarg_size 112
		.amdhsa_user_sgpr_count 6
		.amdhsa_user_sgpr_private_segment_buffer 1
		.amdhsa_user_sgpr_dispatch_ptr 0
		.amdhsa_user_sgpr_queue_ptr 0
		.amdhsa_user_sgpr_kernarg_segment_ptr 1
		.amdhsa_user_sgpr_dispatch_id 0
		.amdhsa_user_sgpr_flat_scratch_init 0
		.amdhsa_user_sgpr_private_segment_size 0
		.amdhsa_wavefront_size32 1
		.amdhsa_uses_dynamic_stack 0
		.amdhsa_system_sgpr_private_segment_wavefront_offset 0
		.amdhsa_system_sgpr_workgroup_id_x 1
		.amdhsa_system_sgpr_workgroup_id_y 0
		.amdhsa_system_sgpr_workgroup_id_z 0
		.amdhsa_system_sgpr_workgroup_info 0
		.amdhsa_system_vgpr_workitem_id 0
		.amdhsa_next_free_vgpr 1
		.amdhsa_next_free_sgpr 1
		.amdhsa_reserve_vcc 0
		.amdhsa_reserve_flat_scratch 0
		.amdhsa_float_round_mode_32 0
		.amdhsa_float_round_mode_16_64 0
		.amdhsa_float_denorm_mode_32 3
		.amdhsa_float_denorm_mode_16_64 3
		.amdhsa_dx10_clamp 1
		.amdhsa_ieee_mode 1
		.amdhsa_fp16_overflow 0
		.amdhsa_workgroup_processor_mode 1
		.amdhsa_memory_ordered 1
		.amdhsa_forward_progress 1
		.amdhsa_shared_vgpr_count 0
		.amdhsa_exception_fp_ieee_invalid_op 0
		.amdhsa_exception_fp_denorm_src 0
		.amdhsa_exception_fp_ieee_div_zero 0
		.amdhsa_exception_fp_ieee_overflow 0
		.amdhsa_exception_fp_ieee_underflow 0
		.amdhsa_exception_fp_ieee_inexact 0
		.amdhsa_exception_int_div_zero 0
	.end_amdhsa_kernel
	.section	.text._ZN7rocprim17ROCPRIM_400000_NS6detail17trampoline_kernelINS0_14default_configENS1_21merge_config_selectorINS0_5tupleIJiiEEENS0_10empty_typeEEEZNS1_10merge_implIS3_NS0_12zip_iteratorINS5_IJN6thrust23THRUST_200600_302600_NS6detail15normal_iteratorINSC_10device_ptrIKiEEEESI_EEEEESK_NSA_INS5_IJNSE_INSF_IiEEEESM_EEEEEPS7_SP_SP_NSC_11hip_rocprim7__merge17predicate_wrapperIiiNSC_7greaterIiEEEEEE10hipError_tPvRmT0_T1_T2_T3_T4_T5_mmT6_P12ihipStream_tbEUlT_E0_NS1_11comp_targetILNS1_3genE10ELNS1_11target_archE1200ELNS1_3gpuE4ELNS1_3repE0EEENS1_30default_config_static_selectorELNS0_4arch9wavefront6targetE0EEEvS10_,"axG",@progbits,_ZN7rocprim17ROCPRIM_400000_NS6detail17trampoline_kernelINS0_14default_configENS1_21merge_config_selectorINS0_5tupleIJiiEEENS0_10empty_typeEEEZNS1_10merge_implIS3_NS0_12zip_iteratorINS5_IJN6thrust23THRUST_200600_302600_NS6detail15normal_iteratorINSC_10device_ptrIKiEEEESI_EEEEESK_NSA_INS5_IJNSE_INSF_IiEEEESM_EEEEEPS7_SP_SP_NSC_11hip_rocprim7__merge17predicate_wrapperIiiNSC_7greaterIiEEEEEE10hipError_tPvRmT0_T1_T2_T3_T4_T5_mmT6_P12ihipStream_tbEUlT_E0_NS1_11comp_targetILNS1_3genE10ELNS1_11target_archE1200ELNS1_3gpuE4ELNS1_3repE0EEENS1_30default_config_static_selectorELNS0_4arch9wavefront6targetE0EEEvS10_,comdat
.Lfunc_end440:
	.size	_ZN7rocprim17ROCPRIM_400000_NS6detail17trampoline_kernelINS0_14default_configENS1_21merge_config_selectorINS0_5tupleIJiiEEENS0_10empty_typeEEEZNS1_10merge_implIS3_NS0_12zip_iteratorINS5_IJN6thrust23THRUST_200600_302600_NS6detail15normal_iteratorINSC_10device_ptrIKiEEEESI_EEEEESK_NSA_INS5_IJNSE_INSF_IiEEEESM_EEEEEPS7_SP_SP_NSC_11hip_rocprim7__merge17predicate_wrapperIiiNSC_7greaterIiEEEEEE10hipError_tPvRmT0_T1_T2_T3_T4_T5_mmT6_P12ihipStream_tbEUlT_E0_NS1_11comp_targetILNS1_3genE10ELNS1_11target_archE1200ELNS1_3gpuE4ELNS1_3repE0EEENS1_30default_config_static_selectorELNS0_4arch9wavefront6targetE0EEEvS10_, .Lfunc_end440-_ZN7rocprim17ROCPRIM_400000_NS6detail17trampoline_kernelINS0_14default_configENS1_21merge_config_selectorINS0_5tupleIJiiEEENS0_10empty_typeEEEZNS1_10merge_implIS3_NS0_12zip_iteratorINS5_IJN6thrust23THRUST_200600_302600_NS6detail15normal_iteratorINSC_10device_ptrIKiEEEESI_EEEEESK_NSA_INS5_IJNSE_INSF_IiEEEESM_EEEEEPS7_SP_SP_NSC_11hip_rocprim7__merge17predicate_wrapperIiiNSC_7greaterIiEEEEEE10hipError_tPvRmT0_T1_T2_T3_T4_T5_mmT6_P12ihipStream_tbEUlT_E0_NS1_11comp_targetILNS1_3genE10ELNS1_11target_archE1200ELNS1_3gpuE4ELNS1_3repE0EEENS1_30default_config_static_selectorELNS0_4arch9wavefront6targetE0EEEvS10_
                                        ; -- End function
	.set _ZN7rocprim17ROCPRIM_400000_NS6detail17trampoline_kernelINS0_14default_configENS1_21merge_config_selectorINS0_5tupleIJiiEEENS0_10empty_typeEEEZNS1_10merge_implIS3_NS0_12zip_iteratorINS5_IJN6thrust23THRUST_200600_302600_NS6detail15normal_iteratorINSC_10device_ptrIKiEEEESI_EEEEESK_NSA_INS5_IJNSE_INSF_IiEEEESM_EEEEEPS7_SP_SP_NSC_11hip_rocprim7__merge17predicate_wrapperIiiNSC_7greaterIiEEEEEE10hipError_tPvRmT0_T1_T2_T3_T4_T5_mmT6_P12ihipStream_tbEUlT_E0_NS1_11comp_targetILNS1_3genE10ELNS1_11target_archE1200ELNS1_3gpuE4ELNS1_3repE0EEENS1_30default_config_static_selectorELNS0_4arch9wavefront6targetE0EEEvS10_.num_vgpr, 0
	.set _ZN7rocprim17ROCPRIM_400000_NS6detail17trampoline_kernelINS0_14default_configENS1_21merge_config_selectorINS0_5tupleIJiiEEENS0_10empty_typeEEEZNS1_10merge_implIS3_NS0_12zip_iteratorINS5_IJN6thrust23THRUST_200600_302600_NS6detail15normal_iteratorINSC_10device_ptrIKiEEEESI_EEEEESK_NSA_INS5_IJNSE_INSF_IiEEEESM_EEEEEPS7_SP_SP_NSC_11hip_rocprim7__merge17predicate_wrapperIiiNSC_7greaterIiEEEEEE10hipError_tPvRmT0_T1_T2_T3_T4_T5_mmT6_P12ihipStream_tbEUlT_E0_NS1_11comp_targetILNS1_3genE10ELNS1_11target_archE1200ELNS1_3gpuE4ELNS1_3repE0EEENS1_30default_config_static_selectorELNS0_4arch9wavefront6targetE0EEEvS10_.num_agpr, 0
	.set _ZN7rocprim17ROCPRIM_400000_NS6detail17trampoline_kernelINS0_14default_configENS1_21merge_config_selectorINS0_5tupleIJiiEEENS0_10empty_typeEEEZNS1_10merge_implIS3_NS0_12zip_iteratorINS5_IJN6thrust23THRUST_200600_302600_NS6detail15normal_iteratorINSC_10device_ptrIKiEEEESI_EEEEESK_NSA_INS5_IJNSE_INSF_IiEEEESM_EEEEEPS7_SP_SP_NSC_11hip_rocprim7__merge17predicate_wrapperIiiNSC_7greaterIiEEEEEE10hipError_tPvRmT0_T1_T2_T3_T4_T5_mmT6_P12ihipStream_tbEUlT_E0_NS1_11comp_targetILNS1_3genE10ELNS1_11target_archE1200ELNS1_3gpuE4ELNS1_3repE0EEENS1_30default_config_static_selectorELNS0_4arch9wavefront6targetE0EEEvS10_.numbered_sgpr, 0
	.set _ZN7rocprim17ROCPRIM_400000_NS6detail17trampoline_kernelINS0_14default_configENS1_21merge_config_selectorINS0_5tupleIJiiEEENS0_10empty_typeEEEZNS1_10merge_implIS3_NS0_12zip_iteratorINS5_IJN6thrust23THRUST_200600_302600_NS6detail15normal_iteratorINSC_10device_ptrIKiEEEESI_EEEEESK_NSA_INS5_IJNSE_INSF_IiEEEESM_EEEEEPS7_SP_SP_NSC_11hip_rocprim7__merge17predicate_wrapperIiiNSC_7greaterIiEEEEEE10hipError_tPvRmT0_T1_T2_T3_T4_T5_mmT6_P12ihipStream_tbEUlT_E0_NS1_11comp_targetILNS1_3genE10ELNS1_11target_archE1200ELNS1_3gpuE4ELNS1_3repE0EEENS1_30default_config_static_selectorELNS0_4arch9wavefront6targetE0EEEvS10_.num_named_barrier, 0
	.set _ZN7rocprim17ROCPRIM_400000_NS6detail17trampoline_kernelINS0_14default_configENS1_21merge_config_selectorINS0_5tupleIJiiEEENS0_10empty_typeEEEZNS1_10merge_implIS3_NS0_12zip_iteratorINS5_IJN6thrust23THRUST_200600_302600_NS6detail15normal_iteratorINSC_10device_ptrIKiEEEESI_EEEEESK_NSA_INS5_IJNSE_INSF_IiEEEESM_EEEEEPS7_SP_SP_NSC_11hip_rocprim7__merge17predicate_wrapperIiiNSC_7greaterIiEEEEEE10hipError_tPvRmT0_T1_T2_T3_T4_T5_mmT6_P12ihipStream_tbEUlT_E0_NS1_11comp_targetILNS1_3genE10ELNS1_11target_archE1200ELNS1_3gpuE4ELNS1_3repE0EEENS1_30default_config_static_selectorELNS0_4arch9wavefront6targetE0EEEvS10_.private_seg_size, 0
	.set _ZN7rocprim17ROCPRIM_400000_NS6detail17trampoline_kernelINS0_14default_configENS1_21merge_config_selectorINS0_5tupleIJiiEEENS0_10empty_typeEEEZNS1_10merge_implIS3_NS0_12zip_iteratorINS5_IJN6thrust23THRUST_200600_302600_NS6detail15normal_iteratorINSC_10device_ptrIKiEEEESI_EEEEESK_NSA_INS5_IJNSE_INSF_IiEEEESM_EEEEEPS7_SP_SP_NSC_11hip_rocprim7__merge17predicate_wrapperIiiNSC_7greaterIiEEEEEE10hipError_tPvRmT0_T1_T2_T3_T4_T5_mmT6_P12ihipStream_tbEUlT_E0_NS1_11comp_targetILNS1_3genE10ELNS1_11target_archE1200ELNS1_3gpuE4ELNS1_3repE0EEENS1_30default_config_static_selectorELNS0_4arch9wavefront6targetE0EEEvS10_.uses_vcc, 0
	.set _ZN7rocprim17ROCPRIM_400000_NS6detail17trampoline_kernelINS0_14default_configENS1_21merge_config_selectorINS0_5tupleIJiiEEENS0_10empty_typeEEEZNS1_10merge_implIS3_NS0_12zip_iteratorINS5_IJN6thrust23THRUST_200600_302600_NS6detail15normal_iteratorINSC_10device_ptrIKiEEEESI_EEEEESK_NSA_INS5_IJNSE_INSF_IiEEEESM_EEEEEPS7_SP_SP_NSC_11hip_rocprim7__merge17predicate_wrapperIiiNSC_7greaterIiEEEEEE10hipError_tPvRmT0_T1_T2_T3_T4_T5_mmT6_P12ihipStream_tbEUlT_E0_NS1_11comp_targetILNS1_3genE10ELNS1_11target_archE1200ELNS1_3gpuE4ELNS1_3repE0EEENS1_30default_config_static_selectorELNS0_4arch9wavefront6targetE0EEEvS10_.uses_flat_scratch, 0
	.set _ZN7rocprim17ROCPRIM_400000_NS6detail17trampoline_kernelINS0_14default_configENS1_21merge_config_selectorINS0_5tupleIJiiEEENS0_10empty_typeEEEZNS1_10merge_implIS3_NS0_12zip_iteratorINS5_IJN6thrust23THRUST_200600_302600_NS6detail15normal_iteratorINSC_10device_ptrIKiEEEESI_EEEEESK_NSA_INS5_IJNSE_INSF_IiEEEESM_EEEEEPS7_SP_SP_NSC_11hip_rocprim7__merge17predicate_wrapperIiiNSC_7greaterIiEEEEEE10hipError_tPvRmT0_T1_T2_T3_T4_T5_mmT6_P12ihipStream_tbEUlT_E0_NS1_11comp_targetILNS1_3genE10ELNS1_11target_archE1200ELNS1_3gpuE4ELNS1_3repE0EEENS1_30default_config_static_selectorELNS0_4arch9wavefront6targetE0EEEvS10_.has_dyn_sized_stack, 0
	.set _ZN7rocprim17ROCPRIM_400000_NS6detail17trampoline_kernelINS0_14default_configENS1_21merge_config_selectorINS0_5tupleIJiiEEENS0_10empty_typeEEEZNS1_10merge_implIS3_NS0_12zip_iteratorINS5_IJN6thrust23THRUST_200600_302600_NS6detail15normal_iteratorINSC_10device_ptrIKiEEEESI_EEEEESK_NSA_INS5_IJNSE_INSF_IiEEEESM_EEEEEPS7_SP_SP_NSC_11hip_rocprim7__merge17predicate_wrapperIiiNSC_7greaterIiEEEEEE10hipError_tPvRmT0_T1_T2_T3_T4_T5_mmT6_P12ihipStream_tbEUlT_E0_NS1_11comp_targetILNS1_3genE10ELNS1_11target_archE1200ELNS1_3gpuE4ELNS1_3repE0EEENS1_30default_config_static_selectorELNS0_4arch9wavefront6targetE0EEEvS10_.has_recursion, 0
	.set _ZN7rocprim17ROCPRIM_400000_NS6detail17trampoline_kernelINS0_14default_configENS1_21merge_config_selectorINS0_5tupleIJiiEEENS0_10empty_typeEEEZNS1_10merge_implIS3_NS0_12zip_iteratorINS5_IJN6thrust23THRUST_200600_302600_NS6detail15normal_iteratorINSC_10device_ptrIKiEEEESI_EEEEESK_NSA_INS5_IJNSE_INSF_IiEEEESM_EEEEEPS7_SP_SP_NSC_11hip_rocprim7__merge17predicate_wrapperIiiNSC_7greaterIiEEEEEE10hipError_tPvRmT0_T1_T2_T3_T4_T5_mmT6_P12ihipStream_tbEUlT_E0_NS1_11comp_targetILNS1_3genE10ELNS1_11target_archE1200ELNS1_3gpuE4ELNS1_3repE0EEENS1_30default_config_static_selectorELNS0_4arch9wavefront6targetE0EEEvS10_.has_indirect_call, 0
	.section	.AMDGPU.csdata,"",@progbits
; Kernel info:
; codeLenInByte = 0
; TotalNumSgprs: 0
; NumVgprs: 0
; ScratchSize: 0
; MemoryBound: 0
; FloatMode: 240
; IeeeMode: 1
; LDSByteSize: 0 bytes/workgroup (compile time only)
; SGPRBlocks: 0
; VGPRBlocks: 0
; NumSGPRsForWavesPerEU: 1
; NumVGPRsForWavesPerEU: 1
; Occupancy: 16
; WaveLimiterHint : 0
; COMPUTE_PGM_RSRC2:SCRATCH_EN: 0
; COMPUTE_PGM_RSRC2:USER_SGPR: 6
; COMPUTE_PGM_RSRC2:TRAP_HANDLER: 0
; COMPUTE_PGM_RSRC2:TGID_X_EN: 1
; COMPUTE_PGM_RSRC2:TGID_Y_EN: 0
; COMPUTE_PGM_RSRC2:TGID_Z_EN: 0
; COMPUTE_PGM_RSRC2:TIDIG_COMP_CNT: 0
	.section	.text._ZN7rocprim17ROCPRIM_400000_NS6detail17trampoline_kernelINS0_14default_configENS1_21merge_config_selectorINS0_5tupleIJiiEEENS0_10empty_typeEEEZNS1_10merge_implIS3_NS0_12zip_iteratorINS5_IJN6thrust23THRUST_200600_302600_NS6detail15normal_iteratorINSC_10device_ptrIKiEEEESI_EEEEESK_NSA_INS5_IJNSE_INSF_IiEEEESM_EEEEEPS7_SP_SP_NSC_11hip_rocprim7__merge17predicate_wrapperIiiNSC_7greaterIiEEEEEE10hipError_tPvRmT0_T1_T2_T3_T4_T5_mmT6_P12ihipStream_tbEUlT_E0_NS1_11comp_targetILNS1_3genE9ELNS1_11target_archE1100ELNS1_3gpuE3ELNS1_3repE0EEENS1_30default_config_static_selectorELNS0_4arch9wavefront6targetE0EEEvS10_,"axG",@progbits,_ZN7rocprim17ROCPRIM_400000_NS6detail17trampoline_kernelINS0_14default_configENS1_21merge_config_selectorINS0_5tupleIJiiEEENS0_10empty_typeEEEZNS1_10merge_implIS3_NS0_12zip_iteratorINS5_IJN6thrust23THRUST_200600_302600_NS6detail15normal_iteratorINSC_10device_ptrIKiEEEESI_EEEEESK_NSA_INS5_IJNSE_INSF_IiEEEESM_EEEEEPS7_SP_SP_NSC_11hip_rocprim7__merge17predicate_wrapperIiiNSC_7greaterIiEEEEEE10hipError_tPvRmT0_T1_T2_T3_T4_T5_mmT6_P12ihipStream_tbEUlT_E0_NS1_11comp_targetILNS1_3genE9ELNS1_11target_archE1100ELNS1_3gpuE3ELNS1_3repE0EEENS1_30default_config_static_selectorELNS0_4arch9wavefront6targetE0EEEvS10_,comdat
	.protected	_ZN7rocprim17ROCPRIM_400000_NS6detail17trampoline_kernelINS0_14default_configENS1_21merge_config_selectorINS0_5tupleIJiiEEENS0_10empty_typeEEEZNS1_10merge_implIS3_NS0_12zip_iteratorINS5_IJN6thrust23THRUST_200600_302600_NS6detail15normal_iteratorINSC_10device_ptrIKiEEEESI_EEEEESK_NSA_INS5_IJNSE_INSF_IiEEEESM_EEEEEPS7_SP_SP_NSC_11hip_rocprim7__merge17predicate_wrapperIiiNSC_7greaterIiEEEEEE10hipError_tPvRmT0_T1_T2_T3_T4_T5_mmT6_P12ihipStream_tbEUlT_E0_NS1_11comp_targetILNS1_3genE9ELNS1_11target_archE1100ELNS1_3gpuE3ELNS1_3repE0EEENS1_30default_config_static_selectorELNS0_4arch9wavefront6targetE0EEEvS10_ ; -- Begin function _ZN7rocprim17ROCPRIM_400000_NS6detail17trampoline_kernelINS0_14default_configENS1_21merge_config_selectorINS0_5tupleIJiiEEENS0_10empty_typeEEEZNS1_10merge_implIS3_NS0_12zip_iteratorINS5_IJN6thrust23THRUST_200600_302600_NS6detail15normal_iteratorINSC_10device_ptrIKiEEEESI_EEEEESK_NSA_INS5_IJNSE_INSF_IiEEEESM_EEEEEPS7_SP_SP_NSC_11hip_rocprim7__merge17predicate_wrapperIiiNSC_7greaterIiEEEEEE10hipError_tPvRmT0_T1_T2_T3_T4_T5_mmT6_P12ihipStream_tbEUlT_E0_NS1_11comp_targetILNS1_3genE9ELNS1_11target_archE1100ELNS1_3gpuE3ELNS1_3repE0EEENS1_30default_config_static_selectorELNS0_4arch9wavefront6targetE0EEEvS10_
	.globl	_ZN7rocprim17ROCPRIM_400000_NS6detail17trampoline_kernelINS0_14default_configENS1_21merge_config_selectorINS0_5tupleIJiiEEENS0_10empty_typeEEEZNS1_10merge_implIS3_NS0_12zip_iteratorINS5_IJN6thrust23THRUST_200600_302600_NS6detail15normal_iteratorINSC_10device_ptrIKiEEEESI_EEEEESK_NSA_INS5_IJNSE_INSF_IiEEEESM_EEEEEPS7_SP_SP_NSC_11hip_rocprim7__merge17predicate_wrapperIiiNSC_7greaterIiEEEEEE10hipError_tPvRmT0_T1_T2_T3_T4_T5_mmT6_P12ihipStream_tbEUlT_E0_NS1_11comp_targetILNS1_3genE9ELNS1_11target_archE1100ELNS1_3gpuE3ELNS1_3repE0EEENS1_30default_config_static_selectorELNS0_4arch9wavefront6targetE0EEEvS10_
	.p2align	8
	.type	_ZN7rocprim17ROCPRIM_400000_NS6detail17trampoline_kernelINS0_14default_configENS1_21merge_config_selectorINS0_5tupleIJiiEEENS0_10empty_typeEEEZNS1_10merge_implIS3_NS0_12zip_iteratorINS5_IJN6thrust23THRUST_200600_302600_NS6detail15normal_iteratorINSC_10device_ptrIKiEEEESI_EEEEESK_NSA_INS5_IJNSE_INSF_IiEEEESM_EEEEEPS7_SP_SP_NSC_11hip_rocprim7__merge17predicate_wrapperIiiNSC_7greaterIiEEEEEE10hipError_tPvRmT0_T1_T2_T3_T4_T5_mmT6_P12ihipStream_tbEUlT_E0_NS1_11comp_targetILNS1_3genE9ELNS1_11target_archE1100ELNS1_3gpuE3ELNS1_3repE0EEENS1_30default_config_static_selectorELNS0_4arch9wavefront6targetE0EEEvS10_,@function
_ZN7rocprim17ROCPRIM_400000_NS6detail17trampoline_kernelINS0_14default_configENS1_21merge_config_selectorINS0_5tupleIJiiEEENS0_10empty_typeEEEZNS1_10merge_implIS3_NS0_12zip_iteratorINS5_IJN6thrust23THRUST_200600_302600_NS6detail15normal_iteratorINSC_10device_ptrIKiEEEESI_EEEEESK_NSA_INS5_IJNSE_INSF_IiEEEESM_EEEEEPS7_SP_SP_NSC_11hip_rocprim7__merge17predicate_wrapperIiiNSC_7greaterIiEEEEEE10hipError_tPvRmT0_T1_T2_T3_T4_T5_mmT6_P12ihipStream_tbEUlT_E0_NS1_11comp_targetILNS1_3genE9ELNS1_11target_archE1100ELNS1_3gpuE3ELNS1_3repE0EEENS1_30default_config_static_selectorELNS0_4arch9wavefront6targetE0EEEvS10_: ; @_ZN7rocprim17ROCPRIM_400000_NS6detail17trampoline_kernelINS0_14default_configENS1_21merge_config_selectorINS0_5tupleIJiiEEENS0_10empty_typeEEEZNS1_10merge_implIS3_NS0_12zip_iteratorINS5_IJN6thrust23THRUST_200600_302600_NS6detail15normal_iteratorINSC_10device_ptrIKiEEEESI_EEEEESK_NSA_INS5_IJNSE_INSF_IiEEEESM_EEEEEPS7_SP_SP_NSC_11hip_rocprim7__merge17predicate_wrapperIiiNSC_7greaterIiEEEEEE10hipError_tPvRmT0_T1_T2_T3_T4_T5_mmT6_P12ihipStream_tbEUlT_E0_NS1_11comp_targetILNS1_3genE9ELNS1_11target_archE1100ELNS1_3gpuE3ELNS1_3repE0EEENS1_30default_config_static_selectorELNS0_4arch9wavefront6targetE0EEEvS10_
; %bb.0:
	.section	.rodata,"a",@progbits
	.p2align	6, 0x0
	.amdhsa_kernel _ZN7rocprim17ROCPRIM_400000_NS6detail17trampoline_kernelINS0_14default_configENS1_21merge_config_selectorINS0_5tupleIJiiEEENS0_10empty_typeEEEZNS1_10merge_implIS3_NS0_12zip_iteratorINS5_IJN6thrust23THRUST_200600_302600_NS6detail15normal_iteratorINSC_10device_ptrIKiEEEESI_EEEEESK_NSA_INS5_IJNSE_INSF_IiEEEESM_EEEEEPS7_SP_SP_NSC_11hip_rocprim7__merge17predicate_wrapperIiiNSC_7greaterIiEEEEEE10hipError_tPvRmT0_T1_T2_T3_T4_T5_mmT6_P12ihipStream_tbEUlT_E0_NS1_11comp_targetILNS1_3genE9ELNS1_11target_archE1100ELNS1_3gpuE3ELNS1_3repE0EEENS1_30default_config_static_selectorELNS0_4arch9wavefront6targetE0EEEvS10_
		.amdhsa_group_segment_fixed_size 0
		.amdhsa_private_segment_fixed_size 0
		.amdhsa_kernarg_size 112
		.amdhsa_user_sgpr_count 6
		.amdhsa_user_sgpr_private_segment_buffer 1
		.amdhsa_user_sgpr_dispatch_ptr 0
		.amdhsa_user_sgpr_queue_ptr 0
		.amdhsa_user_sgpr_kernarg_segment_ptr 1
		.amdhsa_user_sgpr_dispatch_id 0
		.amdhsa_user_sgpr_flat_scratch_init 0
		.amdhsa_user_sgpr_private_segment_size 0
		.amdhsa_wavefront_size32 1
		.amdhsa_uses_dynamic_stack 0
		.amdhsa_system_sgpr_private_segment_wavefront_offset 0
		.amdhsa_system_sgpr_workgroup_id_x 1
		.amdhsa_system_sgpr_workgroup_id_y 0
		.amdhsa_system_sgpr_workgroup_id_z 0
		.amdhsa_system_sgpr_workgroup_info 0
		.amdhsa_system_vgpr_workitem_id 0
		.amdhsa_next_free_vgpr 1
		.amdhsa_next_free_sgpr 1
		.amdhsa_reserve_vcc 0
		.amdhsa_reserve_flat_scratch 0
		.amdhsa_float_round_mode_32 0
		.amdhsa_float_round_mode_16_64 0
		.amdhsa_float_denorm_mode_32 3
		.amdhsa_float_denorm_mode_16_64 3
		.amdhsa_dx10_clamp 1
		.amdhsa_ieee_mode 1
		.amdhsa_fp16_overflow 0
		.amdhsa_workgroup_processor_mode 1
		.amdhsa_memory_ordered 1
		.amdhsa_forward_progress 1
		.amdhsa_shared_vgpr_count 0
		.amdhsa_exception_fp_ieee_invalid_op 0
		.amdhsa_exception_fp_denorm_src 0
		.amdhsa_exception_fp_ieee_div_zero 0
		.amdhsa_exception_fp_ieee_overflow 0
		.amdhsa_exception_fp_ieee_underflow 0
		.amdhsa_exception_fp_ieee_inexact 0
		.amdhsa_exception_int_div_zero 0
	.end_amdhsa_kernel
	.section	.text._ZN7rocprim17ROCPRIM_400000_NS6detail17trampoline_kernelINS0_14default_configENS1_21merge_config_selectorINS0_5tupleIJiiEEENS0_10empty_typeEEEZNS1_10merge_implIS3_NS0_12zip_iteratorINS5_IJN6thrust23THRUST_200600_302600_NS6detail15normal_iteratorINSC_10device_ptrIKiEEEESI_EEEEESK_NSA_INS5_IJNSE_INSF_IiEEEESM_EEEEEPS7_SP_SP_NSC_11hip_rocprim7__merge17predicate_wrapperIiiNSC_7greaterIiEEEEEE10hipError_tPvRmT0_T1_T2_T3_T4_T5_mmT6_P12ihipStream_tbEUlT_E0_NS1_11comp_targetILNS1_3genE9ELNS1_11target_archE1100ELNS1_3gpuE3ELNS1_3repE0EEENS1_30default_config_static_selectorELNS0_4arch9wavefront6targetE0EEEvS10_,"axG",@progbits,_ZN7rocprim17ROCPRIM_400000_NS6detail17trampoline_kernelINS0_14default_configENS1_21merge_config_selectorINS0_5tupleIJiiEEENS0_10empty_typeEEEZNS1_10merge_implIS3_NS0_12zip_iteratorINS5_IJN6thrust23THRUST_200600_302600_NS6detail15normal_iteratorINSC_10device_ptrIKiEEEESI_EEEEESK_NSA_INS5_IJNSE_INSF_IiEEEESM_EEEEEPS7_SP_SP_NSC_11hip_rocprim7__merge17predicate_wrapperIiiNSC_7greaterIiEEEEEE10hipError_tPvRmT0_T1_T2_T3_T4_T5_mmT6_P12ihipStream_tbEUlT_E0_NS1_11comp_targetILNS1_3genE9ELNS1_11target_archE1100ELNS1_3gpuE3ELNS1_3repE0EEENS1_30default_config_static_selectorELNS0_4arch9wavefront6targetE0EEEvS10_,comdat
.Lfunc_end441:
	.size	_ZN7rocprim17ROCPRIM_400000_NS6detail17trampoline_kernelINS0_14default_configENS1_21merge_config_selectorINS0_5tupleIJiiEEENS0_10empty_typeEEEZNS1_10merge_implIS3_NS0_12zip_iteratorINS5_IJN6thrust23THRUST_200600_302600_NS6detail15normal_iteratorINSC_10device_ptrIKiEEEESI_EEEEESK_NSA_INS5_IJNSE_INSF_IiEEEESM_EEEEEPS7_SP_SP_NSC_11hip_rocprim7__merge17predicate_wrapperIiiNSC_7greaterIiEEEEEE10hipError_tPvRmT0_T1_T2_T3_T4_T5_mmT6_P12ihipStream_tbEUlT_E0_NS1_11comp_targetILNS1_3genE9ELNS1_11target_archE1100ELNS1_3gpuE3ELNS1_3repE0EEENS1_30default_config_static_selectorELNS0_4arch9wavefront6targetE0EEEvS10_, .Lfunc_end441-_ZN7rocprim17ROCPRIM_400000_NS6detail17trampoline_kernelINS0_14default_configENS1_21merge_config_selectorINS0_5tupleIJiiEEENS0_10empty_typeEEEZNS1_10merge_implIS3_NS0_12zip_iteratorINS5_IJN6thrust23THRUST_200600_302600_NS6detail15normal_iteratorINSC_10device_ptrIKiEEEESI_EEEEESK_NSA_INS5_IJNSE_INSF_IiEEEESM_EEEEEPS7_SP_SP_NSC_11hip_rocprim7__merge17predicate_wrapperIiiNSC_7greaterIiEEEEEE10hipError_tPvRmT0_T1_T2_T3_T4_T5_mmT6_P12ihipStream_tbEUlT_E0_NS1_11comp_targetILNS1_3genE9ELNS1_11target_archE1100ELNS1_3gpuE3ELNS1_3repE0EEENS1_30default_config_static_selectorELNS0_4arch9wavefront6targetE0EEEvS10_
                                        ; -- End function
	.set _ZN7rocprim17ROCPRIM_400000_NS6detail17trampoline_kernelINS0_14default_configENS1_21merge_config_selectorINS0_5tupleIJiiEEENS0_10empty_typeEEEZNS1_10merge_implIS3_NS0_12zip_iteratorINS5_IJN6thrust23THRUST_200600_302600_NS6detail15normal_iteratorINSC_10device_ptrIKiEEEESI_EEEEESK_NSA_INS5_IJNSE_INSF_IiEEEESM_EEEEEPS7_SP_SP_NSC_11hip_rocprim7__merge17predicate_wrapperIiiNSC_7greaterIiEEEEEE10hipError_tPvRmT0_T1_T2_T3_T4_T5_mmT6_P12ihipStream_tbEUlT_E0_NS1_11comp_targetILNS1_3genE9ELNS1_11target_archE1100ELNS1_3gpuE3ELNS1_3repE0EEENS1_30default_config_static_selectorELNS0_4arch9wavefront6targetE0EEEvS10_.num_vgpr, 0
	.set _ZN7rocprim17ROCPRIM_400000_NS6detail17trampoline_kernelINS0_14default_configENS1_21merge_config_selectorINS0_5tupleIJiiEEENS0_10empty_typeEEEZNS1_10merge_implIS3_NS0_12zip_iteratorINS5_IJN6thrust23THRUST_200600_302600_NS6detail15normal_iteratorINSC_10device_ptrIKiEEEESI_EEEEESK_NSA_INS5_IJNSE_INSF_IiEEEESM_EEEEEPS7_SP_SP_NSC_11hip_rocprim7__merge17predicate_wrapperIiiNSC_7greaterIiEEEEEE10hipError_tPvRmT0_T1_T2_T3_T4_T5_mmT6_P12ihipStream_tbEUlT_E0_NS1_11comp_targetILNS1_3genE9ELNS1_11target_archE1100ELNS1_3gpuE3ELNS1_3repE0EEENS1_30default_config_static_selectorELNS0_4arch9wavefront6targetE0EEEvS10_.num_agpr, 0
	.set _ZN7rocprim17ROCPRIM_400000_NS6detail17trampoline_kernelINS0_14default_configENS1_21merge_config_selectorINS0_5tupleIJiiEEENS0_10empty_typeEEEZNS1_10merge_implIS3_NS0_12zip_iteratorINS5_IJN6thrust23THRUST_200600_302600_NS6detail15normal_iteratorINSC_10device_ptrIKiEEEESI_EEEEESK_NSA_INS5_IJNSE_INSF_IiEEEESM_EEEEEPS7_SP_SP_NSC_11hip_rocprim7__merge17predicate_wrapperIiiNSC_7greaterIiEEEEEE10hipError_tPvRmT0_T1_T2_T3_T4_T5_mmT6_P12ihipStream_tbEUlT_E0_NS1_11comp_targetILNS1_3genE9ELNS1_11target_archE1100ELNS1_3gpuE3ELNS1_3repE0EEENS1_30default_config_static_selectorELNS0_4arch9wavefront6targetE0EEEvS10_.numbered_sgpr, 0
	.set _ZN7rocprim17ROCPRIM_400000_NS6detail17trampoline_kernelINS0_14default_configENS1_21merge_config_selectorINS0_5tupleIJiiEEENS0_10empty_typeEEEZNS1_10merge_implIS3_NS0_12zip_iteratorINS5_IJN6thrust23THRUST_200600_302600_NS6detail15normal_iteratorINSC_10device_ptrIKiEEEESI_EEEEESK_NSA_INS5_IJNSE_INSF_IiEEEESM_EEEEEPS7_SP_SP_NSC_11hip_rocprim7__merge17predicate_wrapperIiiNSC_7greaterIiEEEEEE10hipError_tPvRmT0_T1_T2_T3_T4_T5_mmT6_P12ihipStream_tbEUlT_E0_NS1_11comp_targetILNS1_3genE9ELNS1_11target_archE1100ELNS1_3gpuE3ELNS1_3repE0EEENS1_30default_config_static_selectorELNS0_4arch9wavefront6targetE0EEEvS10_.num_named_barrier, 0
	.set _ZN7rocprim17ROCPRIM_400000_NS6detail17trampoline_kernelINS0_14default_configENS1_21merge_config_selectorINS0_5tupleIJiiEEENS0_10empty_typeEEEZNS1_10merge_implIS3_NS0_12zip_iteratorINS5_IJN6thrust23THRUST_200600_302600_NS6detail15normal_iteratorINSC_10device_ptrIKiEEEESI_EEEEESK_NSA_INS5_IJNSE_INSF_IiEEEESM_EEEEEPS7_SP_SP_NSC_11hip_rocprim7__merge17predicate_wrapperIiiNSC_7greaterIiEEEEEE10hipError_tPvRmT0_T1_T2_T3_T4_T5_mmT6_P12ihipStream_tbEUlT_E0_NS1_11comp_targetILNS1_3genE9ELNS1_11target_archE1100ELNS1_3gpuE3ELNS1_3repE0EEENS1_30default_config_static_selectorELNS0_4arch9wavefront6targetE0EEEvS10_.private_seg_size, 0
	.set _ZN7rocprim17ROCPRIM_400000_NS6detail17trampoline_kernelINS0_14default_configENS1_21merge_config_selectorINS0_5tupleIJiiEEENS0_10empty_typeEEEZNS1_10merge_implIS3_NS0_12zip_iteratorINS5_IJN6thrust23THRUST_200600_302600_NS6detail15normal_iteratorINSC_10device_ptrIKiEEEESI_EEEEESK_NSA_INS5_IJNSE_INSF_IiEEEESM_EEEEEPS7_SP_SP_NSC_11hip_rocprim7__merge17predicate_wrapperIiiNSC_7greaterIiEEEEEE10hipError_tPvRmT0_T1_T2_T3_T4_T5_mmT6_P12ihipStream_tbEUlT_E0_NS1_11comp_targetILNS1_3genE9ELNS1_11target_archE1100ELNS1_3gpuE3ELNS1_3repE0EEENS1_30default_config_static_selectorELNS0_4arch9wavefront6targetE0EEEvS10_.uses_vcc, 0
	.set _ZN7rocprim17ROCPRIM_400000_NS6detail17trampoline_kernelINS0_14default_configENS1_21merge_config_selectorINS0_5tupleIJiiEEENS0_10empty_typeEEEZNS1_10merge_implIS3_NS0_12zip_iteratorINS5_IJN6thrust23THRUST_200600_302600_NS6detail15normal_iteratorINSC_10device_ptrIKiEEEESI_EEEEESK_NSA_INS5_IJNSE_INSF_IiEEEESM_EEEEEPS7_SP_SP_NSC_11hip_rocprim7__merge17predicate_wrapperIiiNSC_7greaterIiEEEEEE10hipError_tPvRmT0_T1_T2_T3_T4_T5_mmT6_P12ihipStream_tbEUlT_E0_NS1_11comp_targetILNS1_3genE9ELNS1_11target_archE1100ELNS1_3gpuE3ELNS1_3repE0EEENS1_30default_config_static_selectorELNS0_4arch9wavefront6targetE0EEEvS10_.uses_flat_scratch, 0
	.set _ZN7rocprim17ROCPRIM_400000_NS6detail17trampoline_kernelINS0_14default_configENS1_21merge_config_selectorINS0_5tupleIJiiEEENS0_10empty_typeEEEZNS1_10merge_implIS3_NS0_12zip_iteratorINS5_IJN6thrust23THRUST_200600_302600_NS6detail15normal_iteratorINSC_10device_ptrIKiEEEESI_EEEEESK_NSA_INS5_IJNSE_INSF_IiEEEESM_EEEEEPS7_SP_SP_NSC_11hip_rocprim7__merge17predicate_wrapperIiiNSC_7greaterIiEEEEEE10hipError_tPvRmT0_T1_T2_T3_T4_T5_mmT6_P12ihipStream_tbEUlT_E0_NS1_11comp_targetILNS1_3genE9ELNS1_11target_archE1100ELNS1_3gpuE3ELNS1_3repE0EEENS1_30default_config_static_selectorELNS0_4arch9wavefront6targetE0EEEvS10_.has_dyn_sized_stack, 0
	.set _ZN7rocprim17ROCPRIM_400000_NS6detail17trampoline_kernelINS0_14default_configENS1_21merge_config_selectorINS0_5tupleIJiiEEENS0_10empty_typeEEEZNS1_10merge_implIS3_NS0_12zip_iteratorINS5_IJN6thrust23THRUST_200600_302600_NS6detail15normal_iteratorINSC_10device_ptrIKiEEEESI_EEEEESK_NSA_INS5_IJNSE_INSF_IiEEEESM_EEEEEPS7_SP_SP_NSC_11hip_rocprim7__merge17predicate_wrapperIiiNSC_7greaterIiEEEEEE10hipError_tPvRmT0_T1_T2_T3_T4_T5_mmT6_P12ihipStream_tbEUlT_E0_NS1_11comp_targetILNS1_3genE9ELNS1_11target_archE1100ELNS1_3gpuE3ELNS1_3repE0EEENS1_30default_config_static_selectorELNS0_4arch9wavefront6targetE0EEEvS10_.has_recursion, 0
	.set _ZN7rocprim17ROCPRIM_400000_NS6detail17trampoline_kernelINS0_14default_configENS1_21merge_config_selectorINS0_5tupleIJiiEEENS0_10empty_typeEEEZNS1_10merge_implIS3_NS0_12zip_iteratorINS5_IJN6thrust23THRUST_200600_302600_NS6detail15normal_iteratorINSC_10device_ptrIKiEEEESI_EEEEESK_NSA_INS5_IJNSE_INSF_IiEEEESM_EEEEEPS7_SP_SP_NSC_11hip_rocprim7__merge17predicate_wrapperIiiNSC_7greaterIiEEEEEE10hipError_tPvRmT0_T1_T2_T3_T4_T5_mmT6_P12ihipStream_tbEUlT_E0_NS1_11comp_targetILNS1_3genE9ELNS1_11target_archE1100ELNS1_3gpuE3ELNS1_3repE0EEENS1_30default_config_static_selectorELNS0_4arch9wavefront6targetE0EEEvS10_.has_indirect_call, 0
	.section	.AMDGPU.csdata,"",@progbits
; Kernel info:
; codeLenInByte = 0
; TotalNumSgprs: 0
; NumVgprs: 0
; ScratchSize: 0
; MemoryBound: 0
; FloatMode: 240
; IeeeMode: 1
; LDSByteSize: 0 bytes/workgroup (compile time only)
; SGPRBlocks: 0
; VGPRBlocks: 0
; NumSGPRsForWavesPerEU: 1
; NumVGPRsForWavesPerEU: 1
; Occupancy: 16
; WaveLimiterHint : 0
; COMPUTE_PGM_RSRC2:SCRATCH_EN: 0
; COMPUTE_PGM_RSRC2:USER_SGPR: 6
; COMPUTE_PGM_RSRC2:TRAP_HANDLER: 0
; COMPUTE_PGM_RSRC2:TGID_X_EN: 1
; COMPUTE_PGM_RSRC2:TGID_Y_EN: 0
; COMPUTE_PGM_RSRC2:TGID_Z_EN: 0
; COMPUTE_PGM_RSRC2:TIDIG_COMP_CNT: 0
	.section	.text._ZN7rocprim17ROCPRIM_400000_NS6detail17trampoline_kernelINS0_14default_configENS1_21merge_config_selectorINS0_5tupleIJiiEEENS0_10empty_typeEEEZNS1_10merge_implIS3_NS0_12zip_iteratorINS5_IJN6thrust23THRUST_200600_302600_NS6detail15normal_iteratorINSC_10device_ptrIKiEEEESI_EEEEESK_NSA_INS5_IJNSE_INSF_IiEEEESM_EEEEEPS7_SP_SP_NSC_11hip_rocprim7__merge17predicate_wrapperIiiNSC_7greaterIiEEEEEE10hipError_tPvRmT0_T1_T2_T3_T4_T5_mmT6_P12ihipStream_tbEUlT_E0_NS1_11comp_targetILNS1_3genE8ELNS1_11target_archE1030ELNS1_3gpuE2ELNS1_3repE0EEENS1_30default_config_static_selectorELNS0_4arch9wavefront6targetE0EEEvS10_,"axG",@progbits,_ZN7rocprim17ROCPRIM_400000_NS6detail17trampoline_kernelINS0_14default_configENS1_21merge_config_selectorINS0_5tupleIJiiEEENS0_10empty_typeEEEZNS1_10merge_implIS3_NS0_12zip_iteratorINS5_IJN6thrust23THRUST_200600_302600_NS6detail15normal_iteratorINSC_10device_ptrIKiEEEESI_EEEEESK_NSA_INS5_IJNSE_INSF_IiEEEESM_EEEEEPS7_SP_SP_NSC_11hip_rocprim7__merge17predicate_wrapperIiiNSC_7greaterIiEEEEEE10hipError_tPvRmT0_T1_T2_T3_T4_T5_mmT6_P12ihipStream_tbEUlT_E0_NS1_11comp_targetILNS1_3genE8ELNS1_11target_archE1030ELNS1_3gpuE2ELNS1_3repE0EEENS1_30default_config_static_selectorELNS0_4arch9wavefront6targetE0EEEvS10_,comdat
	.protected	_ZN7rocprim17ROCPRIM_400000_NS6detail17trampoline_kernelINS0_14default_configENS1_21merge_config_selectorINS0_5tupleIJiiEEENS0_10empty_typeEEEZNS1_10merge_implIS3_NS0_12zip_iteratorINS5_IJN6thrust23THRUST_200600_302600_NS6detail15normal_iteratorINSC_10device_ptrIKiEEEESI_EEEEESK_NSA_INS5_IJNSE_INSF_IiEEEESM_EEEEEPS7_SP_SP_NSC_11hip_rocprim7__merge17predicate_wrapperIiiNSC_7greaterIiEEEEEE10hipError_tPvRmT0_T1_T2_T3_T4_T5_mmT6_P12ihipStream_tbEUlT_E0_NS1_11comp_targetILNS1_3genE8ELNS1_11target_archE1030ELNS1_3gpuE2ELNS1_3repE0EEENS1_30default_config_static_selectorELNS0_4arch9wavefront6targetE0EEEvS10_ ; -- Begin function _ZN7rocprim17ROCPRIM_400000_NS6detail17trampoline_kernelINS0_14default_configENS1_21merge_config_selectorINS0_5tupleIJiiEEENS0_10empty_typeEEEZNS1_10merge_implIS3_NS0_12zip_iteratorINS5_IJN6thrust23THRUST_200600_302600_NS6detail15normal_iteratorINSC_10device_ptrIKiEEEESI_EEEEESK_NSA_INS5_IJNSE_INSF_IiEEEESM_EEEEEPS7_SP_SP_NSC_11hip_rocprim7__merge17predicate_wrapperIiiNSC_7greaterIiEEEEEE10hipError_tPvRmT0_T1_T2_T3_T4_T5_mmT6_P12ihipStream_tbEUlT_E0_NS1_11comp_targetILNS1_3genE8ELNS1_11target_archE1030ELNS1_3gpuE2ELNS1_3repE0EEENS1_30default_config_static_selectorELNS0_4arch9wavefront6targetE0EEEvS10_
	.globl	_ZN7rocprim17ROCPRIM_400000_NS6detail17trampoline_kernelINS0_14default_configENS1_21merge_config_selectorINS0_5tupleIJiiEEENS0_10empty_typeEEEZNS1_10merge_implIS3_NS0_12zip_iteratorINS5_IJN6thrust23THRUST_200600_302600_NS6detail15normal_iteratorINSC_10device_ptrIKiEEEESI_EEEEESK_NSA_INS5_IJNSE_INSF_IiEEEESM_EEEEEPS7_SP_SP_NSC_11hip_rocprim7__merge17predicate_wrapperIiiNSC_7greaterIiEEEEEE10hipError_tPvRmT0_T1_T2_T3_T4_T5_mmT6_P12ihipStream_tbEUlT_E0_NS1_11comp_targetILNS1_3genE8ELNS1_11target_archE1030ELNS1_3gpuE2ELNS1_3repE0EEENS1_30default_config_static_selectorELNS0_4arch9wavefront6targetE0EEEvS10_
	.p2align	8
	.type	_ZN7rocprim17ROCPRIM_400000_NS6detail17trampoline_kernelINS0_14default_configENS1_21merge_config_selectorINS0_5tupleIJiiEEENS0_10empty_typeEEEZNS1_10merge_implIS3_NS0_12zip_iteratorINS5_IJN6thrust23THRUST_200600_302600_NS6detail15normal_iteratorINSC_10device_ptrIKiEEEESI_EEEEESK_NSA_INS5_IJNSE_INSF_IiEEEESM_EEEEEPS7_SP_SP_NSC_11hip_rocprim7__merge17predicate_wrapperIiiNSC_7greaterIiEEEEEE10hipError_tPvRmT0_T1_T2_T3_T4_T5_mmT6_P12ihipStream_tbEUlT_E0_NS1_11comp_targetILNS1_3genE8ELNS1_11target_archE1030ELNS1_3gpuE2ELNS1_3repE0EEENS1_30default_config_static_selectorELNS0_4arch9wavefront6targetE0EEEvS10_,@function
_ZN7rocprim17ROCPRIM_400000_NS6detail17trampoline_kernelINS0_14default_configENS1_21merge_config_selectorINS0_5tupleIJiiEEENS0_10empty_typeEEEZNS1_10merge_implIS3_NS0_12zip_iteratorINS5_IJN6thrust23THRUST_200600_302600_NS6detail15normal_iteratorINSC_10device_ptrIKiEEEESI_EEEEESK_NSA_INS5_IJNSE_INSF_IiEEEESM_EEEEEPS7_SP_SP_NSC_11hip_rocprim7__merge17predicate_wrapperIiiNSC_7greaterIiEEEEEE10hipError_tPvRmT0_T1_T2_T3_T4_T5_mmT6_P12ihipStream_tbEUlT_E0_NS1_11comp_targetILNS1_3genE8ELNS1_11target_archE1030ELNS1_3gpuE2ELNS1_3repE0EEENS1_30default_config_static_selectorELNS0_4arch9wavefront6targetE0EEEvS10_: ; @_ZN7rocprim17ROCPRIM_400000_NS6detail17trampoline_kernelINS0_14default_configENS1_21merge_config_selectorINS0_5tupleIJiiEEENS0_10empty_typeEEEZNS1_10merge_implIS3_NS0_12zip_iteratorINS5_IJN6thrust23THRUST_200600_302600_NS6detail15normal_iteratorINSC_10device_ptrIKiEEEESI_EEEEESK_NSA_INS5_IJNSE_INSF_IiEEEESM_EEEEEPS7_SP_SP_NSC_11hip_rocprim7__merge17predicate_wrapperIiiNSC_7greaterIiEEEEEE10hipError_tPvRmT0_T1_T2_T3_T4_T5_mmT6_P12ihipStream_tbEUlT_E0_NS1_11comp_targetILNS1_3genE8ELNS1_11target_archE1030ELNS1_3gpuE2ELNS1_3repE0EEENS1_30default_config_static_selectorELNS0_4arch9wavefront6targetE0EEEvS10_
; %bb.0:
	s_clause 0x2
	s_load_dwordx4 s[0:3], s[4:5], 0x58
	s_load_dwordx8 s[8:15], s[4:5], 0x8
	s_load_dwordx4 s[16:19], s[4:5], 0x28
	s_lshl_b32 s20, s6, 12
	s_mov_b32 s25, 0
	v_mov_b32_e32 v1, 0
	s_mov_b32 s27, s25
	s_waitcnt lgkmcnt(0)
	s_add_i32 s22, s2, s0
	s_add_i32 s0, s22, 0xfff
	s_lshr_b32 s0, s0, 12
	s_min_u32 s1, s6, s0
	s_lshl_b32 s1, s1, 2
	s_load_dword s24, s[8:9], s1 offset:0x0
	s_add_i32 s1, s6, 1
	s_min_u32 s0, s1, s0
	s_lshl_b32 s0, s0, 2
	s_load_dword s21, s[8:9], s0 offset:0x0
	s_add_i32 s0, s20, 0x1000
	s_min_u32 s23, s22, s0
	s_waitcnt lgkmcnt(0)
	s_lshl_b64 s[2:3], s[24:25], 2
	s_sub_i32 s26, s20, s24
	s_add_u32 s0, s10, s2
	s_addc_u32 s1, s11, s3
	s_add_u32 s2, s12, s2
	s_addc_u32 s3, s13, s3
	s_lshl_b64 s[8:9], s[26:27], 2
	s_mov_b32 s13, exec_lo
	s_add_u32 s6, s14, s8
	s_addc_u32 s7, s15, s9
	s_add_u32 s8, s16, s8
	s_addc_u32 s9, s17, s9
	s_add_i32 s10, s26, s21
	s_sub_i32 s15, s21, s24
	s_sub_i32 s12, s23, s10
	s_add_u32 s10, s12, s15
	s_addc_u32 s11, 0, 0
	v_cmpx_le_u32_e64 s15, v0
	s_xor_b32 s13, exec_lo, s13
	s_cbranch_execz .LBB442_4
; %bb.1:
	s_mov_b32 s14, exec_lo
	v_cmpx_gt_u64_e64 s[10:11], v[0:1]
	s_cbranch_execz .LBB442_3
; %bb.2:
	v_subrev_nc_u32_e32 v1, s15, v0
	v_lshlrev_b32_e32 v3, 3, v0
	v_lshlrev_b32_e32 v2, 2, v1
	s_clause 0x1
	global_load_dword v1, v2, s[6:7]
	global_load_dword v2, v2, s[8:9]
	s_waitcnt vmcnt(0)
	ds_write_b64 v3, v[1:2]
.LBB442_3:
	s_or_b32 exec_lo, exec_lo, s14
.LBB442_4:
	s_or_saveexec_b32 s13, s13
	v_lshlrev_b32_e32 v50, 2, v0
	v_lshlrev_b32_e32 v51, 3, v0
	s_xor_b32 exec_lo, exec_lo, s13
	s_cbranch_execz .LBB442_6
; %bb.5:
	s_clause 0x1
	global_load_dword v1, v50, s[0:1]
	global_load_dword v2, v50, s[2:3]
	s_waitcnt vmcnt(0)
	ds_write_b64 v51, v[1:2]
.LBB442_6:
	s_or_b32 exec_lo, exec_lo, s13
	v_or_b32_e32 v1, 0x100, v0
	v_mov_b32_e32 v2, 0
	s_mov_b32 s13, exec_lo
	v_cmpx_le_u32_e64 s15, v1
	s_xor_b32 s13, exec_lo, s13
	s_cbranch_execz .LBB442_10
; %bb.7:
	s_mov_b32 s14, exec_lo
	v_cmpx_gt_u64_e64 s[10:11], v[1:2]
	s_cbranch_execz .LBB442_9
; %bb.8:
	v_sub_co_u32 v2, s16, v0, s15
	v_sub_co_ci_u32_e64 v3, null, 0, 0, s16
	v_lshlrev_b64 v[2:3], 2, v[2:3]
	v_add_co_u32 v4, vcc_lo, s6, v2
	v_add_co_ci_u32_e64 v5, null, s7, v3, vcc_lo
	v_add_co_u32 v2, vcc_lo, s8, v2
	v_add_co_ci_u32_e64 v3, null, s9, v3, vcc_lo
	global_load_dword v4, v[4:5], off offset:1024
	global_load_dword v5, v[2:3], off offset:1024
	s_waitcnt vmcnt(0)
	ds_write_b64 v51, v[4:5] offset:2048
.LBB442_9:
	s_or_b32 exec_lo, exec_lo, s14
.LBB442_10:
	s_andn2_saveexec_b32 s13, s13
	s_cbranch_execz .LBB442_12
; %bb.11:
	s_clause 0x1
	global_load_dword v2, v50, s[0:1] offset:1024
	global_load_dword v3, v50, s[2:3] offset:1024
	s_waitcnt vmcnt(0)
	ds_write_b64 v51, v[2:3] offset:2048
.LBB442_12:
	s_or_b32 exec_lo, exec_lo, s13
	v_or_b32_e32 v2, 0x200, v0
	v_mov_b32_e32 v3, 0
	s_mov_b32 s13, exec_lo
	v_cmpx_le_u32_e64 s15, v2
	s_xor_b32 s13, exec_lo, s13
	s_cbranch_execz .LBB442_16
; %bb.13:
	s_mov_b32 s14, exec_lo
	v_cmpx_gt_u64_e64 s[10:11], v[2:3]
	s_cbranch_execz .LBB442_15
; %bb.14:
	v_subrev_nc_u32_e32 v3, s15, v2
	v_lshlrev_b32_e32 v4, 2, v3
	s_clause 0x1
	global_load_dword v3, v4, s[6:7]
	global_load_dword v4, v4, s[8:9]
	s_waitcnt vmcnt(0)
	ds_write_b64 v51, v[3:4] offset:4096
.LBB442_15:
	s_or_b32 exec_lo, exec_lo, s14
.LBB442_16:
	s_andn2_saveexec_b32 s13, s13
	s_cbranch_execz .LBB442_18
; %bb.17:
	v_lshlrev_b32_e32 v4, 2, v2
	s_clause 0x1
	global_load_dword v3, v4, s[0:1]
	global_load_dword v4, v4, s[2:3]
	s_waitcnt vmcnt(0)
	ds_write_b64 v51, v[3:4] offset:4096
.LBB442_18:
	s_or_b32 exec_lo, exec_lo, s13
	v_or_b32_e32 v3, 0x300, v0
	v_mov_b32_e32 v4, 0
	s_mov_b32 s13, exec_lo
	v_cmpx_le_u32_e64 s15, v3
	s_xor_b32 s13, exec_lo, s13
	s_cbranch_execz .LBB442_22
; %bb.19:
	s_mov_b32 s14, exec_lo
	v_cmpx_gt_u64_e64 s[10:11], v[3:4]
	s_cbranch_execz .LBB442_21
; %bb.20:
	v_subrev_nc_u32_e32 v4, s15, v3
	v_lshlrev_b32_e32 v5, 2, v4
	s_clause 0x1
	global_load_dword v4, v5, s[6:7]
	global_load_dword v5, v5, s[8:9]
	s_waitcnt vmcnt(0)
	ds_write_b64 v51, v[4:5] offset:6144
.LBB442_21:
	s_or_b32 exec_lo, exec_lo, s14
.LBB442_22:
	s_andn2_saveexec_b32 s13, s13
	s_cbranch_execz .LBB442_24
; %bb.23:
	v_lshlrev_b32_e32 v5, 2, v3
	s_clause 0x1
	global_load_dword v4, v5, s[0:1]
	global_load_dword v5, v5, s[2:3]
	s_waitcnt vmcnt(0)
	ds_write_b64 v51, v[4:5] offset:6144
.LBB442_24:
	;; [unrolled: 32-line block ×13, first 2 shown]
	s_or_b32 exec_lo, exec_lo, s13
	v_or_b32_e32 v15, 0xf00, v0
	v_mov_b32_e32 v16, 0
	s_mov_b32 s13, exec_lo
	v_cmpx_le_u32_e64 s15, v15
	s_xor_b32 s13, exec_lo, s13
	s_cbranch_execz .LBB442_94
; %bb.91:
	v_cmp_gt_u64_e32 vcc_lo, s[10:11], v[15:16]
	s_and_saveexec_b32 s10, vcc_lo
	s_cbranch_execz .LBB442_93
; %bb.92:
	v_subrev_nc_u32_e32 v16, s15, v15
	v_lshlrev_b32_e32 v17, 2, v16
	s_clause 0x1
	global_load_dword v16, v17, s[6:7]
	global_load_dword v17, v17, s[8:9]
	s_waitcnt vmcnt(0)
	ds_write_b64 v51, v[16:17] offset:30720
.LBB442_93:
	s_or_b32 exec_lo, exec_lo, s10
.LBB442_94:
	s_or_saveexec_b32 s6, s13
	s_load_dwordx2 s[16:17], s[4:5], 0x38
	s_xor_b32 exec_lo, exec_lo, s6
	s_cbranch_execz .LBB442_96
; %bb.95:
	v_lshlrev_b32_e32 v17, 2, v15
	s_clause 0x1
	global_load_dword v16, v17, s[0:1]
	global_load_dword v17, v17, s[2:3]
	s_waitcnt vmcnt(0)
	ds_write_b64 v51, v[16:17] offset:30720
.LBB442_96:
	s_or_b32 exec_lo, exec_lo, s6
	v_lshlrev_b32_e32 v48, 4, v0
	s_mov_b32 s0, exec_lo
	s_waitcnt lgkmcnt(0)
	s_barrier
	buffer_gl0_inv
	v_sub_nc_u32_e64 v49, v48, s12 clamp
	v_min_u32_e32 v16, s15, v48
	v_cmpx_lt_u32_e64 v49, v16
	s_cbranch_execz .LBB442_100
; %bb.97:
	v_lshlrev_b32_e32 v17, 3, v48
	s_mov_b32 s1, 0
	v_lshl_add_u32 v17, s15, 3, v17
	.p2align	6
.LBB442_98:                             ; =>This Inner Loop Header: Depth=1
	v_add_nc_u32_e32 v18, v16, v49
	v_lshrrev_b32_e32 v18, 1, v18
	v_not_b32_e32 v19, v18
	v_lshlrev_b32_e32 v20, 3, v18
	v_add_nc_u32_e32 v21, 1, v18
	v_lshl_add_u32 v19, v19, 3, v17
	ds_read_b32 v20, v20
	ds_read_b32 v19, v19
	s_waitcnt lgkmcnt(0)
	v_cmp_gt_i32_e32 vcc_lo, v19, v20
	v_cndmask_b32_e32 v16, v16, v18, vcc_lo
	v_cndmask_b32_e32 v49, v21, v49, vcc_lo
	v_cmp_ge_u32_e32 vcc_lo, v49, v16
	s_or_b32 s1, vcc_lo, s1
	s_andn2_b32 exec_lo, exec_lo, s1
	s_cbranch_execnz .LBB442_98
; %bb.99:
	s_or_b32 exec_lo, exec_lo, s1
.LBB442_100:
	s_or_b32 exec_lo, exec_lo, s0
	v_add_nc_u32_e32 v18, s15, v48
	s_add_i32 s23, s12, s15
	v_cmp_ge_u32_e32 vcc_lo, s15, v49
	v_mov_b32_e32 v16, 0
	v_mov_b32_e32 v20, 0
	v_sub_nc_u32_e32 v52, v18, v49
	v_mov_b32_e32 v18, 0
	v_mov_b32_e32 v22, 0
	;; [unrolled: 1-line block ×4, first 2 shown]
	v_cmp_ge_u32_e64 s0, s23, v52
	v_mov_b32_e32 v36, 0
	v_mov_b32_e32 v38, 0
	;; [unrolled: 1-line block ×26, first 2 shown]
	s_or_b32 s0, vcc_lo, s0
	s_and_saveexec_b32 s21, s0
	s_cbranch_execz .LBB442_106
; %bb.101:
	v_cmp_gt_u32_e32 vcc_lo, s15, v49
	v_mov_b32_e32 v16, 0
	v_mov_b32_e32 v18, 0
	;; [unrolled: 1-line block ×3, first 2 shown]
	s_and_saveexec_b32 s0, vcc_lo
; %bb.102:
	v_lshlrev_b32_e32 v17, 3, v49
	ds_read_b64 v[18:19], v17
; %bb.103:
	s_or_b32 exec_lo, exec_lo, s0
	v_cmp_le_u32_e64 s0, s23, v52
	v_mov_b32_e32 v17, 0
	s_mov_b32 s2, exec_lo
	v_cmpx_gt_u32_e64 s23, v52
; %bb.104:
	v_lshlrev_b32_e32 v16, 3, v52
	ds_read_b64 v[16:17], v16
; %bb.105:
	s_or_b32 exec_lo, exec_lo, s2
	s_waitcnt lgkmcnt(0)
	v_cmp_le_i32_e64 s1, v16, v18
	v_mov_b32_e32 v42, s15
	s_and_b32 s1, vcc_lo, s1
	s_or_b32 vcc_lo, s0, s1
	v_cndmask_b32_e32 v20, v52, v49, vcc_lo
	v_cndmask_b32_e32 v21, s23, v42, vcc_lo
	v_add_nc_u32_e32 v22, 1, v20
	v_add_nc_u32_e32 v20, -1, v21
	v_cndmask_b32_e32 v24, v49, v22, vcc_lo
	v_min_u32_e32 v20, v22, v20
	v_cndmask_b32_e32 v25, v22, v52, vcc_lo
	v_cmp_gt_u32_e64 s0, s15, v24
	v_lshlrev_b32_e32 v20, 3, v20
	v_cmp_le_u32_e64 s2, s23, v25
	ds_read_b64 v[20:21], v20
	s_waitcnt lgkmcnt(0)
	v_cndmask_b32_e32 v47, v20, v16, vcc_lo
	v_cndmask_b32_e32 v20, v18, v20, vcc_lo
	;; [unrolled: 1-line block ×3, first 2 shown]
	v_cmp_le_i32_e64 s1, v47, v20
	s_and_b32 s0, s0, s1
	s_or_b32 s0, s2, s0
	v_cndmask_b32_e64 v22, v25, v24, s0
	v_cndmask_b32_e64 v23, s23, v42, s0
	v_add_nc_u32_e32 v26, 1, v22
	v_add_nc_u32_e32 v22, -1, v23
	v_cndmask_b32_e64 v27, v24, v26, s0
	v_min_u32_e32 v22, v26, v22
	v_cndmask_b32_e64 v26, v26, v25, s0
	v_cmp_gt_u32_e64 s1, s15, v27
	v_lshlrev_b32_e32 v22, 3, v22
	v_cmp_le_u32_e64 s3, s23, v26
	ds_read_b64 v[22:23], v22
	s_waitcnt lgkmcnt(0)
	v_cndmask_b32_e64 v49, v22, v47, s0
	v_cndmask_b32_e64 v22, v20, v22, s0
	;; [unrolled: 1-line block ×3, first 2 shown]
	v_cmp_le_i32_e64 s2, v49, v22
	s_and_b32 s1, s1, s2
	s_or_b32 s1, s3, s1
	v_cndmask_b32_e64 v24, v26, v27, s1
	v_cndmask_b32_e64 v25, s23, v42, s1
	;; [unrolled: 1-line block ×3, first 2 shown]
	v_add_nc_u32_e32 v28, 1, v24
	v_add_nc_u32_e32 v24, -1, v25
	v_cndmask_b32_e64 v29, v27, v28, s1
	v_min_u32_e32 v24, v28, v24
	v_cndmask_b32_e64 v28, v28, v26, s1
	v_cmp_gt_u32_e64 s2, s15, v29
	v_lshlrev_b32_e32 v24, 3, v24
	v_cmp_le_u32_e64 s4, s23, v28
	ds_read_b64 v[24:25], v24
	s_waitcnt lgkmcnt(0)
	v_cndmask_b32_e64 v54, v24, v49, s1
	v_cndmask_b32_e64 v24, v22, v24, s1
	v_cmp_le_i32_e64 s3, v54, v24
	s_and_b32 s2, s2, s3
	s_or_b32 s2, s4, s2
	v_cndmask_b32_e64 v26, v28, v29, s2
	v_cndmask_b32_e64 v27, s23, v42, s2
	;; [unrolled: 1-line block ×3, first 2 shown]
	v_add_nc_u32_e32 v30, 1, v26
	v_add_nc_u32_e32 v26, -1, v27
	v_cndmask_b32_e64 v31, v29, v30, s2
	v_min_u32_e32 v26, v30, v26
	v_cndmask_b32_e64 v30, v30, v28, s2
	v_cmp_gt_u32_e64 s3, s15, v31
	v_lshlrev_b32_e32 v26, 3, v26
	v_cmp_le_u32_e64 s5, s23, v30
	ds_read_b64 v[26:27], v26
	s_waitcnt lgkmcnt(0)
	v_cndmask_b32_e64 v55, v26, v54, s2
	v_cndmask_b32_e64 v26, v24, v26, s2
	v_cmp_le_i32_e64 s4, v55, v26
	s_and_b32 s3, s3, s4
	s_or_b32 s3, s5, s3
	v_cndmask_b32_e64 v28, v30, v31, s3
	v_cndmask_b32_e64 v29, s23, v42, s3
	v_add_nc_u32_e32 v32, 1, v28
	v_add_nc_u32_e32 v28, -1, v29
	v_cndmask_b32_e64 v33, v31, v32, s3
	v_min_u32_e32 v28, v32, v28
	v_cndmask_b32_e64 v32, v32, v30, s3
	v_cmp_gt_u32_e64 s4, s15, v33
	v_lshlrev_b32_e32 v28, 3, v28
	v_cmp_le_u32_e64 s6, s23, v32
	ds_read_b64 v[28:29], v28
	s_waitcnt lgkmcnt(0)
	v_cndmask_b32_e64 v56, v28, v55, s3
	v_cndmask_b32_e64 v28, v26, v28, s3
	v_cmp_le_i32_e64 s5, v56, v28
	s_and_b32 s4, s4, s5
	s_or_b32 s4, s6, s4
	v_cndmask_b32_e64 v30, v32, v33, s4
	v_cndmask_b32_e64 v31, s23, v42, s4
	;; [unrolled: 17-line block ×4, first 2 shown]
	v_add_nc_u32_e32 v38, 1, v34
	v_add_nc_u32_e32 v34, -1, v35
	v_cndmask_b32_e64 v39, v37, v38, s6
	v_min_u32_e32 v34, v38, v34
	v_cmp_gt_u32_e64 s7, s15, v39
	v_lshlrev_b32_e32 v34, 3, v34
	ds_read_b64 v[34:35], v34
	s_waitcnt lgkmcnt(0)
	v_cndmask_b32_e64 v59, v34, v58, s6
	v_cndmask_b32_e64 v60, v32, v34, s6
	v_cndmask_b32_e64 v34, v38, v36, s6
	v_cmp_le_i32_e64 s8, v59, v60
	v_cmp_le_u32_e64 s9, s23, v34
	s_and_b32 s7, s7, s8
	s_or_b32 s7, s9, s7
	v_cndmask_b32_e64 v36, v34, v39, s7
	v_cndmask_b32_e64 v37, s23, v42, s7
	v_add_nc_u32_e32 v38, 1, v36
	v_add_nc_u32_e32 v36, -1, v37
	v_cndmask_b32_e64 v40, v39, v38, s7
	v_min_u32_e32 v36, v38, v36
	v_cndmask_b32_e64 v34, v38, v34, s7
	v_cmp_gt_u32_e64 s8, s15, v40
	v_lshlrev_b32_e32 v36, 3, v36
	v_cmp_le_u32_e64 s10, s23, v34
	ds_read_b64 v[36:37], v36
	s_waitcnt lgkmcnt(0)
	v_cndmask_b32_e64 v61, v36, v59, s7
	v_cndmask_b32_e64 v62, v60, v36, s7
	v_cmp_le_i32_e64 s9, v61, v62
	s_and_b32 s8, s8, s9
	s_or_b32 s8, s10, s8
	v_cndmask_b32_e64 v36, v34, v40, s8
	v_cndmask_b32_e64 v38, s23, v42, s8
	v_add_nc_u32_e32 v36, 1, v36
	v_add_nc_u32_e32 v38, -1, v38
	v_cndmask_b32_e64 v43, v40, v36, s8
	v_min_u32_e32 v38, v36, v38
	v_cndmask_b32_e64 v34, v36, v34, s8
	v_cmp_gt_u32_e64 s9, s15, v43
	v_lshlrev_b32_e32 v38, 3, v38
	v_cmp_le_u32_e64 s11, s23, v34
	ds_read_b64 v[38:39], v38
	s_waitcnt lgkmcnt(0)
	v_cndmask_b32_e64 v63, v38, v61, s8
	v_cndmask_b32_e64 v64, v62, v38, s8
	v_cmp_le_i32_e64 s10, v63, v64
	s_and_b32 s9, s9, s10
	s_or_b32 s9, s11, s9
	v_cndmask_b32_e64 v36, v34, v43, s9
	v_cndmask_b32_e64 v38, s23, v42, s9
	v_add_nc_u32_e32 v36, 1, v36
	v_add_nc_u32_e32 v38, -1, v38
	v_cndmask_b32_e64 v34, v36, v34, s9
	v_min_u32_e32 v38, v36, v38
	v_cmp_le_u32_e64 s12, s23, v34
	v_lshlrev_b32_e32 v38, 3, v38
	ds_read_b64 v[40:41], v38
	v_cndmask_b32_e64 v38, v43, v36, s9
	v_cmp_gt_u32_e64 s10, s15, v38
	s_waitcnt lgkmcnt(0)
	v_cndmask_b32_e64 v65, v40, v63, s9
	v_cndmask_b32_e64 v66, v64, v40, s9
	v_cmp_le_i32_e64 s11, v65, v66
	s_and_b32 s10, s10, s11
	s_or_b32 s10, s12, s10
	v_cndmask_b32_e64 v36, v34, v38, s10
	v_cndmask_b32_e64 v40, s23, v42, s10
	v_add_nc_u32_e32 v36, 1, v36
	v_add_nc_u32_e32 v40, -1, v40
	v_cndmask_b32_e64 v38, v38, v36, s10
	v_min_u32_e32 v40, v36, v40
	v_cndmask_b32_e64 v34, v36, v34, s10
	v_cmp_gt_u32_e64 s11, s15, v38
	v_lshlrev_b32_e32 v40, 3, v40
	v_cmp_le_u32_e64 s13, s23, v34
	ds_read_b64 v[43:44], v40
	s_waitcnt lgkmcnt(0)
	v_cndmask_b32_e64 v67, v43, v65, s10
	v_cndmask_b32_e64 v68, v66, v43, s10
	v_cndmask_b32_e32 v43, v21, v17, vcc_lo
	v_cndmask_b32_e32 v21, v19, v21, vcc_lo
	;; [unrolled: 1-line block ×3, first 2 shown]
	v_cmp_le_i32_e64 s12, v67, v68
	s_and_b32 s11, s11, s12
	s_or_b32 s11, s13, s11
	v_cndmask_b32_e64 v36, v34, v38, s11
	v_cndmask_b32_e64 v40, s23, v42, s11
	v_add_nc_u32_e32 v36, 1, v36
	v_add_nc_u32_e32 v40, -1, v40
	v_cndmask_b32_e64 v38, v38, v36, s11
	v_min_u32_e32 v40, v36, v40
	v_cndmask_b32_e64 v34, v36, v34, s11
	v_cmp_gt_u32_e64 s12, s15, v38
	v_lshlrev_b32_e32 v40, 3, v40
	v_cmp_le_u32_e64 s14, s23, v34
	ds_read_b64 v[45:46], v40
	s_waitcnt lgkmcnt(0)
	v_cndmask_b32_e64 v69, v45, v67, s11
	v_cndmask_b32_e64 v45, v68, v45, s11
	v_cmp_le_i32_e64 s13, v69, v45
	s_and_b32 s12, s12, s13
	s_or_b32 s12, s14, s12
	v_cndmask_b32_e64 v36, v34, v38, s12
	v_cndmask_b32_e64 v40, s23, v42, s12
	v_add_nc_u32_e32 v36, 1, v36
	v_add_nc_u32_e32 v40, -1, v40
	v_cndmask_b32_e64 v47, v38, v36, s12
	v_min_u32_e32 v40, v36, v40
	v_cmp_gt_u32_e32 vcc_lo, s15, v47
	v_lshlrev_b32_e32 v40, 3, v40
	ds_read_b64 v[52:53], v40
	v_cndmask_b32_e64 v40, v23, v43, s0
	v_cndmask_b32_e64 v23, v21, v23, s0
	;; [unrolled: 1-line block ×11, first 2 shown]
	v_cmp_le_u32_e64 s1, s23, v70
	v_cndmask_b32_e64 v29, v25, v29, s3
	s_waitcnt lgkmcnt(0)
	v_cndmask_b32_e64 v49, v52, v69, s12
	v_cndmask_b32_e64 v52, v45, v52, s12
	;; [unrolled: 1-line block ×6, first 2 shown]
	v_cmp_le_i32_e64 s0, v49, v52
	v_cndmask_b32_e64 v40, v33, v36, s5
	v_cndmask_b32_e64 v33, v31, v33, s5
	s_and_b32 s0, vcc_lo, s0
	s_or_b32 vcc_lo, s1, s0
	v_cndmask_b32_e64 v43, v33, v35, s6
	v_cndmask_b32_e32 v34, v70, v47, vcc_lo
	v_cndmask_b32_e32 v38, s23, v42, vcc_lo
	v_cndmask_b32_e64 v42, v35, v40, s6
	v_cndmask_b32_e64 v35, v27, v29, s4
	v_add_nc_u32_e32 v71, 1, v34
	v_add_nc_u32_e32 v26, -1, v38
	v_cndmask_b32_e64 v34, v56, v28, s4
	v_cndmask_b32_e64 v27, v37, v42, s7
	;; [unrolled: 1-line block ×4, first 2 shown]
	v_min_u32_e32 v26, v71, v26
	v_cndmask_b32_e64 v36, v57, v30, s5
	v_cndmask_b32_e64 v29, v39, v27, s8
	;; [unrolled: 1-line block ×4, first 2 shown]
	v_lshlrev_b32_e32 v26, 3, v26
	v_cndmask_b32_e64 v39, v40, v33, s6
	v_cndmask_b32_e64 v31, v41, v29, s9
	;; [unrolled: 1-line block ×4, first 2 shown]
	ds_read_b64 v[54:55], v26
	v_cndmask_b32_e64 v43, v27, v28, s8
	v_cndmask_b32_e64 v33, v44, v31, s10
	;; [unrolled: 1-line block ×9, first 2 shown]
	v_cndmask_b32_e32 v44, v47, v71, vcc_lo
	v_cndmask_b32_e32 v47, v71, v70, vcc_lo
	v_cndmask_b32_e64 v45, v53, v56, s12
	v_cndmask_b32_e64 v33, v56, v46, s12
	v_cndmask_b32_e64 v46, v46, v53, s12
	v_cmp_gt_u32_e64 s0, s15, v44
	v_cmp_le_u32_e64 s2, s23, v47
	v_cndmask_b32_e32 v44, v49, v52, vcc_lo
	v_cndmask_b32_e64 v40, v59, v60, s7
	v_cndmask_b32_e64 v42, v61, v62, s8
	s_waitcnt lgkmcnt(0)
	v_cndmask_b32_e32 v57, v54, v49, vcc_lo
	v_cndmask_b32_e32 v54, v52, v54, vcc_lo
	;; [unrolled: 1-line block ×5, first 2 shown]
	v_cndmask_b32_e64 v26, v63, v64, s9
	v_cmp_le_i32_e64 s1, v57, v54
	v_cndmask_b32_e64 v28, v65, v66, s10
	v_cndmask_b32_e64 v30, v67, v68, s11
	s_and_b32 s0, s0, s1
	s_or_b32 vcc_lo, s2, s0
	v_cndmask_b32_e32 v47, v53, v47, vcc_lo
	v_cndmask_b32_e32 v46, v57, v54, vcc_lo
.LBB442_106:
	s_or_b32 exec_lo, exec_lo, s21
	v_and_b32_e32 v49, 0x3f8, v50
	s_mov_b32 s21, 0
	s_sub_i32 s4, s22, s20
	s_lshl_b64 s[2:3], s[20:21], 2
	v_lshl_add_u32 v48, v48, 3, v49
	s_add_u32 s0, s18, s2
	s_addc_u32 s1, s19, s3
	s_barrier
	buffer_gl0_inv
	ds_write2_b64 v48, v[16:17], v[20:21] offset1:1
	ds_write2_b64 v48, v[18:19], v[22:23] offset0:2 offset1:3
	ds_write2_b64 v48, v[24:25], v[34:35] offset0:4 offset1:5
	;; [unrolled: 1-line block ×4, first 2 shown]
	v_lshrrev_b32_e32 v40, 2, v1
	v_lshrrev_b32_e32 v39, 2, v2
	;; [unrolled: 1-line block ×15, first 2 shown]
	s_add_u32 s2, s16, s2
	s_addc_u32 s3, s17, s3
	s_cmpk_gt_u32 s4, 0xfff
	ds_write2_b64 v48, v[26:27], v[28:29] offset0:10 offset1:11
	ds_write2_b64 v48, v[30:31], v[32:33] offset0:12 offset1:13
	;; [unrolled: 1-line block ×3, first 2 shown]
	s_waitcnt lgkmcnt(0)
	s_cbranch_scc0 .LBB442_108
; %bb.107:
	v_lshrrev_b32_e32 v16, 2, v0
	v_and_b32_e32 v17, 0x78, v40
	v_and_b32_e32 v26, 0xf8, v39
	;; [unrolled: 1-line block ×5, first 2 shown]
	v_add_nc_u32_e32 v17, v17, v51
	v_and_b32_e32 v42, 0x1f8, v36
	v_add_nc_u32_e32 v30, v26, v51
	v_and_b32_e32 v43, 0x1f8, v35
	v_add_nc_u32_e32 v16, v16, v51
	v_add_nc_u32_e32 v32, v27, v51
	v_and_b32_e32 v44, 0x1f8, v34
	s_barrier
	buffer_gl0_inv
	ds_read_b64 v[26:27], v16
	ds_read_b64 v[28:29], v17 offset:2048
	ds_read_b64 v[30:31], v30 offset:4096
	;; [unrolled: 1-line block ×3, first 2 shown]
	v_add_nc_u32_e32 v16, v41, v51
	v_and_b32_e32 v52, 0x3f8, v24
	v_add_nc_u32_e32 v17, v42, v51
	v_and_b32_e32 v49, 0x3f8, v25
	v_and_b32_e32 v53, 0x3f8, v23
	v_add_nc_u32_e32 v45, v43, v51
	v_add_nc_u32_e32 v47, v44, v51
	ds_read_b64 v[41:42], v16 offset:8192
	ds_read_b64 v[43:44], v17 offset:10240
	;; [unrolled: 1-line block ×4, first 2 shown]
	v_add_nc_u32_e32 v17, v52, v51
	v_and_b32_e32 v52, 0x3f8, v22
	v_add_nc_u32_e32 v16, v49, v51
	v_add_nc_u32_e32 v49, v53, v51
	v_and_b32_e32 v53, 0x3f8, v21
	v_and_b32_e32 v54, 0x3f8, v20
	;; [unrolled: 1-line block ×4, first 2 shown]
	v_add_nc_u32_e32 v58, v52, v51
	v_add_nc_u32_e32 v60, v53, v51
	;; [unrolled: 1-line block ×5, first 2 shown]
	ds_read_b64 v[52:53], v16 offset:16384
	ds_read_b64 v[54:55], v17 offset:18432
	;; [unrolled: 1-line block ×8, first 2 shown]
	v_add_co_u32 v49, s5, s0, v50
	v_add_co_ci_u32_e64 v70, null, s1, 0, s5
	v_add_co_u32 v71, s5, s2, v50
	s_waitcnt lgkmcnt(15)
	global_store_dword v50, v26, s[0:1]
	global_store_dword v50, v27, s[2:3]
	s_waitcnt lgkmcnt(14)
	global_store_dword v50, v28, s[0:1] offset:1024
	global_store_dword v50, v29, s[2:3] offset:1024
	v_add_co_u32 v26, vcc_lo, 0x800, v49
	v_add_co_ci_u32_e64 v72, null, s3, 0, s5
	v_add_co_ci_u32_e64 v27, null, 0, v70, vcc_lo
	v_add_co_u32 v28, vcc_lo, v49, 0x1000
	v_add_co_ci_u32_e64 v29, null, 0, v70, vcc_lo
	v_add_co_u32 v66, vcc_lo, v71, 0x1000
	;; [unrolled: 2-line block ×3, first 2 shown]
	v_add_co_ci_u32_e64 v69, null, 0, v72, vcc_lo
	s_waitcnt lgkmcnt(13)
	global_store_dword v[28:29], v30, off offset:-2048
	global_store_dword v[66:67], v31, off offset:-2048
	s_waitcnt lgkmcnt(12)
	global_store_dword v[26:27], v32, off offset:1024
	global_store_dword v[68:69], v33, off offset:1024
	v_add_co_u32 v26, vcc_lo, 0x1000, v49
	v_add_co_ci_u32_e64 v27, null, 0, v70, vcc_lo
	s_waitcnt lgkmcnt(11)
	global_store_dword v[28:29], v41, off
	v_add_co_u32 v28, vcc_lo, 0x1000, v71
	v_add_co_ci_u32_e64 v29, null, 0, v72, vcc_lo
	global_store_dword v[66:67], v42, off
	s_waitcnt lgkmcnt(10)
	global_store_dword v[26:27], v43, off offset:1024
	v_add_co_u32 v26, vcc_lo, 0x1800, v49
	v_add_co_ci_u32_e64 v27, null, 0, v70, vcc_lo
	v_add_co_u32 v30, vcc_lo, v49, 0x2000
	v_add_co_ci_u32_e64 v31, null, 0, v70, vcc_lo
	;; [unrolled: 2-line block ×4, first 2 shown]
	global_store_dword v[28:29], v44, off offset:1024
	s_waitcnt lgkmcnt(9)
	global_store_dword v[30:31], v45, off offset:-2048
	global_store_dword v[32:33], v46, off offset:-2048
	s_waitcnt lgkmcnt(8)
	global_store_dword v[26:27], v47, off offset:1024
	global_store_dword v[41:42], v48, off offset:1024
	v_add_co_u32 v26, vcc_lo, 0x2000, v49
	v_add_co_ci_u32_e64 v27, null, 0, v70, vcc_lo
	v_add_co_u32 v28, vcc_lo, 0x2000, v71
	s_waitcnt lgkmcnt(7)
	global_store_dword v[30:31], v52, off
	v_add_co_ci_u32_e64 v29, null, 0, v72, vcc_lo
	global_store_dword v[32:33], v53, off
	s_waitcnt lgkmcnt(6)
	global_store_dword v[26:27], v54, off offset:1024
	v_add_co_u32 v26, vcc_lo, 0x2800, v49
	v_add_co_ci_u32_e64 v27, null, 0, v70, vcc_lo
	v_add_co_u32 v30, vcc_lo, v49, 0x3000
	v_add_co_ci_u32_e64 v31, null, 0, v70, vcc_lo
	;; [unrolled: 2-line block ×4, first 2 shown]
	global_store_dword v[28:29], v55, off offset:1024
	s_waitcnt lgkmcnt(5)
	global_store_dword v[30:31], v56, off offset:-2048
	global_store_dword v[32:33], v57, off offset:-2048
	s_waitcnt lgkmcnt(4)
	global_store_dword v[26:27], v58, off offset:1024
	global_store_dword v[41:42], v59, off offset:1024
	v_add_co_u32 v26, vcc_lo, 0x3000, v49
	v_add_co_ci_u32_e64 v27, null, 0, v70, vcc_lo
	v_add_co_u32 v28, vcc_lo, 0x3000, v71
	s_waitcnt lgkmcnt(3)
	global_store_dword v[30:31], v60, off
	v_add_co_ci_u32_e64 v29, null, 0, v72, vcc_lo
	v_add_co_u32 v30, vcc_lo, 0x3800, v49
	global_store_dword v[32:33], v61, off
	v_add_co_ci_u32_e64 v31, null, 0, v70, vcc_lo
	v_add_co_u32 v32, vcc_lo, 0x3800, v71
	v_add_co_ci_u32_e64 v33, null, 0, v72, vcc_lo
	s_waitcnt lgkmcnt(2)
	global_store_dword v[26:27], v62, off offset:1024
	global_store_dword v[28:29], v63, off offset:1024
	s_waitcnt lgkmcnt(1)
	global_store_dword v[30:31], v64, off
	s_mov_b32 s21, -1
	global_store_dword v[32:33], v65, off
	s_cbranch_execz .LBB442_109
	s_branch .LBB442_126
.LBB442_108:
                                        ; implicit-def: $vgpr17
.LBB442_109:
	s_waitcnt lgkmcnt(0)
	v_and_b32_e32 v16, 0x78, v40
	v_and_b32_e32 v17, 0xf8, v39
	;; [unrolled: 1-line block ×5, first 2 shown]
	v_add_nc_u32_e32 v16, v16, v51
	v_add_nc_u32_e32 v17, v17, v51
	v_and_b32_e32 v29, 0x1f8, v35
	v_add_nc_u32_e32 v26, v26, v51
	v_and_b32_e32 v30, 0x1f8, v34
	;; [unrolled: 2-line block ×3, first 2 shown]
	s_barrier
	s_waitcnt_vscnt null, 0x0
	buffer_gl0_inv
	ds_read_b64 v[48:49], v16 offset:2048
	ds_read_b64 v[46:47], v17 offset:4096
	;; [unrolled: 1-line block ×4, first 2 shown]
	v_add_nc_u32_e32 v16, v28, v51
	v_and_b32_e32 v24, 0x3f8, v24
	v_add_nc_u32_e32 v17, v29, v51
	v_and_b32_e32 v23, 0x3f8, v23
	;; [unrolled: 2-line block ×4, first 2 shown]
	v_and_b32_e32 v20, 0x3f8, v20
	v_and_b32_e32 v19, 0x3f8, v19
	ds_read_b64 v[40:41], v16 offset:10240
	ds_read_b64 v[38:39], v17 offset:12288
	;; [unrolled: 1-line block ×4, first 2 shown]
	v_add_nc_u32_e32 v16, v24, v51
	v_and_b32_e32 v18, 0x3f8, v18
	v_add_nc_u32_e32 v17, v23, v51
	v_add_nc_u32_e32 v22, v22, v51
	;; [unrolled: 1-line block ×6, first 2 shown]
	ds_read_b64 v[34:35], v16 offset:18432
	ds_read_b64 v[30:31], v17 offset:20480
	ds_read_b64 v[28:29], v22 offset:22528
	ds_read_b64 v[26:27], v21 offset:24576
	ds_read_b64 v[24:25], v20 offset:26624
	ds_read_b64 v[18:19], v19 offset:28672
	ds_read_b64 v[16:17], v23 offset:30720
	v_add_co_u32 v22, s5, s0, v50
	v_add_co_ci_u32_e64 v23, null, s1, 0, s5
	v_add_co_u32 v20, s5, s2, v50
	v_add_co_ci_u32_e64 v21, null, s3, 0, s5
	s_mov_b32 s5, exec_lo
	v_cmpx_gt_u32_e64 s4, v0
	s_cbranch_execnz .LBB442_129
; %bb.110:
	s_or_b32 exec_lo, exec_lo, s5
	s_mov_b32 s5, exec_lo
	v_cmpx_gt_u32_e64 s4, v1
	s_cbranch_execnz .LBB442_130
.LBB442_111:
	s_or_b32 exec_lo, exec_lo, s5
	s_mov_b32 s5, exec_lo
	v_cmpx_gt_u32_e64 s4, v2
	s_cbranch_execnz .LBB442_131
.LBB442_112:
	s_or_b32 exec_lo, exec_lo, s5
	s_mov_b32 s5, exec_lo
	v_cmpx_gt_u32_e64 s4, v3
	s_cbranch_execnz .LBB442_132
.LBB442_113:
	s_or_b32 exec_lo, exec_lo, s5
	s_mov_b32 s5, exec_lo
	v_cmpx_gt_u32_e64 s4, v4
	s_cbranch_execnz .LBB442_133
.LBB442_114:
	s_or_b32 exec_lo, exec_lo, s5
	s_mov_b32 s5, exec_lo
	v_cmpx_gt_u32_e64 s4, v5
	s_cbranch_execnz .LBB442_134
.LBB442_115:
	s_or_b32 exec_lo, exec_lo, s5
	s_mov_b32 s5, exec_lo
	v_cmpx_gt_u32_e64 s4, v6
	s_cbranch_execnz .LBB442_135
.LBB442_116:
	s_or_b32 exec_lo, exec_lo, s5
	s_mov_b32 s5, exec_lo
	v_cmpx_gt_u32_e64 s4, v7
	s_cbranch_execnz .LBB442_136
.LBB442_117:
	s_or_b32 exec_lo, exec_lo, s5
	s_mov_b32 s5, exec_lo
	v_cmpx_gt_u32_e64 s4, v8
	s_cbranch_execnz .LBB442_137
.LBB442_118:
	s_or_b32 exec_lo, exec_lo, s5
	s_mov_b32 s5, exec_lo
	v_cmpx_gt_u32_e64 s4, v9
	s_cbranch_execnz .LBB442_138
.LBB442_119:
	s_or_b32 exec_lo, exec_lo, s5
	s_mov_b32 s5, exec_lo
	v_cmpx_gt_u32_e64 s4, v10
	s_cbranch_execnz .LBB442_139
.LBB442_120:
	s_or_b32 exec_lo, exec_lo, s5
	s_mov_b32 s5, exec_lo
	v_cmpx_gt_u32_e64 s4, v11
	s_cbranch_execnz .LBB442_140
.LBB442_121:
	s_or_b32 exec_lo, exec_lo, s5
	s_mov_b32 s5, exec_lo
	v_cmpx_gt_u32_e64 s4, v12
	s_cbranch_execnz .LBB442_141
.LBB442_122:
	s_or_b32 exec_lo, exec_lo, s5
	s_mov_b32 s5, exec_lo
	v_cmpx_gt_u32_e64 s4, v13
	s_cbranch_execnz .LBB442_142
.LBB442_123:
	s_or_b32 exec_lo, exec_lo, s5
	s_mov_b32 s5, exec_lo
	v_cmpx_gt_u32_e64 s4, v14
	s_cbranch_execz .LBB442_125
.LBB442_124:
	v_add_co_u32 v0, vcc_lo, 0x3800, v22
	v_add_co_ci_u32_e64 v1, null, 0, v23, vcc_lo
	v_add_co_u32 v2, vcc_lo, 0x3800, v20
	v_add_co_ci_u32_e64 v3, null, 0, v21, vcc_lo
	s_waitcnt lgkmcnt(1)
	global_store_dword v[0:1], v18, off
	global_store_dword v[2:3], v19, off
.LBB442_125:
	s_or_b32 exec_lo, exec_lo, s5
	v_cmp_gt_u32_e64 s21, s4, v15
.LBB442_126:
	s_and_saveexec_b32 s4, s21
	s_cbranch_execnz .LBB442_128
; %bb.127:
	s_endpgm
.LBB442_128:
	v_add_co_u32 v0, s0, s0, v50
	v_add_co_ci_u32_e64 v1, null, s1, 0, s0
	v_add_co_u32 v2, s0, s2, v50
	v_add_co_ci_u32_e64 v3, null, s3, 0, s0
	v_add_co_u32 v0, vcc_lo, 0x3800, v0
	v_add_co_ci_u32_e64 v1, null, 0, v1, vcc_lo
	v_add_co_u32 v2, vcc_lo, 0x3800, v2
	v_add_co_ci_u32_e64 v3, null, 0, v3, vcc_lo
	s_waitcnt lgkmcnt(0)
	global_store_dword v[0:1], v16, off offset:1024
	global_store_dword v[2:3], v17, off offset:1024
	s_endpgm
.LBB442_129:
	v_lshrrev_b32_e32 v51, 2, v0
	v_and_b32_e32 v51, 56, v51
	v_lshl_add_u32 v0, v0, 3, v51
	ds_read_b64 v[51:52], v0
	s_waitcnt lgkmcnt(0)
	global_store_dword v[22:23], v51, off
	global_store_dword v[20:21], v52, off
	s_or_b32 exec_lo, exec_lo, s5
	s_mov_b32 s5, exec_lo
	v_cmpx_gt_u32_e64 s4, v1
	s_cbranch_execz .LBB442_111
.LBB442_130:
	s_waitcnt lgkmcnt(14)
	global_store_dword v[22:23], v48, off offset:1024
	global_store_dword v[20:21], v49, off offset:1024
	s_or_b32 exec_lo, exec_lo, s5
	s_mov_b32 s5, exec_lo
	v_cmpx_gt_u32_e64 s4, v2
	s_cbranch_execz .LBB442_112
.LBB442_131:
	v_add_co_u32 v0, vcc_lo, 0x800, v22
	v_add_co_ci_u32_e64 v1, null, 0, v23, vcc_lo
	s_waitcnt lgkmcnt(14)
	v_add_co_u32 v48, vcc_lo, 0x800, v20
	v_add_co_ci_u32_e64 v49, null, 0, v21, vcc_lo
	s_waitcnt lgkmcnt(13)
	global_store_dword v[0:1], v46, off
	global_store_dword v[48:49], v47, off
	s_or_b32 exec_lo, exec_lo, s5
	s_mov_b32 s5, exec_lo
	v_cmpx_gt_u32_e64 s4, v3
	s_cbranch_execz .LBB442_113
.LBB442_132:
	v_add_co_u32 v0, vcc_lo, 0x800, v22
	v_add_co_ci_u32_e64 v1, null, 0, v23, vcc_lo
	v_add_co_u32 v2, vcc_lo, 0x800, v20
	v_add_co_ci_u32_e64 v3, null, 0, v21, vcc_lo
	s_waitcnt lgkmcnt(12)
	global_store_dword v[0:1], v44, off offset:1024
	global_store_dword v[2:3], v45, off offset:1024
	s_or_b32 exec_lo, exec_lo, s5
	s_mov_b32 s5, exec_lo
	v_cmpx_gt_u32_e64 s4, v4
	s_cbranch_execz .LBB442_114
.LBB442_133:
	v_add_co_u32 v0, vcc_lo, 0x1000, v22
	v_add_co_ci_u32_e64 v1, null, 0, v23, vcc_lo
	v_add_co_u32 v2, vcc_lo, 0x1000, v20
	v_add_co_ci_u32_e64 v3, null, 0, v21, vcc_lo
	s_waitcnt lgkmcnt(11)
	global_store_dword v[0:1], v42, off
	global_store_dword v[2:3], v43, off
	s_or_b32 exec_lo, exec_lo, s5
	s_mov_b32 s5, exec_lo
	v_cmpx_gt_u32_e64 s4, v5
	s_cbranch_execz .LBB442_115
.LBB442_134:
	v_add_co_u32 v0, vcc_lo, 0x1000, v22
	v_add_co_ci_u32_e64 v1, null, 0, v23, vcc_lo
	v_add_co_u32 v2, vcc_lo, 0x1000, v20
	v_add_co_ci_u32_e64 v3, null, 0, v21, vcc_lo
	s_waitcnt lgkmcnt(10)
	global_store_dword v[0:1], v40, off offset:1024
	global_store_dword v[2:3], v41, off offset:1024
	s_or_b32 exec_lo, exec_lo, s5
	s_mov_b32 s5, exec_lo
	v_cmpx_gt_u32_e64 s4, v6
	s_cbranch_execz .LBB442_116
.LBB442_135:
	v_add_co_u32 v0, vcc_lo, 0x1800, v22
	v_add_co_ci_u32_e64 v1, null, 0, v23, vcc_lo
	v_add_co_u32 v2, vcc_lo, 0x1800, v20
	v_add_co_ci_u32_e64 v3, null, 0, v21, vcc_lo
	s_waitcnt lgkmcnt(9)
	global_store_dword v[0:1], v38, off
	global_store_dword v[2:3], v39, off
	s_or_b32 exec_lo, exec_lo, s5
	s_mov_b32 s5, exec_lo
	v_cmpx_gt_u32_e64 s4, v7
	s_cbranch_execz .LBB442_117
.LBB442_136:
	v_add_co_u32 v0, vcc_lo, 0x1800, v22
	v_add_co_ci_u32_e64 v1, null, 0, v23, vcc_lo
	v_add_co_u32 v2, vcc_lo, 0x1800, v20
	v_add_co_ci_u32_e64 v3, null, 0, v21, vcc_lo
	s_waitcnt lgkmcnt(8)
	global_store_dword v[0:1], v36, off offset:1024
	global_store_dword v[2:3], v37, off offset:1024
	s_or_b32 exec_lo, exec_lo, s5
	s_mov_b32 s5, exec_lo
	v_cmpx_gt_u32_e64 s4, v8
	s_cbranch_execz .LBB442_118
.LBB442_137:
	v_add_co_u32 v0, vcc_lo, 0x2000, v22
	v_add_co_ci_u32_e64 v1, null, 0, v23, vcc_lo
	v_add_co_u32 v2, vcc_lo, 0x2000, v20
	v_add_co_ci_u32_e64 v3, null, 0, v21, vcc_lo
	s_waitcnt lgkmcnt(7)
	global_store_dword v[0:1], v32, off
	global_store_dword v[2:3], v33, off
	s_or_b32 exec_lo, exec_lo, s5
	s_mov_b32 s5, exec_lo
	v_cmpx_gt_u32_e64 s4, v9
	s_cbranch_execz .LBB442_119
.LBB442_138:
	v_add_co_u32 v0, vcc_lo, 0x2000, v22
	v_add_co_ci_u32_e64 v1, null, 0, v23, vcc_lo
	v_add_co_u32 v2, vcc_lo, 0x2000, v20
	v_add_co_ci_u32_e64 v3, null, 0, v21, vcc_lo
	s_waitcnt lgkmcnt(6)
	global_store_dword v[0:1], v34, off offset:1024
	global_store_dword v[2:3], v35, off offset:1024
	s_or_b32 exec_lo, exec_lo, s5
	s_mov_b32 s5, exec_lo
	v_cmpx_gt_u32_e64 s4, v10
	s_cbranch_execz .LBB442_120
.LBB442_139:
	v_add_co_u32 v0, vcc_lo, 0x2800, v22
	v_add_co_ci_u32_e64 v1, null, 0, v23, vcc_lo
	v_add_co_u32 v2, vcc_lo, 0x2800, v20
	v_add_co_ci_u32_e64 v3, null, 0, v21, vcc_lo
	s_waitcnt lgkmcnt(5)
	global_store_dword v[0:1], v30, off
	global_store_dword v[2:3], v31, off
	s_or_b32 exec_lo, exec_lo, s5
	s_mov_b32 s5, exec_lo
	v_cmpx_gt_u32_e64 s4, v11
	s_cbranch_execz .LBB442_121
.LBB442_140:
	v_add_co_u32 v0, vcc_lo, 0x2800, v22
	v_add_co_ci_u32_e64 v1, null, 0, v23, vcc_lo
	v_add_co_u32 v2, vcc_lo, 0x2800, v20
	v_add_co_ci_u32_e64 v3, null, 0, v21, vcc_lo
	s_waitcnt lgkmcnt(4)
	global_store_dword v[0:1], v28, off offset:1024
	global_store_dword v[2:3], v29, off offset:1024
	s_or_b32 exec_lo, exec_lo, s5
	s_mov_b32 s5, exec_lo
	v_cmpx_gt_u32_e64 s4, v12
	s_cbranch_execz .LBB442_122
.LBB442_141:
	v_add_co_u32 v0, vcc_lo, 0x3000, v22
	v_add_co_ci_u32_e64 v1, null, 0, v23, vcc_lo
	v_add_co_u32 v2, vcc_lo, 0x3000, v20
	v_add_co_ci_u32_e64 v3, null, 0, v21, vcc_lo
	s_waitcnt lgkmcnt(3)
	global_store_dword v[0:1], v26, off
	global_store_dword v[2:3], v27, off
	s_or_b32 exec_lo, exec_lo, s5
	s_mov_b32 s5, exec_lo
	v_cmpx_gt_u32_e64 s4, v13
	s_cbranch_execz .LBB442_123
.LBB442_142:
	v_add_co_u32 v0, vcc_lo, 0x3000, v22
	v_add_co_ci_u32_e64 v1, null, 0, v23, vcc_lo
	v_add_co_u32 v2, vcc_lo, 0x3000, v20
	v_add_co_ci_u32_e64 v3, null, 0, v21, vcc_lo
	s_waitcnt lgkmcnt(2)
	global_store_dword v[0:1], v24, off offset:1024
	global_store_dword v[2:3], v25, off offset:1024
	s_or_b32 exec_lo, exec_lo, s5
	s_mov_b32 s5, exec_lo
	v_cmpx_gt_u32_e64 s4, v14
	s_cbranch_execnz .LBB442_124
	s_branch .LBB442_125
	.section	.rodata,"a",@progbits
	.p2align	6, 0x0
	.amdhsa_kernel _ZN7rocprim17ROCPRIM_400000_NS6detail17trampoline_kernelINS0_14default_configENS1_21merge_config_selectorINS0_5tupleIJiiEEENS0_10empty_typeEEEZNS1_10merge_implIS3_NS0_12zip_iteratorINS5_IJN6thrust23THRUST_200600_302600_NS6detail15normal_iteratorINSC_10device_ptrIKiEEEESI_EEEEESK_NSA_INS5_IJNSE_INSF_IiEEEESM_EEEEEPS7_SP_SP_NSC_11hip_rocprim7__merge17predicate_wrapperIiiNSC_7greaterIiEEEEEE10hipError_tPvRmT0_T1_T2_T3_T4_T5_mmT6_P12ihipStream_tbEUlT_E0_NS1_11comp_targetILNS1_3genE8ELNS1_11target_archE1030ELNS1_3gpuE2ELNS1_3repE0EEENS1_30default_config_static_selectorELNS0_4arch9wavefront6targetE0EEEvS10_
		.amdhsa_group_segment_fixed_size 33792
		.amdhsa_private_segment_fixed_size 0
		.amdhsa_kernarg_size 112
		.amdhsa_user_sgpr_count 6
		.amdhsa_user_sgpr_private_segment_buffer 1
		.amdhsa_user_sgpr_dispatch_ptr 0
		.amdhsa_user_sgpr_queue_ptr 0
		.amdhsa_user_sgpr_kernarg_segment_ptr 1
		.amdhsa_user_sgpr_dispatch_id 0
		.amdhsa_user_sgpr_flat_scratch_init 0
		.amdhsa_user_sgpr_private_segment_size 0
		.amdhsa_wavefront_size32 1
		.amdhsa_uses_dynamic_stack 0
		.amdhsa_system_sgpr_private_segment_wavefront_offset 0
		.amdhsa_system_sgpr_workgroup_id_x 1
		.amdhsa_system_sgpr_workgroup_id_y 0
		.amdhsa_system_sgpr_workgroup_id_z 0
		.amdhsa_system_sgpr_workgroup_info 0
		.amdhsa_system_vgpr_workitem_id 0
		.amdhsa_next_free_vgpr 145
		.amdhsa_next_free_sgpr 28
		.amdhsa_reserve_vcc 1
		.amdhsa_reserve_flat_scratch 0
		.amdhsa_float_round_mode_32 0
		.amdhsa_float_round_mode_16_64 0
		.amdhsa_float_denorm_mode_32 3
		.amdhsa_float_denorm_mode_16_64 3
		.amdhsa_dx10_clamp 1
		.amdhsa_ieee_mode 1
		.amdhsa_fp16_overflow 0
		.amdhsa_workgroup_processor_mode 1
		.amdhsa_memory_ordered 1
		.amdhsa_forward_progress 1
		.amdhsa_shared_vgpr_count 0
		.amdhsa_exception_fp_ieee_invalid_op 0
		.amdhsa_exception_fp_denorm_src 0
		.amdhsa_exception_fp_ieee_div_zero 0
		.amdhsa_exception_fp_ieee_overflow 0
		.amdhsa_exception_fp_ieee_underflow 0
		.amdhsa_exception_fp_ieee_inexact 0
		.amdhsa_exception_int_div_zero 0
	.end_amdhsa_kernel
	.section	.text._ZN7rocprim17ROCPRIM_400000_NS6detail17trampoline_kernelINS0_14default_configENS1_21merge_config_selectorINS0_5tupleIJiiEEENS0_10empty_typeEEEZNS1_10merge_implIS3_NS0_12zip_iteratorINS5_IJN6thrust23THRUST_200600_302600_NS6detail15normal_iteratorINSC_10device_ptrIKiEEEESI_EEEEESK_NSA_INS5_IJNSE_INSF_IiEEEESM_EEEEEPS7_SP_SP_NSC_11hip_rocprim7__merge17predicate_wrapperIiiNSC_7greaterIiEEEEEE10hipError_tPvRmT0_T1_T2_T3_T4_T5_mmT6_P12ihipStream_tbEUlT_E0_NS1_11comp_targetILNS1_3genE8ELNS1_11target_archE1030ELNS1_3gpuE2ELNS1_3repE0EEENS1_30default_config_static_selectorELNS0_4arch9wavefront6targetE0EEEvS10_,"axG",@progbits,_ZN7rocprim17ROCPRIM_400000_NS6detail17trampoline_kernelINS0_14default_configENS1_21merge_config_selectorINS0_5tupleIJiiEEENS0_10empty_typeEEEZNS1_10merge_implIS3_NS0_12zip_iteratorINS5_IJN6thrust23THRUST_200600_302600_NS6detail15normal_iteratorINSC_10device_ptrIKiEEEESI_EEEEESK_NSA_INS5_IJNSE_INSF_IiEEEESM_EEEEEPS7_SP_SP_NSC_11hip_rocprim7__merge17predicate_wrapperIiiNSC_7greaterIiEEEEEE10hipError_tPvRmT0_T1_T2_T3_T4_T5_mmT6_P12ihipStream_tbEUlT_E0_NS1_11comp_targetILNS1_3genE8ELNS1_11target_archE1030ELNS1_3gpuE2ELNS1_3repE0EEENS1_30default_config_static_selectorELNS0_4arch9wavefront6targetE0EEEvS10_,comdat
.Lfunc_end442:
	.size	_ZN7rocprim17ROCPRIM_400000_NS6detail17trampoline_kernelINS0_14default_configENS1_21merge_config_selectorINS0_5tupleIJiiEEENS0_10empty_typeEEEZNS1_10merge_implIS3_NS0_12zip_iteratorINS5_IJN6thrust23THRUST_200600_302600_NS6detail15normal_iteratorINSC_10device_ptrIKiEEEESI_EEEEESK_NSA_INS5_IJNSE_INSF_IiEEEESM_EEEEEPS7_SP_SP_NSC_11hip_rocprim7__merge17predicate_wrapperIiiNSC_7greaterIiEEEEEE10hipError_tPvRmT0_T1_T2_T3_T4_T5_mmT6_P12ihipStream_tbEUlT_E0_NS1_11comp_targetILNS1_3genE8ELNS1_11target_archE1030ELNS1_3gpuE2ELNS1_3repE0EEENS1_30default_config_static_selectorELNS0_4arch9wavefront6targetE0EEEvS10_, .Lfunc_end442-_ZN7rocprim17ROCPRIM_400000_NS6detail17trampoline_kernelINS0_14default_configENS1_21merge_config_selectorINS0_5tupleIJiiEEENS0_10empty_typeEEEZNS1_10merge_implIS3_NS0_12zip_iteratorINS5_IJN6thrust23THRUST_200600_302600_NS6detail15normal_iteratorINSC_10device_ptrIKiEEEESI_EEEEESK_NSA_INS5_IJNSE_INSF_IiEEEESM_EEEEEPS7_SP_SP_NSC_11hip_rocprim7__merge17predicate_wrapperIiiNSC_7greaterIiEEEEEE10hipError_tPvRmT0_T1_T2_T3_T4_T5_mmT6_P12ihipStream_tbEUlT_E0_NS1_11comp_targetILNS1_3genE8ELNS1_11target_archE1030ELNS1_3gpuE2ELNS1_3repE0EEENS1_30default_config_static_selectorELNS0_4arch9wavefront6targetE0EEEvS10_
                                        ; -- End function
	.set _ZN7rocprim17ROCPRIM_400000_NS6detail17trampoline_kernelINS0_14default_configENS1_21merge_config_selectorINS0_5tupleIJiiEEENS0_10empty_typeEEEZNS1_10merge_implIS3_NS0_12zip_iteratorINS5_IJN6thrust23THRUST_200600_302600_NS6detail15normal_iteratorINSC_10device_ptrIKiEEEESI_EEEEESK_NSA_INS5_IJNSE_INSF_IiEEEESM_EEEEEPS7_SP_SP_NSC_11hip_rocprim7__merge17predicate_wrapperIiiNSC_7greaterIiEEEEEE10hipError_tPvRmT0_T1_T2_T3_T4_T5_mmT6_P12ihipStream_tbEUlT_E0_NS1_11comp_targetILNS1_3genE8ELNS1_11target_archE1030ELNS1_3gpuE2ELNS1_3repE0EEENS1_30default_config_static_selectorELNS0_4arch9wavefront6targetE0EEEvS10_.num_vgpr, 73
	.set _ZN7rocprim17ROCPRIM_400000_NS6detail17trampoline_kernelINS0_14default_configENS1_21merge_config_selectorINS0_5tupleIJiiEEENS0_10empty_typeEEEZNS1_10merge_implIS3_NS0_12zip_iteratorINS5_IJN6thrust23THRUST_200600_302600_NS6detail15normal_iteratorINSC_10device_ptrIKiEEEESI_EEEEESK_NSA_INS5_IJNSE_INSF_IiEEEESM_EEEEEPS7_SP_SP_NSC_11hip_rocprim7__merge17predicate_wrapperIiiNSC_7greaterIiEEEEEE10hipError_tPvRmT0_T1_T2_T3_T4_T5_mmT6_P12ihipStream_tbEUlT_E0_NS1_11comp_targetILNS1_3genE8ELNS1_11target_archE1030ELNS1_3gpuE2ELNS1_3repE0EEENS1_30default_config_static_selectorELNS0_4arch9wavefront6targetE0EEEvS10_.num_agpr, 0
	.set _ZN7rocprim17ROCPRIM_400000_NS6detail17trampoline_kernelINS0_14default_configENS1_21merge_config_selectorINS0_5tupleIJiiEEENS0_10empty_typeEEEZNS1_10merge_implIS3_NS0_12zip_iteratorINS5_IJN6thrust23THRUST_200600_302600_NS6detail15normal_iteratorINSC_10device_ptrIKiEEEESI_EEEEESK_NSA_INS5_IJNSE_INSF_IiEEEESM_EEEEEPS7_SP_SP_NSC_11hip_rocprim7__merge17predicate_wrapperIiiNSC_7greaterIiEEEEEE10hipError_tPvRmT0_T1_T2_T3_T4_T5_mmT6_P12ihipStream_tbEUlT_E0_NS1_11comp_targetILNS1_3genE8ELNS1_11target_archE1030ELNS1_3gpuE2ELNS1_3repE0EEENS1_30default_config_static_selectorELNS0_4arch9wavefront6targetE0EEEvS10_.numbered_sgpr, 28
	.set _ZN7rocprim17ROCPRIM_400000_NS6detail17trampoline_kernelINS0_14default_configENS1_21merge_config_selectorINS0_5tupleIJiiEEENS0_10empty_typeEEEZNS1_10merge_implIS3_NS0_12zip_iteratorINS5_IJN6thrust23THRUST_200600_302600_NS6detail15normal_iteratorINSC_10device_ptrIKiEEEESI_EEEEESK_NSA_INS5_IJNSE_INSF_IiEEEESM_EEEEEPS7_SP_SP_NSC_11hip_rocprim7__merge17predicate_wrapperIiiNSC_7greaterIiEEEEEE10hipError_tPvRmT0_T1_T2_T3_T4_T5_mmT6_P12ihipStream_tbEUlT_E0_NS1_11comp_targetILNS1_3genE8ELNS1_11target_archE1030ELNS1_3gpuE2ELNS1_3repE0EEENS1_30default_config_static_selectorELNS0_4arch9wavefront6targetE0EEEvS10_.num_named_barrier, 0
	.set _ZN7rocprim17ROCPRIM_400000_NS6detail17trampoline_kernelINS0_14default_configENS1_21merge_config_selectorINS0_5tupleIJiiEEENS0_10empty_typeEEEZNS1_10merge_implIS3_NS0_12zip_iteratorINS5_IJN6thrust23THRUST_200600_302600_NS6detail15normal_iteratorINSC_10device_ptrIKiEEEESI_EEEEESK_NSA_INS5_IJNSE_INSF_IiEEEESM_EEEEEPS7_SP_SP_NSC_11hip_rocprim7__merge17predicate_wrapperIiiNSC_7greaterIiEEEEEE10hipError_tPvRmT0_T1_T2_T3_T4_T5_mmT6_P12ihipStream_tbEUlT_E0_NS1_11comp_targetILNS1_3genE8ELNS1_11target_archE1030ELNS1_3gpuE2ELNS1_3repE0EEENS1_30default_config_static_selectorELNS0_4arch9wavefront6targetE0EEEvS10_.private_seg_size, 0
	.set _ZN7rocprim17ROCPRIM_400000_NS6detail17trampoline_kernelINS0_14default_configENS1_21merge_config_selectorINS0_5tupleIJiiEEENS0_10empty_typeEEEZNS1_10merge_implIS3_NS0_12zip_iteratorINS5_IJN6thrust23THRUST_200600_302600_NS6detail15normal_iteratorINSC_10device_ptrIKiEEEESI_EEEEESK_NSA_INS5_IJNSE_INSF_IiEEEESM_EEEEEPS7_SP_SP_NSC_11hip_rocprim7__merge17predicate_wrapperIiiNSC_7greaterIiEEEEEE10hipError_tPvRmT0_T1_T2_T3_T4_T5_mmT6_P12ihipStream_tbEUlT_E0_NS1_11comp_targetILNS1_3genE8ELNS1_11target_archE1030ELNS1_3gpuE2ELNS1_3repE0EEENS1_30default_config_static_selectorELNS0_4arch9wavefront6targetE0EEEvS10_.uses_vcc, 1
	.set _ZN7rocprim17ROCPRIM_400000_NS6detail17trampoline_kernelINS0_14default_configENS1_21merge_config_selectorINS0_5tupleIJiiEEENS0_10empty_typeEEEZNS1_10merge_implIS3_NS0_12zip_iteratorINS5_IJN6thrust23THRUST_200600_302600_NS6detail15normal_iteratorINSC_10device_ptrIKiEEEESI_EEEEESK_NSA_INS5_IJNSE_INSF_IiEEEESM_EEEEEPS7_SP_SP_NSC_11hip_rocprim7__merge17predicate_wrapperIiiNSC_7greaterIiEEEEEE10hipError_tPvRmT0_T1_T2_T3_T4_T5_mmT6_P12ihipStream_tbEUlT_E0_NS1_11comp_targetILNS1_3genE8ELNS1_11target_archE1030ELNS1_3gpuE2ELNS1_3repE0EEENS1_30default_config_static_selectorELNS0_4arch9wavefront6targetE0EEEvS10_.uses_flat_scratch, 0
	.set _ZN7rocprim17ROCPRIM_400000_NS6detail17trampoline_kernelINS0_14default_configENS1_21merge_config_selectorINS0_5tupleIJiiEEENS0_10empty_typeEEEZNS1_10merge_implIS3_NS0_12zip_iteratorINS5_IJN6thrust23THRUST_200600_302600_NS6detail15normal_iteratorINSC_10device_ptrIKiEEEESI_EEEEESK_NSA_INS5_IJNSE_INSF_IiEEEESM_EEEEEPS7_SP_SP_NSC_11hip_rocprim7__merge17predicate_wrapperIiiNSC_7greaterIiEEEEEE10hipError_tPvRmT0_T1_T2_T3_T4_T5_mmT6_P12ihipStream_tbEUlT_E0_NS1_11comp_targetILNS1_3genE8ELNS1_11target_archE1030ELNS1_3gpuE2ELNS1_3repE0EEENS1_30default_config_static_selectorELNS0_4arch9wavefront6targetE0EEEvS10_.has_dyn_sized_stack, 0
	.set _ZN7rocprim17ROCPRIM_400000_NS6detail17trampoline_kernelINS0_14default_configENS1_21merge_config_selectorINS0_5tupleIJiiEEENS0_10empty_typeEEEZNS1_10merge_implIS3_NS0_12zip_iteratorINS5_IJN6thrust23THRUST_200600_302600_NS6detail15normal_iteratorINSC_10device_ptrIKiEEEESI_EEEEESK_NSA_INS5_IJNSE_INSF_IiEEEESM_EEEEEPS7_SP_SP_NSC_11hip_rocprim7__merge17predicate_wrapperIiiNSC_7greaterIiEEEEEE10hipError_tPvRmT0_T1_T2_T3_T4_T5_mmT6_P12ihipStream_tbEUlT_E0_NS1_11comp_targetILNS1_3genE8ELNS1_11target_archE1030ELNS1_3gpuE2ELNS1_3repE0EEENS1_30default_config_static_selectorELNS0_4arch9wavefront6targetE0EEEvS10_.has_recursion, 0
	.set _ZN7rocprim17ROCPRIM_400000_NS6detail17trampoline_kernelINS0_14default_configENS1_21merge_config_selectorINS0_5tupleIJiiEEENS0_10empty_typeEEEZNS1_10merge_implIS3_NS0_12zip_iteratorINS5_IJN6thrust23THRUST_200600_302600_NS6detail15normal_iteratorINSC_10device_ptrIKiEEEESI_EEEEESK_NSA_INS5_IJNSE_INSF_IiEEEESM_EEEEEPS7_SP_SP_NSC_11hip_rocprim7__merge17predicate_wrapperIiiNSC_7greaterIiEEEEEE10hipError_tPvRmT0_T1_T2_T3_T4_T5_mmT6_P12ihipStream_tbEUlT_E0_NS1_11comp_targetILNS1_3genE8ELNS1_11target_archE1030ELNS1_3gpuE2ELNS1_3repE0EEENS1_30default_config_static_selectorELNS0_4arch9wavefront6targetE0EEEvS10_.has_indirect_call, 0
	.section	.AMDGPU.csdata,"",@progbits
; Kernel info:
; codeLenInByte = 8104
; TotalNumSgprs: 30
; NumVgprs: 73
; ScratchSize: 0
; MemoryBound: 0
; FloatMode: 240
; IeeeMode: 1
; LDSByteSize: 33792 bytes/workgroup (compile time only)
; SGPRBlocks: 0
; VGPRBlocks: 18
; NumSGPRsForWavesPerEU: 30
; NumVGPRsForWavesPerEU: 145
; Occupancy: 6
; WaveLimiterHint : 1
; COMPUTE_PGM_RSRC2:SCRATCH_EN: 0
; COMPUTE_PGM_RSRC2:USER_SGPR: 6
; COMPUTE_PGM_RSRC2:TRAP_HANDLER: 0
; COMPUTE_PGM_RSRC2:TGID_X_EN: 1
; COMPUTE_PGM_RSRC2:TGID_Y_EN: 0
; COMPUTE_PGM_RSRC2:TGID_Z_EN: 0
; COMPUTE_PGM_RSRC2:TIDIG_COMP_CNT: 0
	.section	.text._ZN7rocprim17ROCPRIM_400000_NS6detail17trampoline_kernelINS0_14default_configENS1_21merge_config_selectorINS0_5tupleIJssEEENS0_10empty_typeEEEZNS1_10merge_implIS3_NS0_12zip_iteratorINS5_IJN6thrust23THRUST_200600_302600_NS6detail15normal_iteratorINSC_10device_ptrIKsEEEESI_EEEEESK_NSA_INS5_IJNSE_INSF_IsEEEESM_EEEEEPS7_SP_SP_NSC_11hip_rocprim7__merge17predicate_wrapperIssNSC_7greaterIsEEEEEE10hipError_tPvRmT0_T1_T2_T3_T4_T5_mmT6_P12ihipStream_tbEUlT_E_NS1_11comp_targetILNS1_3genE0ELNS1_11target_archE4294967295ELNS1_3gpuE0ELNS1_3repE0EEENS1_30default_config_static_selectorELNS0_4arch9wavefront6targetE0EEEvS10_,"axG",@progbits,_ZN7rocprim17ROCPRIM_400000_NS6detail17trampoline_kernelINS0_14default_configENS1_21merge_config_selectorINS0_5tupleIJssEEENS0_10empty_typeEEEZNS1_10merge_implIS3_NS0_12zip_iteratorINS5_IJN6thrust23THRUST_200600_302600_NS6detail15normal_iteratorINSC_10device_ptrIKsEEEESI_EEEEESK_NSA_INS5_IJNSE_INSF_IsEEEESM_EEEEEPS7_SP_SP_NSC_11hip_rocprim7__merge17predicate_wrapperIssNSC_7greaterIsEEEEEE10hipError_tPvRmT0_T1_T2_T3_T4_T5_mmT6_P12ihipStream_tbEUlT_E_NS1_11comp_targetILNS1_3genE0ELNS1_11target_archE4294967295ELNS1_3gpuE0ELNS1_3repE0EEENS1_30default_config_static_selectorELNS0_4arch9wavefront6targetE0EEEvS10_,comdat
	.protected	_ZN7rocprim17ROCPRIM_400000_NS6detail17trampoline_kernelINS0_14default_configENS1_21merge_config_selectorINS0_5tupleIJssEEENS0_10empty_typeEEEZNS1_10merge_implIS3_NS0_12zip_iteratorINS5_IJN6thrust23THRUST_200600_302600_NS6detail15normal_iteratorINSC_10device_ptrIKsEEEESI_EEEEESK_NSA_INS5_IJNSE_INSF_IsEEEESM_EEEEEPS7_SP_SP_NSC_11hip_rocprim7__merge17predicate_wrapperIssNSC_7greaterIsEEEEEE10hipError_tPvRmT0_T1_T2_T3_T4_T5_mmT6_P12ihipStream_tbEUlT_E_NS1_11comp_targetILNS1_3genE0ELNS1_11target_archE4294967295ELNS1_3gpuE0ELNS1_3repE0EEENS1_30default_config_static_selectorELNS0_4arch9wavefront6targetE0EEEvS10_ ; -- Begin function _ZN7rocprim17ROCPRIM_400000_NS6detail17trampoline_kernelINS0_14default_configENS1_21merge_config_selectorINS0_5tupleIJssEEENS0_10empty_typeEEEZNS1_10merge_implIS3_NS0_12zip_iteratorINS5_IJN6thrust23THRUST_200600_302600_NS6detail15normal_iteratorINSC_10device_ptrIKsEEEESI_EEEEESK_NSA_INS5_IJNSE_INSF_IsEEEESM_EEEEEPS7_SP_SP_NSC_11hip_rocprim7__merge17predicate_wrapperIssNSC_7greaterIsEEEEEE10hipError_tPvRmT0_T1_T2_T3_T4_T5_mmT6_P12ihipStream_tbEUlT_E_NS1_11comp_targetILNS1_3genE0ELNS1_11target_archE4294967295ELNS1_3gpuE0ELNS1_3repE0EEENS1_30default_config_static_selectorELNS0_4arch9wavefront6targetE0EEEvS10_
	.globl	_ZN7rocprim17ROCPRIM_400000_NS6detail17trampoline_kernelINS0_14default_configENS1_21merge_config_selectorINS0_5tupleIJssEEENS0_10empty_typeEEEZNS1_10merge_implIS3_NS0_12zip_iteratorINS5_IJN6thrust23THRUST_200600_302600_NS6detail15normal_iteratorINSC_10device_ptrIKsEEEESI_EEEEESK_NSA_INS5_IJNSE_INSF_IsEEEESM_EEEEEPS7_SP_SP_NSC_11hip_rocprim7__merge17predicate_wrapperIssNSC_7greaterIsEEEEEE10hipError_tPvRmT0_T1_T2_T3_T4_T5_mmT6_P12ihipStream_tbEUlT_E_NS1_11comp_targetILNS1_3genE0ELNS1_11target_archE4294967295ELNS1_3gpuE0ELNS1_3repE0EEENS1_30default_config_static_selectorELNS0_4arch9wavefront6targetE0EEEvS10_
	.p2align	8
	.type	_ZN7rocprim17ROCPRIM_400000_NS6detail17trampoline_kernelINS0_14default_configENS1_21merge_config_selectorINS0_5tupleIJssEEENS0_10empty_typeEEEZNS1_10merge_implIS3_NS0_12zip_iteratorINS5_IJN6thrust23THRUST_200600_302600_NS6detail15normal_iteratorINSC_10device_ptrIKsEEEESI_EEEEESK_NSA_INS5_IJNSE_INSF_IsEEEESM_EEEEEPS7_SP_SP_NSC_11hip_rocprim7__merge17predicate_wrapperIssNSC_7greaterIsEEEEEE10hipError_tPvRmT0_T1_T2_T3_T4_T5_mmT6_P12ihipStream_tbEUlT_E_NS1_11comp_targetILNS1_3genE0ELNS1_11target_archE4294967295ELNS1_3gpuE0ELNS1_3repE0EEENS1_30default_config_static_selectorELNS0_4arch9wavefront6targetE0EEEvS10_,@function
_ZN7rocprim17ROCPRIM_400000_NS6detail17trampoline_kernelINS0_14default_configENS1_21merge_config_selectorINS0_5tupleIJssEEENS0_10empty_typeEEEZNS1_10merge_implIS3_NS0_12zip_iteratorINS5_IJN6thrust23THRUST_200600_302600_NS6detail15normal_iteratorINSC_10device_ptrIKsEEEESI_EEEEESK_NSA_INS5_IJNSE_INSF_IsEEEESM_EEEEEPS7_SP_SP_NSC_11hip_rocprim7__merge17predicate_wrapperIssNSC_7greaterIsEEEEEE10hipError_tPvRmT0_T1_T2_T3_T4_T5_mmT6_P12ihipStream_tbEUlT_E_NS1_11comp_targetILNS1_3genE0ELNS1_11target_archE4294967295ELNS1_3gpuE0ELNS1_3repE0EEENS1_30default_config_static_selectorELNS0_4arch9wavefront6targetE0EEEvS10_: ; @_ZN7rocprim17ROCPRIM_400000_NS6detail17trampoline_kernelINS0_14default_configENS1_21merge_config_selectorINS0_5tupleIJssEEENS0_10empty_typeEEEZNS1_10merge_implIS3_NS0_12zip_iteratorINS5_IJN6thrust23THRUST_200600_302600_NS6detail15normal_iteratorINSC_10device_ptrIKsEEEESI_EEEEESK_NSA_INS5_IJNSE_INSF_IsEEEESM_EEEEEPS7_SP_SP_NSC_11hip_rocprim7__merge17predicate_wrapperIssNSC_7greaterIsEEEEEE10hipError_tPvRmT0_T1_T2_T3_T4_T5_mmT6_P12ihipStream_tbEUlT_E_NS1_11comp_targetILNS1_3genE0ELNS1_11target_archE4294967295ELNS1_3gpuE0ELNS1_3repE0EEENS1_30default_config_static_selectorELNS0_4arch9wavefront6targetE0EEEvS10_
; %bb.0:
	.section	.rodata,"a",@progbits
	.p2align	6, 0x0
	.amdhsa_kernel _ZN7rocprim17ROCPRIM_400000_NS6detail17trampoline_kernelINS0_14default_configENS1_21merge_config_selectorINS0_5tupleIJssEEENS0_10empty_typeEEEZNS1_10merge_implIS3_NS0_12zip_iteratorINS5_IJN6thrust23THRUST_200600_302600_NS6detail15normal_iteratorINSC_10device_ptrIKsEEEESI_EEEEESK_NSA_INS5_IJNSE_INSF_IsEEEESM_EEEEEPS7_SP_SP_NSC_11hip_rocprim7__merge17predicate_wrapperIssNSC_7greaterIsEEEEEE10hipError_tPvRmT0_T1_T2_T3_T4_T5_mmT6_P12ihipStream_tbEUlT_E_NS1_11comp_targetILNS1_3genE0ELNS1_11target_archE4294967295ELNS1_3gpuE0ELNS1_3repE0EEENS1_30default_config_static_selectorELNS0_4arch9wavefront6targetE0EEEvS10_
		.amdhsa_group_segment_fixed_size 0
		.amdhsa_private_segment_fixed_size 0
		.amdhsa_kernarg_size 64
		.amdhsa_user_sgpr_count 6
		.amdhsa_user_sgpr_private_segment_buffer 1
		.amdhsa_user_sgpr_dispatch_ptr 0
		.amdhsa_user_sgpr_queue_ptr 0
		.amdhsa_user_sgpr_kernarg_segment_ptr 1
		.amdhsa_user_sgpr_dispatch_id 0
		.amdhsa_user_sgpr_flat_scratch_init 0
		.amdhsa_user_sgpr_private_segment_size 0
		.amdhsa_wavefront_size32 1
		.amdhsa_uses_dynamic_stack 0
		.amdhsa_system_sgpr_private_segment_wavefront_offset 0
		.amdhsa_system_sgpr_workgroup_id_x 1
		.amdhsa_system_sgpr_workgroup_id_y 0
		.amdhsa_system_sgpr_workgroup_id_z 0
		.amdhsa_system_sgpr_workgroup_info 0
		.amdhsa_system_vgpr_workitem_id 0
		.amdhsa_next_free_vgpr 1
		.amdhsa_next_free_sgpr 1
		.amdhsa_reserve_vcc 0
		.amdhsa_reserve_flat_scratch 0
		.amdhsa_float_round_mode_32 0
		.amdhsa_float_round_mode_16_64 0
		.amdhsa_float_denorm_mode_32 3
		.amdhsa_float_denorm_mode_16_64 3
		.amdhsa_dx10_clamp 1
		.amdhsa_ieee_mode 1
		.amdhsa_fp16_overflow 0
		.amdhsa_workgroup_processor_mode 1
		.amdhsa_memory_ordered 1
		.amdhsa_forward_progress 1
		.amdhsa_shared_vgpr_count 0
		.amdhsa_exception_fp_ieee_invalid_op 0
		.amdhsa_exception_fp_denorm_src 0
		.amdhsa_exception_fp_ieee_div_zero 0
		.amdhsa_exception_fp_ieee_overflow 0
		.amdhsa_exception_fp_ieee_underflow 0
		.amdhsa_exception_fp_ieee_inexact 0
		.amdhsa_exception_int_div_zero 0
	.end_amdhsa_kernel
	.section	.text._ZN7rocprim17ROCPRIM_400000_NS6detail17trampoline_kernelINS0_14default_configENS1_21merge_config_selectorINS0_5tupleIJssEEENS0_10empty_typeEEEZNS1_10merge_implIS3_NS0_12zip_iteratorINS5_IJN6thrust23THRUST_200600_302600_NS6detail15normal_iteratorINSC_10device_ptrIKsEEEESI_EEEEESK_NSA_INS5_IJNSE_INSF_IsEEEESM_EEEEEPS7_SP_SP_NSC_11hip_rocprim7__merge17predicate_wrapperIssNSC_7greaterIsEEEEEE10hipError_tPvRmT0_T1_T2_T3_T4_T5_mmT6_P12ihipStream_tbEUlT_E_NS1_11comp_targetILNS1_3genE0ELNS1_11target_archE4294967295ELNS1_3gpuE0ELNS1_3repE0EEENS1_30default_config_static_selectorELNS0_4arch9wavefront6targetE0EEEvS10_,"axG",@progbits,_ZN7rocprim17ROCPRIM_400000_NS6detail17trampoline_kernelINS0_14default_configENS1_21merge_config_selectorINS0_5tupleIJssEEENS0_10empty_typeEEEZNS1_10merge_implIS3_NS0_12zip_iteratorINS5_IJN6thrust23THRUST_200600_302600_NS6detail15normal_iteratorINSC_10device_ptrIKsEEEESI_EEEEESK_NSA_INS5_IJNSE_INSF_IsEEEESM_EEEEEPS7_SP_SP_NSC_11hip_rocprim7__merge17predicate_wrapperIssNSC_7greaterIsEEEEEE10hipError_tPvRmT0_T1_T2_T3_T4_T5_mmT6_P12ihipStream_tbEUlT_E_NS1_11comp_targetILNS1_3genE0ELNS1_11target_archE4294967295ELNS1_3gpuE0ELNS1_3repE0EEENS1_30default_config_static_selectorELNS0_4arch9wavefront6targetE0EEEvS10_,comdat
.Lfunc_end443:
	.size	_ZN7rocprim17ROCPRIM_400000_NS6detail17trampoline_kernelINS0_14default_configENS1_21merge_config_selectorINS0_5tupleIJssEEENS0_10empty_typeEEEZNS1_10merge_implIS3_NS0_12zip_iteratorINS5_IJN6thrust23THRUST_200600_302600_NS6detail15normal_iteratorINSC_10device_ptrIKsEEEESI_EEEEESK_NSA_INS5_IJNSE_INSF_IsEEEESM_EEEEEPS7_SP_SP_NSC_11hip_rocprim7__merge17predicate_wrapperIssNSC_7greaterIsEEEEEE10hipError_tPvRmT0_T1_T2_T3_T4_T5_mmT6_P12ihipStream_tbEUlT_E_NS1_11comp_targetILNS1_3genE0ELNS1_11target_archE4294967295ELNS1_3gpuE0ELNS1_3repE0EEENS1_30default_config_static_selectorELNS0_4arch9wavefront6targetE0EEEvS10_, .Lfunc_end443-_ZN7rocprim17ROCPRIM_400000_NS6detail17trampoline_kernelINS0_14default_configENS1_21merge_config_selectorINS0_5tupleIJssEEENS0_10empty_typeEEEZNS1_10merge_implIS3_NS0_12zip_iteratorINS5_IJN6thrust23THRUST_200600_302600_NS6detail15normal_iteratorINSC_10device_ptrIKsEEEESI_EEEEESK_NSA_INS5_IJNSE_INSF_IsEEEESM_EEEEEPS7_SP_SP_NSC_11hip_rocprim7__merge17predicate_wrapperIssNSC_7greaterIsEEEEEE10hipError_tPvRmT0_T1_T2_T3_T4_T5_mmT6_P12ihipStream_tbEUlT_E_NS1_11comp_targetILNS1_3genE0ELNS1_11target_archE4294967295ELNS1_3gpuE0ELNS1_3repE0EEENS1_30default_config_static_selectorELNS0_4arch9wavefront6targetE0EEEvS10_
                                        ; -- End function
	.set _ZN7rocprim17ROCPRIM_400000_NS6detail17trampoline_kernelINS0_14default_configENS1_21merge_config_selectorINS0_5tupleIJssEEENS0_10empty_typeEEEZNS1_10merge_implIS3_NS0_12zip_iteratorINS5_IJN6thrust23THRUST_200600_302600_NS6detail15normal_iteratorINSC_10device_ptrIKsEEEESI_EEEEESK_NSA_INS5_IJNSE_INSF_IsEEEESM_EEEEEPS7_SP_SP_NSC_11hip_rocprim7__merge17predicate_wrapperIssNSC_7greaterIsEEEEEE10hipError_tPvRmT0_T1_T2_T3_T4_T5_mmT6_P12ihipStream_tbEUlT_E_NS1_11comp_targetILNS1_3genE0ELNS1_11target_archE4294967295ELNS1_3gpuE0ELNS1_3repE0EEENS1_30default_config_static_selectorELNS0_4arch9wavefront6targetE0EEEvS10_.num_vgpr, 0
	.set _ZN7rocprim17ROCPRIM_400000_NS6detail17trampoline_kernelINS0_14default_configENS1_21merge_config_selectorINS0_5tupleIJssEEENS0_10empty_typeEEEZNS1_10merge_implIS3_NS0_12zip_iteratorINS5_IJN6thrust23THRUST_200600_302600_NS6detail15normal_iteratorINSC_10device_ptrIKsEEEESI_EEEEESK_NSA_INS5_IJNSE_INSF_IsEEEESM_EEEEEPS7_SP_SP_NSC_11hip_rocprim7__merge17predicate_wrapperIssNSC_7greaterIsEEEEEE10hipError_tPvRmT0_T1_T2_T3_T4_T5_mmT6_P12ihipStream_tbEUlT_E_NS1_11comp_targetILNS1_3genE0ELNS1_11target_archE4294967295ELNS1_3gpuE0ELNS1_3repE0EEENS1_30default_config_static_selectorELNS0_4arch9wavefront6targetE0EEEvS10_.num_agpr, 0
	.set _ZN7rocprim17ROCPRIM_400000_NS6detail17trampoline_kernelINS0_14default_configENS1_21merge_config_selectorINS0_5tupleIJssEEENS0_10empty_typeEEEZNS1_10merge_implIS3_NS0_12zip_iteratorINS5_IJN6thrust23THRUST_200600_302600_NS6detail15normal_iteratorINSC_10device_ptrIKsEEEESI_EEEEESK_NSA_INS5_IJNSE_INSF_IsEEEESM_EEEEEPS7_SP_SP_NSC_11hip_rocprim7__merge17predicate_wrapperIssNSC_7greaterIsEEEEEE10hipError_tPvRmT0_T1_T2_T3_T4_T5_mmT6_P12ihipStream_tbEUlT_E_NS1_11comp_targetILNS1_3genE0ELNS1_11target_archE4294967295ELNS1_3gpuE0ELNS1_3repE0EEENS1_30default_config_static_selectorELNS0_4arch9wavefront6targetE0EEEvS10_.numbered_sgpr, 0
	.set _ZN7rocprim17ROCPRIM_400000_NS6detail17trampoline_kernelINS0_14default_configENS1_21merge_config_selectorINS0_5tupleIJssEEENS0_10empty_typeEEEZNS1_10merge_implIS3_NS0_12zip_iteratorINS5_IJN6thrust23THRUST_200600_302600_NS6detail15normal_iteratorINSC_10device_ptrIKsEEEESI_EEEEESK_NSA_INS5_IJNSE_INSF_IsEEEESM_EEEEEPS7_SP_SP_NSC_11hip_rocprim7__merge17predicate_wrapperIssNSC_7greaterIsEEEEEE10hipError_tPvRmT0_T1_T2_T3_T4_T5_mmT6_P12ihipStream_tbEUlT_E_NS1_11comp_targetILNS1_3genE0ELNS1_11target_archE4294967295ELNS1_3gpuE0ELNS1_3repE0EEENS1_30default_config_static_selectorELNS0_4arch9wavefront6targetE0EEEvS10_.num_named_barrier, 0
	.set _ZN7rocprim17ROCPRIM_400000_NS6detail17trampoline_kernelINS0_14default_configENS1_21merge_config_selectorINS0_5tupleIJssEEENS0_10empty_typeEEEZNS1_10merge_implIS3_NS0_12zip_iteratorINS5_IJN6thrust23THRUST_200600_302600_NS6detail15normal_iteratorINSC_10device_ptrIKsEEEESI_EEEEESK_NSA_INS5_IJNSE_INSF_IsEEEESM_EEEEEPS7_SP_SP_NSC_11hip_rocprim7__merge17predicate_wrapperIssNSC_7greaterIsEEEEEE10hipError_tPvRmT0_T1_T2_T3_T4_T5_mmT6_P12ihipStream_tbEUlT_E_NS1_11comp_targetILNS1_3genE0ELNS1_11target_archE4294967295ELNS1_3gpuE0ELNS1_3repE0EEENS1_30default_config_static_selectorELNS0_4arch9wavefront6targetE0EEEvS10_.private_seg_size, 0
	.set _ZN7rocprim17ROCPRIM_400000_NS6detail17trampoline_kernelINS0_14default_configENS1_21merge_config_selectorINS0_5tupleIJssEEENS0_10empty_typeEEEZNS1_10merge_implIS3_NS0_12zip_iteratorINS5_IJN6thrust23THRUST_200600_302600_NS6detail15normal_iteratorINSC_10device_ptrIKsEEEESI_EEEEESK_NSA_INS5_IJNSE_INSF_IsEEEESM_EEEEEPS7_SP_SP_NSC_11hip_rocprim7__merge17predicate_wrapperIssNSC_7greaterIsEEEEEE10hipError_tPvRmT0_T1_T2_T3_T4_T5_mmT6_P12ihipStream_tbEUlT_E_NS1_11comp_targetILNS1_3genE0ELNS1_11target_archE4294967295ELNS1_3gpuE0ELNS1_3repE0EEENS1_30default_config_static_selectorELNS0_4arch9wavefront6targetE0EEEvS10_.uses_vcc, 0
	.set _ZN7rocprim17ROCPRIM_400000_NS6detail17trampoline_kernelINS0_14default_configENS1_21merge_config_selectorINS0_5tupleIJssEEENS0_10empty_typeEEEZNS1_10merge_implIS3_NS0_12zip_iteratorINS5_IJN6thrust23THRUST_200600_302600_NS6detail15normal_iteratorINSC_10device_ptrIKsEEEESI_EEEEESK_NSA_INS5_IJNSE_INSF_IsEEEESM_EEEEEPS7_SP_SP_NSC_11hip_rocprim7__merge17predicate_wrapperIssNSC_7greaterIsEEEEEE10hipError_tPvRmT0_T1_T2_T3_T4_T5_mmT6_P12ihipStream_tbEUlT_E_NS1_11comp_targetILNS1_3genE0ELNS1_11target_archE4294967295ELNS1_3gpuE0ELNS1_3repE0EEENS1_30default_config_static_selectorELNS0_4arch9wavefront6targetE0EEEvS10_.uses_flat_scratch, 0
	.set _ZN7rocprim17ROCPRIM_400000_NS6detail17trampoline_kernelINS0_14default_configENS1_21merge_config_selectorINS0_5tupleIJssEEENS0_10empty_typeEEEZNS1_10merge_implIS3_NS0_12zip_iteratorINS5_IJN6thrust23THRUST_200600_302600_NS6detail15normal_iteratorINSC_10device_ptrIKsEEEESI_EEEEESK_NSA_INS5_IJNSE_INSF_IsEEEESM_EEEEEPS7_SP_SP_NSC_11hip_rocprim7__merge17predicate_wrapperIssNSC_7greaterIsEEEEEE10hipError_tPvRmT0_T1_T2_T3_T4_T5_mmT6_P12ihipStream_tbEUlT_E_NS1_11comp_targetILNS1_3genE0ELNS1_11target_archE4294967295ELNS1_3gpuE0ELNS1_3repE0EEENS1_30default_config_static_selectorELNS0_4arch9wavefront6targetE0EEEvS10_.has_dyn_sized_stack, 0
	.set _ZN7rocprim17ROCPRIM_400000_NS6detail17trampoline_kernelINS0_14default_configENS1_21merge_config_selectorINS0_5tupleIJssEEENS0_10empty_typeEEEZNS1_10merge_implIS3_NS0_12zip_iteratorINS5_IJN6thrust23THRUST_200600_302600_NS6detail15normal_iteratorINSC_10device_ptrIKsEEEESI_EEEEESK_NSA_INS5_IJNSE_INSF_IsEEEESM_EEEEEPS7_SP_SP_NSC_11hip_rocprim7__merge17predicate_wrapperIssNSC_7greaterIsEEEEEE10hipError_tPvRmT0_T1_T2_T3_T4_T5_mmT6_P12ihipStream_tbEUlT_E_NS1_11comp_targetILNS1_3genE0ELNS1_11target_archE4294967295ELNS1_3gpuE0ELNS1_3repE0EEENS1_30default_config_static_selectorELNS0_4arch9wavefront6targetE0EEEvS10_.has_recursion, 0
	.set _ZN7rocprim17ROCPRIM_400000_NS6detail17trampoline_kernelINS0_14default_configENS1_21merge_config_selectorINS0_5tupleIJssEEENS0_10empty_typeEEEZNS1_10merge_implIS3_NS0_12zip_iteratorINS5_IJN6thrust23THRUST_200600_302600_NS6detail15normal_iteratorINSC_10device_ptrIKsEEEESI_EEEEESK_NSA_INS5_IJNSE_INSF_IsEEEESM_EEEEEPS7_SP_SP_NSC_11hip_rocprim7__merge17predicate_wrapperIssNSC_7greaterIsEEEEEE10hipError_tPvRmT0_T1_T2_T3_T4_T5_mmT6_P12ihipStream_tbEUlT_E_NS1_11comp_targetILNS1_3genE0ELNS1_11target_archE4294967295ELNS1_3gpuE0ELNS1_3repE0EEENS1_30default_config_static_selectorELNS0_4arch9wavefront6targetE0EEEvS10_.has_indirect_call, 0
	.section	.AMDGPU.csdata,"",@progbits
; Kernel info:
; codeLenInByte = 0
; TotalNumSgprs: 0
; NumVgprs: 0
; ScratchSize: 0
; MemoryBound: 0
; FloatMode: 240
; IeeeMode: 1
; LDSByteSize: 0 bytes/workgroup (compile time only)
; SGPRBlocks: 0
; VGPRBlocks: 0
; NumSGPRsForWavesPerEU: 1
; NumVGPRsForWavesPerEU: 1
; Occupancy: 16
; WaveLimiterHint : 0
; COMPUTE_PGM_RSRC2:SCRATCH_EN: 0
; COMPUTE_PGM_RSRC2:USER_SGPR: 6
; COMPUTE_PGM_RSRC2:TRAP_HANDLER: 0
; COMPUTE_PGM_RSRC2:TGID_X_EN: 1
; COMPUTE_PGM_RSRC2:TGID_Y_EN: 0
; COMPUTE_PGM_RSRC2:TGID_Z_EN: 0
; COMPUTE_PGM_RSRC2:TIDIG_COMP_CNT: 0
	.section	.text._ZN7rocprim17ROCPRIM_400000_NS6detail17trampoline_kernelINS0_14default_configENS1_21merge_config_selectorINS0_5tupleIJssEEENS0_10empty_typeEEEZNS1_10merge_implIS3_NS0_12zip_iteratorINS5_IJN6thrust23THRUST_200600_302600_NS6detail15normal_iteratorINSC_10device_ptrIKsEEEESI_EEEEESK_NSA_INS5_IJNSE_INSF_IsEEEESM_EEEEEPS7_SP_SP_NSC_11hip_rocprim7__merge17predicate_wrapperIssNSC_7greaterIsEEEEEE10hipError_tPvRmT0_T1_T2_T3_T4_T5_mmT6_P12ihipStream_tbEUlT_E_NS1_11comp_targetILNS1_3genE5ELNS1_11target_archE942ELNS1_3gpuE9ELNS1_3repE0EEENS1_30default_config_static_selectorELNS0_4arch9wavefront6targetE0EEEvS10_,"axG",@progbits,_ZN7rocprim17ROCPRIM_400000_NS6detail17trampoline_kernelINS0_14default_configENS1_21merge_config_selectorINS0_5tupleIJssEEENS0_10empty_typeEEEZNS1_10merge_implIS3_NS0_12zip_iteratorINS5_IJN6thrust23THRUST_200600_302600_NS6detail15normal_iteratorINSC_10device_ptrIKsEEEESI_EEEEESK_NSA_INS5_IJNSE_INSF_IsEEEESM_EEEEEPS7_SP_SP_NSC_11hip_rocprim7__merge17predicate_wrapperIssNSC_7greaterIsEEEEEE10hipError_tPvRmT0_T1_T2_T3_T4_T5_mmT6_P12ihipStream_tbEUlT_E_NS1_11comp_targetILNS1_3genE5ELNS1_11target_archE942ELNS1_3gpuE9ELNS1_3repE0EEENS1_30default_config_static_selectorELNS0_4arch9wavefront6targetE0EEEvS10_,comdat
	.protected	_ZN7rocprim17ROCPRIM_400000_NS6detail17trampoline_kernelINS0_14default_configENS1_21merge_config_selectorINS0_5tupleIJssEEENS0_10empty_typeEEEZNS1_10merge_implIS3_NS0_12zip_iteratorINS5_IJN6thrust23THRUST_200600_302600_NS6detail15normal_iteratorINSC_10device_ptrIKsEEEESI_EEEEESK_NSA_INS5_IJNSE_INSF_IsEEEESM_EEEEEPS7_SP_SP_NSC_11hip_rocprim7__merge17predicate_wrapperIssNSC_7greaterIsEEEEEE10hipError_tPvRmT0_T1_T2_T3_T4_T5_mmT6_P12ihipStream_tbEUlT_E_NS1_11comp_targetILNS1_3genE5ELNS1_11target_archE942ELNS1_3gpuE9ELNS1_3repE0EEENS1_30default_config_static_selectorELNS0_4arch9wavefront6targetE0EEEvS10_ ; -- Begin function _ZN7rocprim17ROCPRIM_400000_NS6detail17trampoline_kernelINS0_14default_configENS1_21merge_config_selectorINS0_5tupleIJssEEENS0_10empty_typeEEEZNS1_10merge_implIS3_NS0_12zip_iteratorINS5_IJN6thrust23THRUST_200600_302600_NS6detail15normal_iteratorINSC_10device_ptrIKsEEEESI_EEEEESK_NSA_INS5_IJNSE_INSF_IsEEEESM_EEEEEPS7_SP_SP_NSC_11hip_rocprim7__merge17predicate_wrapperIssNSC_7greaterIsEEEEEE10hipError_tPvRmT0_T1_T2_T3_T4_T5_mmT6_P12ihipStream_tbEUlT_E_NS1_11comp_targetILNS1_3genE5ELNS1_11target_archE942ELNS1_3gpuE9ELNS1_3repE0EEENS1_30default_config_static_selectorELNS0_4arch9wavefront6targetE0EEEvS10_
	.globl	_ZN7rocprim17ROCPRIM_400000_NS6detail17trampoline_kernelINS0_14default_configENS1_21merge_config_selectorINS0_5tupleIJssEEENS0_10empty_typeEEEZNS1_10merge_implIS3_NS0_12zip_iteratorINS5_IJN6thrust23THRUST_200600_302600_NS6detail15normal_iteratorINSC_10device_ptrIKsEEEESI_EEEEESK_NSA_INS5_IJNSE_INSF_IsEEEESM_EEEEEPS7_SP_SP_NSC_11hip_rocprim7__merge17predicate_wrapperIssNSC_7greaterIsEEEEEE10hipError_tPvRmT0_T1_T2_T3_T4_T5_mmT6_P12ihipStream_tbEUlT_E_NS1_11comp_targetILNS1_3genE5ELNS1_11target_archE942ELNS1_3gpuE9ELNS1_3repE0EEENS1_30default_config_static_selectorELNS0_4arch9wavefront6targetE0EEEvS10_
	.p2align	8
	.type	_ZN7rocprim17ROCPRIM_400000_NS6detail17trampoline_kernelINS0_14default_configENS1_21merge_config_selectorINS0_5tupleIJssEEENS0_10empty_typeEEEZNS1_10merge_implIS3_NS0_12zip_iteratorINS5_IJN6thrust23THRUST_200600_302600_NS6detail15normal_iteratorINSC_10device_ptrIKsEEEESI_EEEEESK_NSA_INS5_IJNSE_INSF_IsEEEESM_EEEEEPS7_SP_SP_NSC_11hip_rocprim7__merge17predicate_wrapperIssNSC_7greaterIsEEEEEE10hipError_tPvRmT0_T1_T2_T3_T4_T5_mmT6_P12ihipStream_tbEUlT_E_NS1_11comp_targetILNS1_3genE5ELNS1_11target_archE942ELNS1_3gpuE9ELNS1_3repE0EEENS1_30default_config_static_selectorELNS0_4arch9wavefront6targetE0EEEvS10_,@function
_ZN7rocprim17ROCPRIM_400000_NS6detail17trampoline_kernelINS0_14default_configENS1_21merge_config_selectorINS0_5tupleIJssEEENS0_10empty_typeEEEZNS1_10merge_implIS3_NS0_12zip_iteratorINS5_IJN6thrust23THRUST_200600_302600_NS6detail15normal_iteratorINSC_10device_ptrIKsEEEESI_EEEEESK_NSA_INS5_IJNSE_INSF_IsEEEESM_EEEEEPS7_SP_SP_NSC_11hip_rocprim7__merge17predicate_wrapperIssNSC_7greaterIsEEEEEE10hipError_tPvRmT0_T1_T2_T3_T4_T5_mmT6_P12ihipStream_tbEUlT_E_NS1_11comp_targetILNS1_3genE5ELNS1_11target_archE942ELNS1_3gpuE9ELNS1_3repE0EEENS1_30default_config_static_selectorELNS0_4arch9wavefront6targetE0EEEvS10_: ; @_ZN7rocprim17ROCPRIM_400000_NS6detail17trampoline_kernelINS0_14default_configENS1_21merge_config_selectorINS0_5tupleIJssEEENS0_10empty_typeEEEZNS1_10merge_implIS3_NS0_12zip_iteratorINS5_IJN6thrust23THRUST_200600_302600_NS6detail15normal_iteratorINSC_10device_ptrIKsEEEESI_EEEEESK_NSA_INS5_IJNSE_INSF_IsEEEESM_EEEEEPS7_SP_SP_NSC_11hip_rocprim7__merge17predicate_wrapperIssNSC_7greaterIsEEEEEE10hipError_tPvRmT0_T1_T2_T3_T4_T5_mmT6_P12ihipStream_tbEUlT_E_NS1_11comp_targetILNS1_3genE5ELNS1_11target_archE942ELNS1_3gpuE9ELNS1_3repE0EEENS1_30default_config_static_selectorELNS0_4arch9wavefront6targetE0EEEvS10_
; %bb.0:
	.section	.rodata,"a",@progbits
	.p2align	6, 0x0
	.amdhsa_kernel _ZN7rocprim17ROCPRIM_400000_NS6detail17trampoline_kernelINS0_14default_configENS1_21merge_config_selectorINS0_5tupleIJssEEENS0_10empty_typeEEEZNS1_10merge_implIS3_NS0_12zip_iteratorINS5_IJN6thrust23THRUST_200600_302600_NS6detail15normal_iteratorINSC_10device_ptrIKsEEEESI_EEEEESK_NSA_INS5_IJNSE_INSF_IsEEEESM_EEEEEPS7_SP_SP_NSC_11hip_rocprim7__merge17predicate_wrapperIssNSC_7greaterIsEEEEEE10hipError_tPvRmT0_T1_T2_T3_T4_T5_mmT6_P12ihipStream_tbEUlT_E_NS1_11comp_targetILNS1_3genE5ELNS1_11target_archE942ELNS1_3gpuE9ELNS1_3repE0EEENS1_30default_config_static_selectorELNS0_4arch9wavefront6targetE0EEEvS10_
		.amdhsa_group_segment_fixed_size 0
		.amdhsa_private_segment_fixed_size 0
		.amdhsa_kernarg_size 64
		.amdhsa_user_sgpr_count 6
		.amdhsa_user_sgpr_private_segment_buffer 1
		.amdhsa_user_sgpr_dispatch_ptr 0
		.amdhsa_user_sgpr_queue_ptr 0
		.amdhsa_user_sgpr_kernarg_segment_ptr 1
		.amdhsa_user_sgpr_dispatch_id 0
		.amdhsa_user_sgpr_flat_scratch_init 0
		.amdhsa_user_sgpr_private_segment_size 0
		.amdhsa_wavefront_size32 1
		.amdhsa_uses_dynamic_stack 0
		.amdhsa_system_sgpr_private_segment_wavefront_offset 0
		.amdhsa_system_sgpr_workgroup_id_x 1
		.amdhsa_system_sgpr_workgroup_id_y 0
		.amdhsa_system_sgpr_workgroup_id_z 0
		.amdhsa_system_sgpr_workgroup_info 0
		.amdhsa_system_vgpr_workitem_id 0
		.amdhsa_next_free_vgpr 1
		.amdhsa_next_free_sgpr 1
		.amdhsa_reserve_vcc 0
		.amdhsa_reserve_flat_scratch 0
		.amdhsa_float_round_mode_32 0
		.amdhsa_float_round_mode_16_64 0
		.amdhsa_float_denorm_mode_32 3
		.amdhsa_float_denorm_mode_16_64 3
		.amdhsa_dx10_clamp 1
		.amdhsa_ieee_mode 1
		.amdhsa_fp16_overflow 0
		.amdhsa_workgroup_processor_mode 1
		.amdhsa_memory_ordered 1
		.amdhsa_forward_progress 1
		.amdhsa_shared_vgpr_count 0
		.amdhsa_exception_fp_ieee_invalid_op 0
		.amdhsa_exception_fp_denorm_src 0
		.amdhsa_exception_fp_ieee_div_zero 0
		.amdhsa_exception_fp_ieee_overflow 0
		.amdhsa_exception_fp_ieee_underflow 0
		.amdhsa_exception_fp_ieee_inexact 0
		.amdhsa_exception_int_div_zero 0
	.end_amdhsa_kernel
	.section	.text._ZN7rocprim17ROCPRIM_400000_NS6detail17trampoline_kernelINS0_14default_configENS1_21merge_config_selectorINS0_5tupleIJssEEENS0_10empty_typeEEEZNS1_10merge_implIS3_NS0_12zip_iteratorINS5_IJN6thrust23THRUST_200600_302600_NS6detail15normal_iteratorINSC_10device_ptrIKsEEEESI_EEEEESK_NSA_INS5_IJNSE_INSF_IsEEEESM_EEEEEPS7_SP_SP_NSC_11hip_rocprim7__merge17predicate_wrapperIssNSC_7greaterIsEEEEEE10hipError_tPvRmT0_T1_T2_T3_T4_T5_mmT6_P12ihipStream_tbEUlT_E_NS1_11comp_targetILNS1_3genE5ELNS1_11target_archE942ELNS1_3gpuE9ELNS1_3repE0EEENS1_30default_config_static_selectorELNS0_4arch9wavefront6targetE0EEEvS10_,"axG",@progbits,_ZN7rocprim17ROCPRIM_400000_NS6detail17trampoline_kernelINS0_14default_configENS1_21merge_config_selectorINS0_5tupleIJssEEENS0_10empty_typeEEEZNS1_10merge_implIS3_NS0_12zip_iteratorINS5_IJN6thrust23THRUST_200600_302600_NS6detail15normal_iteratorINSC_10device_ptrIKsEEEESI_EEEEESK_NSA_INS5_IJNSE_INSF_IsEEEESM_EEEEEPS7_SP_SP_NSC_11hip_rocprim7__merge17predicate_wrapperIssNSC_7greaterIsEEEEEE10hipError_tPvRmT0_T1_T2_T3_T4_T5_mmT6_P12ihipStream_tbEUlT_E_NS1_11comp_targetILNS1_3genE5ELNS1_11target_archE942ELNS1_3gpuE9ELNS1_3repE0EEENS1_30default_config_static_selectorELNS0_4arch9wavefront6targetE0EEEvS10_,comdat
.Lfunc_end444:
	.size	_ZN7rocprim17ROCPRIM_400000_NS6detail17trampoline_kernelINS0_14default_configENS1_21merge_config_selectorINS0_5tupleIJssEEENS0_10empty_typeEEEZNS1_10merge_implIS3_NS0_12zip_iteratorINS5_IJN6thrust23THRUST_200600_302600_NS6detail15normal_iteratorINSC_10device_ptrIKsEEEESI_EEEEESK_NSA_INS5_IJNSE_INSF_IsEEEESM_EEEEEPS7_SP_SP_NSC_11hip_rocprim7__merge17predicate_wrapperIssNSC_7greaterIsEEEEEE10hipError_tPvRmT0_T1_T2_T3_T4_T5_mmT6_P12ihipStream_tbEUlT_E_NS1_11comp_targetILNS1_3genE5ELNS1_11target_archE942ELNS1_3gpuE9ELNS1_3repE0EEENS1_30default_config_static_selectorELNS0_4arch9wavefront6targetE0EEEvS10_, .Lfunc_end444-_ZN7rocprim17ROCPRIM_400000_NS6detail17trampoline_kernelINS0_14default_configENS1_21merge_config_selectorINS0_5tupleIJssEEENS0_10empty_typeEEEZNS1_10merge_implIS3_NS0_12zip_iteratorINS5_IJN6thrust23THRUST_200600_302600_NS6detail15normal_iteratorINSC_10device_ptrIKsEEEESI_EEEEESK_NSA_INS5_IJNSE_INSF_IsEEEESM_EEEEEPS7_SP_SP_NSC_11hip_rocprim7__merge17predicate_wrapperIssNSC_7greaterIsEEEEEE10hipError_tPvRmT0_T1_T2_T3_T4_T5_mmT6_P12ihipStream_tbEUlT_E_NS1_11comp_targetILNS1_3genE5ELNS1_11target_archE942ELNS1_3gpuE9ELNS1_3repE0EEENS1_30default_config_static_selectorELNS0_4arch9wavefront6targetE0EEEvS10_
                                        ; -- End function
	.set _ZN7rocprim17ROCPRIM_400000_NS6detail17trampoline_kernelINS0_14default_configENS1_21merge_config_selectorINS0_5tupleIJssEEENS0_10empty_typeEEEZNS1_10merge_implIS3_NS0_12zip_iteratorINS5_IJN6thrust23THRUST_200600_302600_NS6detail15normal_iteratorINSC_10device_ptrIKsEEEESI_EEEEESK_NSA_INS5_IJNSE_INSF_IsEEEESM_EEEEEPS7_SP_SP_NSC_11hip_rocprim7__merge17predicate_wrapperIssNSC_7greaterIsEEEEEE10hipError_tPvRmT0_T1_T2_T3_T4_T5_mmT6_P12ihipStream_tbEUlT_E_NS1_11comp_targetILNS1_3genE5ELNS1_11target_archE942ELNS1_3gpuE9ELNS1_3repE0EEENS1_30default_config_static_selectorELNS0_4arch9wavefront6targetE0EEEvS10_.num_vgpr, 0
	.set _ZN7rocprim17ROCPRIM_400000_NS6detail17trampoline_kernelINS0_14default_configENS1_21merge_config_selectorINS0_5tupleIJssEEENS0_10empty_typeEEEZNS1_10merge_implIS3_NS0_12zip_iteratorINS5_IJN6thrust23THRUST_200600_302600_NS6detail15normal_iteratorINSC_10device_ptrIKsEEEESI_EEEEESK_NSA_INS5_IJNSE_INSF_IsEEEESM_EEEEEPS7_SP_SP_NSC_11hip_rocprim7__merge17predicate_wrapperIssNSC_7greaterIsEEEEEE10hipError_tPvRmT0_T1_T2_T3_T4_T5_mmT6_P12ihipStream_tbEUlT_E_NS1_11comp_targetILNS1_3genE5ELNS1_11target_archE942ELNS1_3gpuE9ELNS1_3repE0EEENS1_30default_config_static_selectorELNS0_4arch9wavefront6targetE0EEEvS10_.num_agpr, 0
	.set _ZN7rocprim17ROCPRIM_400000_NS6detail17trampoline_kernelINS0_14default_configENS1_21merge_config_selectorINS0_5tupleIJssEEENS0_10empty_typeEEEZNS1_10merge_implIS3_NS0_12zip_iteratorINS5_IJN6thrust23THRUST_200600_302600_NS6detail15normal_iteratorINSC_10device_ptrIKsEEEESI_EEEEESK_NSA_INS5_IJNSE_INSF_IsEEEESM_EEEEEPS7_SP_SP_NSC_11hip_rocprim7__merge17predicate_wrapperIssNSC_7greaterIsEEEEEE10hipError_tPvRmT0_T1_T2_T3_T4_T5_mmT6_P12ihipStream_tbEUlT_E_NS1_11comp_targetILNS1_3genE5ELNS1_11target_archE942ELNS1_3gpuE9ELNS1_3repE0EEENS1_30default_config_static_selectorELNS0_4arch9wavefront6targetE0EEEvS10_.numbered_sgpr, 0
	.set _ZN7rocprim17ROCPRIM_400000_NS6detail17trampoline_kernelINS0_14default_configENS1_21merge_config_selectorINS0_5tupleIJssEEENS0_10empty_typeEEEZNS1_10merge_implIS3_NS0_12zip_iteratorINS5_IJN6thrust23THRUST_200600_302600_NS6detail15normal_iteratorINSC_10device_ptrIKsEEEESI_EEEEESK_NSA_INS5_IJNSE_INSF_IsEEEESM_EEEEEPS7_SP_SP_NSC_11hip_rocprim7__merge17predicate_wrapperIssNSC_7greaterIsEEEEEE10hipError_tPvRmT0_T1_T2_T3_T4_T5_mmT6_P12ihipStream_tbEUlT_E_NS1_11comp_targetILNS1_3genE5ELNS1_11target_archE942ELNS1_3gpuE9ELNS1_3repE0EEENS1_30default_config_static_selectorELNS0_4arch9wavefront6targetE0EEEvS10_.num_named_barrier, 0
	.set _ZN7rocprim17ROCPRIM_400000_NS6detail17trampoline_kernelINS0_14default_configENS1_21merge_config_selectorINS0_5tupleIJssEEENS0_10empty_typeEEEZNS1_10merge_implIS3_NS0_12zip_iteratorINS5_IJN6thrust23THRUST_200600_302600_NS6detail15normal_iteratorINSC_10device_ptrIKsEEEESI_EEEEESK_NSA_INS5_IJNSE_INSF_IsEEEESM_EEEEEPS7_SP_SP_NSC_11hip_rocprim7__merge17predicate_wrapperIssNSC_7greaterIsEEEEEE10hipError_tPvRmT0_T1_T2_T3_T4_T5_mmT6_P12ihipStream_tbEUlT_E_NS1_11comp_targetILNS1_3genE5ELNS1_11target_archE942ELNS1_3gpuE9ELNS1_3repE0EEENS1_30default_config_static_selectorELNS0_4arch9wavefront6targetE0EEEvS10_.private_seg_size, 0
	.set _ZN7rocprim17ROCPRIM_400000_NS6detail17trampoline_kernelINS0_14default_configENS1_21merge_config_selectorINS0_5tupleIJssEEENS0_10empty_typeEEEZNS1_10merge_implIS3_NS0_12zip_iteratorINS5_IJN6thrust23THRUST_200600_302600_NS6detail15normal_iteratorINSC_10device_ptrIKsEEEESI_EEEEESK_NSA_INS5_IJNSE_INSF_IsEEEESM_EEEEEPS7_SP_SP_NSC_11hip_rocprim7__merge17predicate_wrapperIssNSC_7greaterIsEEEEEE10hipError_tPvRmT0_T1_T2_T3_T4_T5_mmT6_P12ihipStream_tbEUlT_E_NS1_11comp_targetILNS1_3genE5ELNS1_11target_archE942ELNS1_3gpuE9ELNS1_3repE0EEENS1_30default_config_static_selectorELNS0_4arch9wavefront6targetE0EEEvS10_.uses_vcc, 0
	.set _ZN7rocprim17ROCPRIM_400000_NS6detail17trampoline_kernelINS0_14default_configENS1_21merge_config_selectorINS0_5tupleIJssEEENS0_10empty_typeEEEZNS1_10merge_implIS3_NS0_12zip_iteratorINS5_IJN6thrust23THRUST_200600_302600_NS6detail15normal_iteratorINSC_10device_ptrIKsEEEESI_EEEEESK_NSA_INS5_IJNSE_INSF_IsEEEESM_EEEEEPS7_SP_SP_NSC_11hip_rocprim7__merge17predicate_wrapperIssNSC_7greaterIsEEEEEE10hipError_tPvRmT0_T1_T2_T3_T4_T5_mmT6_P12ihipStream_tbEUlT_E_NS1_11comp_targetILNS1_3genE5ELNS1_11target_archE942ELNS1_3gpuE9ELNS1_3repE0EEENS1_30default_config_static_selectorELNS0_4arch9wavefront6targetE0EEEvS10_.uses_flat_scratch, 0
	.set _ZN7rocprim17ROCPRIM_400000_NS6detail17trampoline_kernelINS0_14default_configENS1_21merge_config_selectorINS0_5tupleIJssEEENS0_10empty_typeEEEZNS1_10merge_implIS3_NS0_12zip_iteratorINS5_IJN6thrust23THRUST_200600_302600_NS6detail15normal_iteratorINSC_10device_ptrIKsEEEESI_EEEEESK_NSA_INS5_IJNSE_INSF_IsEEEESM_EEEEEPS7_SP_SP_NSC_11hip_rocprim7__merge17predicate_wrapperIssNSC_7greaterIsEEEEEE10hipError_tPvRmT0_T1_T2_T3_T4_T5_mmT6_P12ihipStream_tbEUlT_E_NS1_11comp_targetILNS1_3genE5ELNS1_11target_archE942ELNS1_3gpuE9ELNS1_3repE0EEENS1_30default_config_static_selectorELNS0_4arch9wavefront6targetE0EEEvS10_.has_dyn_sized_stack, 0
	.set _ZN7rocprim17ROCPRIM_400000_NS6detail17trampoline_kernelINS0_14default_configENS1_21merge_config_selectorINS0_5tupleIJssEEENS0_10empty_typeEEEZNS1_10merge_implIS3_NS0_12zip_iteratorINS5_IJN6thrust23THRUST_200600_302600_NS6detail15normal_iteratorINSC_10device_ptrIKsEEEESI_EEEEESK_NSA_INS5_IJNSE_INSF_IsEEEESM_EEEEEPS7_SP_SP_NSC_11hip_rocprim7__merge17predicate_wrapperIssNSC_7greaterIsEEEEEE10hipError_tPvRmT0_T1_T2_T3_T4_T5_mmT6_P12ihipStream_tbEUlT_E_NS1_11comp_targetILNS1_3genE5ELNS1_11target_archE942ELNS1_3gpuE9ELNS1_3repE0EEENS1_30default_config_static_selectorELNS0_4arch9wavefront6targetE0EEEvS10_.has_recursion, 0
	.set _ZN7rocprim17ROCPRIM_400000_NS6detail17trampoline_kernelINS0_14default_configENS1_21merge_config_selectorINS0_5tupleIJssEEENS0_10empty_typeEEEZNS1_10merge_implIS3_NS0_12zip_iteratorINS5_IJN6thrust23THRUST_200600_302600_NS6detail15normal_iteratorINSC_10device_ptrIKsEEEESI_EEEEESK_NSA_INS5_IJNSE_INSF_IsEEEESM_EEEEEPS7_SP_SP_NSC_11hip_rocprim7__merge17predicate_wrapperIssNSC_7greaterIsEEEEEE10hipError_tPvRmT0_T1_T2_T3_T4_T5_mmT6_P12ihipStream_tbEUlT_E_NS1_11comp_targetILNS1_3genE5ELNS1_11target_archE942ELNS1_3gpuE9ELNS1_3repE0EEENS1_30default_config_static_selectorELNS0_4arch9wavefront6targetE0EEEvS10_.has_indirect_call, 0
	.section	.AMDGPU.csdata,"",@progbits
; Kernel info:
; codeLenInByte = 0
; TotalNumSgprs: 0
; NumVgprs: 0
; ScratchSize: 0
; MemoryBound: 0
; FloatMode: 240
; IeeeMode: 1
; LDSByteSize: 0 bytes/workgroup (compile time only)
; SGPRBlocks: 0
; VGPRBlocks: 0
; NumSGPRsForWavesPerEU: 1
; NumVGPRsForWavesPerEU: 1
; Occupancy: 16
; WaveLimiterHint : 0
; COMPUTE_PGM_RSRC2:SCRATCH_EN: 0
; COMPUTE_PGM_RSRC2:USER_SGPR: 6
; COMPUTE_PGM_RSRC2:TRAP_HANDLER: 0
; COMPUTE_PGM_RSRC2:TGID_X_EN: 1
; COMPUTE_PGM_RSRC2:TGID_Y_EN: 0
; COMPUTE_PGM_RSRC2:TGID_Z_EN: 0
; COMPUTE_PGM_RSRC2:TIDIG_COMP_CNT: 0
	.section	.text._ZN7rocprim17ROCPRIM_400000_NS6detail17trampoline_kernelINS0_14default_configENS1_21merge_config_selectorINS0_5tupleIJssEEENS0_10empty_typeEEEZNS1_10merge_implIS3_NS0_12zip_iteratorINS5_IJN6thrust23THRUST_200600_302600_NS6detail15normal_iteratorINSC_10device_ptrIKsEEEESI_EEEEESK_NSA_INS5_IJNSE_INSF_IsEEEESM_EEEEEPS7_SP_SP_NSC_11hip_rocprim7__merge17predicate_wrapperIssNSC_7greaterIsEEEEEE10hipError_tPvRmT0_T1_T2_T3_T4_T5_mmT6_P12ihipStream_tbEUlT_E_NS1_11comp_targetILNS1_3genE4ELNS1_11target_archE910ELNS1_3gpuE8ELNS1_3repE0EEENS1_30default_config_static_selectorELNS0_4arch9wavefront6targetE0EEEvS10_,"axG",@progbits,_ZN7rocprim17ROCPRIM_400000_NS6detail17trampoline_kernelINS0_14default_configENS1_21merge_config_selectorINS0_5tupleIJssEEENS0_10empty_typeEEEZNS1_10merge_implIS3_NS0_12zip_iteratorINS5_IJN6thrust23THRUST_200600_302600_NS6detail15normal_iteratorINSC_10device_ptrIKsEEEESI_EEEEESK_NSA_INS5_IJNSE_INSF_IsEEEESM_EEEEEPS7_SP_SP_NSC_11hip_rocprim7__merge17predicate_wrapperIssNSC_7greaterIsEEEEEE10hipError_tPvRmT0_T1_T2_T3_T4_T5_mmT6_P12ihipStream_tbEUlT_E_NS1_11comp_targetILNS1_3genE4ELNS1_11target_archE910ELNS1_3gpuE8ELNS1_3repE0EEENS1_30default_config_static_selectorELNS0_4arch9wavefront6targetE0EEEvS10_,comdat
	.protected	_ZN7rocprim17ROCPRIM_400000_NS6detail17trampoline_kernelINS0_14default_configENS1_21merge_config_selectorINS0_5tupleIJssEEENS0_10empty_typeEEEZNS1_10merge_implIS3_NS0_12zip_iteratorINS5_IJN6thrust23THRUST_200600_302600_NS6detail15normal_iteratorINSC_10device_ptrIKsEEEESI_EEEEESK_NSA_INS5_IJNSE_INSF_IsEEEESM_EEEEEPS7_SP_SP_NSC_11hip_rocprim7__merge17predicate_wrapperIssNSC_7greaterIsEEEEEE10hipError_tPvRmT0_T1_T2_T3_T4_T5_mmT6_P12ihipStream_tbEUlT_E_NS1_11comp_targetILNS1_3genE4ELNS1_11target_archE910ELNS1_3gpuE8ELNS1_3repE0EEENS1_30default_config_static_selectorELNS0_4arch9wavefront6targetE0EEEvS10_ ; -- Begin function _ZN7rocprim17ROCPRIM_400000_NS6detail17trampoline_kernelINS0_14default_configENS1_21merge_config_selectorINS0_5tupleIJssEEENS0_10empty_typeEEEZNS1_10merge_implIS3_NS0_12zip_iteratorINS5_IJN6thrust23THRUST_200600_302600_NS6detail15normal_iteratorINSC_10device_ptrIKsEEEESI_EEEEESK_NSA_INS5_IJNSE_INSF_IsEEEESM_EEEEEPS7_SP_SP_NSC_11hip_rocprim7__merge17predicate_wrapperIssNSC_7greaterIsEEEEEE10hipError_tPvRmT0_T1_T2_T3_T4_T5_mmT6_P12ihipStream_tbEUlT_E_NS1_11comp_targetILNS1_3genE4ELNS1_11target_archE910ELNS1_3gpuE8ELNS1_3repE0EEENS1_30default_config_static_selectorELNS0_4arch9wavefront6targetE0EEEvS10_
	.globl	_ZN7rocprim17ROCPRIM_400000_NS6detail17trampoline_kernelINS0_14default_configENS1_21merge_config_selectorINS0_5tupleIJssEEENS0_10empty_typeEEEZNS1_10merge_implIS3_NS0_12zip_iteratorINS5_IJN6thrust23THRUST_200600_302600_NS6detail15normal_iteratorINSC_10device_ptrIKsEEEESI_EEEEESK_NSA_INS5_IJNSE_INSF_IsEEEESM_EEEEEPS7_SP_SP_NSC_11hip_rocprim7__merge17predicate_wrapperIssNSC_7greaterIsEEEEEE10hipError_tPvRmT0_T1_T2_T3_T4_T5_mmT6_P12ihipStream_tbEUlT_E_NS1_11comp_targetILNS1_3genE4ELNS1_11target_archE910ELNS1_3gpuE8ELNS1_3repE0EEENS1_30default_config_static_selectorELNS0_4arch9wavefront6targetE0EEEvS10_
	.p2align	8
	.type	_ZN7rocprim17ROCPRIM_400000_NS6detail17trampoline_kernelINS0_14default_configENS1_21merge_config_selectorINS0_5tupleIJssEEENS0_10empty_typeEEEZNS1_10merge_implIS3_NS0_12zip_iteratorINS5_IJN6thrust23THRUST_200600_302600_NS6detail15normal_iteratorINSC_10device_ptrIKsEEEESI_EEEEESK_NSA_INS5_IJNSE_INSF_IsEEEESM_EEEEEPS7_SP_SP_NSC_11hip_rocprim7__merge17predicate_wrapperIssNSC_7greaterIsEEEEEE10hipError_tPvRmT0_T1_T2_T3_T4_T5_mmT6_P12ihipStream_tbEUlT_E_NS1_11comp_targetILNS1_3genE4ELNS1_11target_archE910ELNS1_3gpuE8ELNS1_3repE0EEENS1_30default_config_static_selectorELNS0_4arch9wavefront6targetE0EEEvS10_,@function
_ZN7rocprim17ROCPRIM_400000_NS6detail17trampoline_kernelINS0_14default_configENS1_21merge_config_selectorINS0_5tupleIJssEEENS0_10empty_typeEEEZNS1_10merge_implIS3_NS0_12zip_iteratorINS5_IJN6thrust23THRUST_200600_302600_NS6detail15normal_iteratorINSC_10device_ptrIKsEEEESI_EEEEESK_NSA_INS5_IJNSE_INSF_IsEEEESM_EEEEEPS7_SP_SP_NSC_11hip_rocprim7__merge17predicate_wrapperIssNSC_7greaterIsEEEEEE10hipError_tPvRmT0_T1_T2_T3_T4_T5_mmT6_P12ihipStream_tbEUlT_E_NS1_11comp_targetILNS1_3genE4ELNS1_11target_archE910ELNS1_3gpuE8ELNS1_3repE0EEENS1_30default_config_static_selectorELNS0_4arch9wavefront6targetE0EEEvS10_: ; @_ZN7rocprim17ROCPRIM_400000_NS6detail17trampoline_kernelINS0_14default_configENS1_21merge_config_selectorINS0_5tupleIJssEEENS0_10empty_typeEEEZNS1_10merge_implIS3_NS0_12zip_iteratorINS5_IJN6thrust23THRUST_200600_302600_NS6detail15normal_iteratorINSC_10device_ptrIKsEEEESI_EEEEESK_NSA_INS5_IJNSE_INSF_IsEEEESM_EEEEEPS7_SP_SP_NSC_11hip_rocprim7__merge17predicate_wrapperIssNSC_7greaterIsEEEEEE10hipError_tPvRmT0_T1_T2_T3_T4_T5_mmT6_P12ihipStream_tbEUlT_E_NS1_11comp_targetILNS1_3genE4ELNS1_11target_archE910ELNS1_3gpuE8ELNS1_3repE0EEENS1_30default_config_static_selectorELNS0_4arch9wavefront6targetE0EEEvS10_
; %bb.0:
	.section	.rodata,"a",@progbits
	.p2align	6, 0x0
	.amdhsa_kernel _ZN7rocprim17ROCPRIM_400000_NS6detail17trampoline_kernelINS0_14default_configENS1_21merge_config_selectorINS0_5tupleIJssEEENS0_10empty_typeEEEZNS1_10merge_implIS3_NS0_12zip_iteratorINS5_IJN6thrust23THRUST_200600_302600_NS6detail15normal_iteratorINSC_10device_ptrIKsEEEESI_EEEEESK_NSA_INS5_IJNSE_INSF_IsEEEESM_EEEEEPS7_SP_SP_NSC_11hip_rocprim7__merge17predicate_wrapperIssNSC_7greaterIsEEEEEE10hipError_tPvRmT0_T1_T2_T3_T4_T5_mmT6_P12ihipStream_tbEUlT_E_NS1_11comp_targetILNS1_3genE4ELNS1_11target_archE910ELNS1_3gpuE8ELNS1_3repE0EEENS1_30default_config_static_selectorELNS0_4arch9wavefront6targetE0EEEvS10_
		.amdhsa_group_segment_fixed_size 0
		.amdhsa_private_segment_fixed_size 0
		.amdhsa_kernarg_size 64
		.amdhsa_user_sgpr_count 6
		.amdhsa_user_sgpr_private_segment_buffer 1
		.amdhsa_user_sgpr_dispatch_ptr 0
		.amdhsa_user_sgpr_queue_ptr 0
		.amdhsa_user_sgpr_kernarg_segment_ptr 1
		.amdhsa_user_sgpr_dispatch_id 0
		.amdhsa_user_sgpr_flat_scratch_init 0
		.amdhsa_user_sgpr_private_segment_size 0
		.amdhsa_wavefront_size32 1
		.amdhsa_uses_dynamic_stack 0
		.amdhsa_system_sgpr_private_segment_wavefront_offset 0
		.amdhsa_system_sgpr_workgroup_id_x 1
		.amdhsa_system_sgpr_workgroup_id_y 0
		.amdhsa_system_sgpr_workgroup_id_z 0
		.amdhsa_system_sgpr_workgroup_info 0
		.amdhsa_system_vgpr_workitem_id 0
		.amdhsa_next_free_vgpr 1
		.amdhsa_next_free_sgpr 1
		.amdhsa_reserve_vcc 0
		.amdhsa_reserve_flat_scratch 0
		.amdhsa_float_round_mode_32 0
		.amdhsa_float_round_mode_16_64 0
		.amdhsa_float_denorm_mode_32 3
		.amdhsa_float_denorm_mode_16_64 3
		.amdhsa_dx10_clamp 1
		.amdhsa_ieee_mode 1
		.amdhsa_fp16_overflow 0
		.amdhsa_workgroup_processor_mode 1
		.amdhsa_memory_ordered 1
		.amdhsa_forward_progress 1
		.amdhsa_shared_vgpr_count 0
		.amdhsa_exception_fp_ieee_invalid_op 0
		.amdhsa_exception_fp_denorm_src 0
		.amdhsa_exception_fp_ieee_div_zero 0
		.amdhsa_exception_fp_ieee_overflow 0
		.amdhsa_exception_fp_ieee_underflow 0
		.amdhsa_exception_fp_ieee_inexact 0
		.amdhsa_exception_int_div_zero 0
	.end_amdhsa_kernel
	.section	.text._ZN7rocprim17ROCPRIM_400000_NS6detail17trampoline_kernelINS0_14default_configENS1_21merge_config_selectorINS0_5tupleIJssEEENS0_10empty_typeEEEZNS1_10merge_implIS3_NS0_12zip_iteratorINS5_IJN6thrust23THRUST_200600_302600_NS6detail15normal_iteratorINSC_10device_ptrIKsEEEESI_EEEEESK_NSA_INS5_IJNSE_INSF_IsEEEESM_EEEEEPS7_SP_SP_NSC_11hip_rocprim7__merge17predicate_wrapperIssNSC_7greaterIsEEEEEE10hipError_tPvRmT0_T1_T2_T3_T4_T5_mmT6_P12ihipStream_tbEUlT_E_NS1_11comp_targetILNS1_3genE4ELNS1_11target_archE910ELNS1_3gpuE8ELNS1_3repE0EEENS1_30default_config_static_selectorELNS0_4arch9wavefront6targetE0EEEvS10_,"axG",@progbits,_ZN7rocprim17ROCPRIM_400000_NS6detail17trampoline_kernelINS0_14default_configENS1_21merge_config_selectorINS0_5tupleIJssEEENS0_10empty_typeEEEZNS1_10merge_implIS3_NS0_12zip_iteratorINS5_IJN6thrust23THRUST_200600_302600_NS6detail15normal_iteratorINSC_10device_ptrIKsEEEESI_EEEEESK_NSA_INS5_IJNSE_INSF_IsEEEESM_EEEEEPS7_SP_SP_NSC_11hip_rocprim7__merge17predicate_wrapperIssNSC_7greaterIsEEEEEE10hipError_tPvRmT0_T1_T2_T3_T4_T5_mmT6_P12ihipStream_tbEUlT_E_NS1_11comp_targetILNS1_3genE4ELNS1_11target_archE910ELNS1_3gpuE8ELNS1_3repE0EEENS1_30default_config_static_selectorELNS0_4arch9wavefront6targetE0EEEvS10_,comdat
.Lfunc_end445:
	.size	_ZN7rocprim17ROCPRIM_400000_NS6detail17trampoline_kernelINS0_14default_configENS1_21merge_config_selectorINS0_5tupleIJssEEENS0_10empty_typeEEEZNS1_10merge_implIS3_NS0_12zip_iteratorINS5_IJN6thrust23THRUST_200600_302600_NS6detail15normal_iteratorINSC_10device_ptrIKsEEEESI_EEEEESK_NSA_INS5_IJNSE_INSF_IsEEEESM_EEEEEPS7_SP_SP_NSC_11hip_rocprim7__merge17predicate_wrapperIssNSC_7greaterIsEEEEEE10hipError_tPvRmT0_T1_T2_T3_T4_T5_mmT6_P12ihipStream_tbEUlT_E_NS1_11comp_targetILNS1_3genE4ELNS1_11target_archE910ELNS1_3gpuE8ELNS1_3repE0EEENS1_30default_config_static_selectorELNS0_4arch9wavefront6targetE0EEEvS10_, .Lfunc_end445-_ZN7rocprim17ROCPRIM_400000_NS6detail17trampoline_kernelINS0_14default_configENS1_21merge_config_selectorINS0_5tupleIJssEEENS0_10empty_typeEEEZNS1_10merge_implIS3_NS0_12zip_iteratorINS5_IJN6thrust23THRUST_200600_302600_NS6detail15normal_iteratorINSC_10device_ptrIKsEEEESI_EEEEESK_NSA_INS5_IJNSE_INSF_IsEEEESM_EEEEEPS7_SP_SP_NSC_11hip_rocprim7__merge17predicate_wrapperIssNSC_7greaterIsEEEEEE10hipError_tPvRmT0_T1_T2_T3_T4_T5_mmT6_P12ihipStream_tbEUlT_E_NS1_11comp_targetILNS1_3genE4ELNS1_11target_archE910ELNS1_3gpuE8ELNS1_3repE0EEENS1_30default_config_static_selectorELNS0_4arch9wavefront6targetE0EEEvS10_
                                        ; -- End function
	.set _ZN7rocprim17ROCPRIM_400000_NS6detail17trampoline_kernelINS0_14default_configENS1_21merge_config_selectorINS0_5tupleIJssEEENS0_10empty_typeEEEZNS1_10merge_implIS3_NS0_12zip_iteratorINS5_IJN6thrust23THRUST_200600_302600_NS6detail15normal_iteratorINSC_10device_ptrIKsEEEESI_EEEEESK_NSA_INS5_IJNSE_INSF_IsEEEESM_EEEEEPS7_SP_SP_NSC_11hip_rocprim7__merge17predicate_wrapperIssNSC_7greaterIsEEEEEE10hipError_tPvRmT0_T1_T2_T3_T4_T5_mmT6_P12ihipStream_tbEUlT_E_NS1_11comp_targetILNS1_3genE4ELNS1_11target_archE910ELNS1_3gpuE8ELNS1_3repE0EEENS1_30default_config_static_selectorELNS0_4arch9wavefront6targetE0EEEvS10_.num_vgpr, 0
	.set _ZN7rocprim17ROCPRIM_400000_NS6detail17trampoline_kernelINS0_14default_configENS1_21merge_config_selectorINS0_5tupleIJssEEENS0_10empty_typeEEEZNS1_10merge_implIS3_NS0_12zip_iteratorINS5_IJN6thrust23THRUST_200600_302600_NS6detail15normal_iteratorINSC_10device_ptrIKsEEEESI_EEEEESK_NSA_INS5_IJNSE_INSF_IsEEEESM_EEEEEPS7_SP_SP_NSC_11hip_rocprim7__merge17predicate_wrapperIssNSC_7greaterIsEEEEEE10hipError_tPvRmT0_T1_T2_T3_T4_T5_mmT6_P12ihipStream_tbEUlT_E_NS1_11comp_targetILNS1_3genE4ELNS1_11target_archE910ELNS1_3gpuE8ELNS1_3repE0EEENS1_30default_config_static_selectorELNS0_4arch9wavefront6targetE0EEEvS10_.num_agpr, 0
	.set _ZN7rocprim17ROCPRIM_400000_NS6detail17trampoline_kernelINS0_14default_configENS1_21merge_config_selectorINS0_5tupleIJssEEENS0_10empty_typeEEEZNS1_10merge_implIS3_NS0_12zip_iteratorINS5_IJN6thrust23THRUST_200600_302600_NS6detail15normal_iteratorINSC_10device_ptrIKsEEEESI_EEEEESK_NSA_INS5_IJNSE_INSF_IsEEEESM_EEEEEPS7_SP_SP_NSC_11hip_rocprim7__merge17predicate_wrapperIssNSC_7greaterIsEEEEEE10hipError_tPvRmT0_T1_T2_T3_T4_T5_mmT6_P12ihipStream_tbEUlT_E_NS1_11comp_targetILNS1_3genE4ELNS1_11target_archE910ELNS1_3gpuE8ELNS1_3repE0EEENS1_30default_config_static_selectorELNS0_4arch9wavefront6targetE0EEEvS10_.numbered_sgpr, 0
	.set _ZN7rocprim17ROCPRIM_400000_NS6detail17trampoline_kernelINS0_14default_configENS1_21merge_config_selectorINS0_5tupleIJssEEENS0_10empty_typeEEEZNS1_10merge_implIS3_NS0_12zip_iteratorINS5_IJN6thrust23THRUST_200600_302600_NS6detail15normal_iteratorINSC_10device_ptrIKsEEEESI_EEEEESK_NSA_INS5_IJNSE_INSF_IsEEEESM_EEEEEPS7_SP_SP_NSC_11hip_rocprim7__merge17predicate_wrapperIssNSC_7greaterIsEEEEEE10hipError_tPvRmT0_T1_T2_T3_T4_T5_mmT6_P12ihipStream_tbEUlT_E_NS1_11comp_targetILNS1_3genE4ELNS1_11target_archE910ELNS1_3gpuE8ELNS1_3repE0EEENS1_30default_config_static_selectorELNS0_4arch9wavefront6targetE0EEEvS10_.num_named_barrier, 0
	.set _ZN7rocprim17ROCPRIM_400000_NS6detail17trampoline_kernelINS0_14default_configENS1_21merge_config_selectorINS0_5tupleIJssEEENS0_10empty_typeEEEZNS1_10merge_implIS3_NS0_12zip_iteratorINS5_IJN6thrust23THRUST_200600_302600_NS6detail15normal_iteratorINSC_10device_ptrIKsEEEESI_EEEEESK_NSA_INS5_IJNSE_INSF_IsEEEESM_EEEEEPS7_SP_SP_NSC_11hip_rocprim7__merge17predicate_wrapperIssNSC_7greaterIsEEEEEE10hipError_tPvRmT0_T1_T2_T3_T4_T5_mmT6_P12ihipStream_tbEUlT_E_NS1_11comp_targetILNS1_3genE4ELNS1_11target_archE910ELNS1_3gpuE8ELNS1_3repE0EEENS1_30default_config_static_selectorELNS0_4arch9wavefront6targetE0EEEvS10_.private_seg_size, 0
	.set _ZN7rocprim17ROCPRIM_400000_NS6detail17trampoline_kernelINS0_14default_configENS1_21merge_config_selectorINS0_5tupleIJssEEENS0_10empty_typeEEEZNS1_10merge_implIS3_NS0_12zip_iteratorINS5_IJN6thrust23THRUST_200600_302600_NS6detail15normal_iteratorINSC_10device_ptrIKsEEEESI_EEEEESK_NSA_INS5_IJNSE_INSF_IsEEEESM_EEEEEPS7_SP_SP_NSC_11hip_rocprim7__merge17predicate_wrapperIssNSC_7greaterIsEEEEEE10hipError_tPvRmT0_T1_T2_T3_T4_T5_mmT6_P12ihipStream_tbEUlT_E_NS1_11comp_targetILNS1_3genE4ELNS1_11target_archE910ELNS1_3gpuE8ELNS1_3repE0EEENS1_30default_config_static_selectorELNS0_4arch9wavefront6targetE0EEEvS10_.uses_vcc, 0
	.set _ZN7rocprim17ROCPRIM_400000_NS6detail17trampoline_kernelINS0_14default_configENS1_21merge_config_selectorINS0_5tupleIJssEEENS0_10empty_typeEEEZNS1_10merge_implIS3_NS0_12zip_iteratorINS5_IJN6thrust23THRUST_200600_302600_NS6detail15normal_iteratorINSC_10device_ptrIKsEEEESI_EEEEESK_NSA_INS5_IJNSE_INSF_IsEEEESM_EEEEEPS7_SP_SP_NSC_11hip_rocprim7__merge17predicate_wrapperIssNSC_7greaterIsEEEEEE10hipError_tPvRmT0_T1_T2_T3_T4_T5_mmT6_P12ihipStream_tbEUlT_E_NS1_11comp_targetILNS1_3genE4ELNS1_11target_archE910ELNS1_3gpuE8ELNS1_3repE0EEENS1_30default_config_static_selectorELNS0_4arch9wavefront6targetE0EEEvS10_.uses_flat_scratch, 0
	.set _ZN7rocprim17ROCPRIM_400000_NS6detail17trampoline_kernelINS0_14default_configENS1_21merge_config_selectorINS0_5tupleIJssEEENS0_10empty_typeEEEZNS1_10merge_implIS3_NS0_12zip_iteratorINS5_IJN6thrust23THRUST_200600_302600_NS6detail15normal_iteratorINSC_10device_ptrIKsEEEESI_EEEEESK_NSA_INS5_IJNSE_INSF_IsEEEESM_EEEEEPS7_SP_SP_NSC_11hip_rocprim7__merge17predicate_wrapperIssNSC_7greaterIsEEEEEE10hipError_tPvRmT0_T1_T2_T3_T4_T5_mmT6_P12ihipStream_tbEUlT_E_NS1_11comp_targetILNS1_3genE4ELNS1_11target_archE910ELNS1_3gpuE8ELNS1_3repE0EEENS1_30default_config_static_selectorELNS0_4arch9wavefront6targetE0EEEvS10_.has_dyn_sized_stack, 0
	.set _ZN7rocprim17ROCPRIM_400000_NS6detail17trampoline_kernelINS0_14default_configENS1_21merge_config_selectorINS0_5tupleIJssEEENS0_10empty_typeEEEZNS1_10merge_implIS3_NS0_12zip_iteratorINS5_IJN6thrust23THRUST_200600_302600_NS6detail15normal_iteratorINSC_10device_ptrIKsEEEESI_EEEEESK_NSA_INS5_IJNSE_INSF_IsEEEESM_EEEEEPS7_SP_SP_NSC_11hip_rocprim7__merge17predicate_wrapperIssNSC_7greaterIsEEEEEE10hipError_tPvRmT0_T1_T2_T3_T4_T5_mmT6_P12ihipStream_tbEUlT_E_NS1_11comp_targetILNS1_3genE4ELNS1_11target_archE910ELNS1_3gpuE8ELNS1_3repE0EEENS1_30default_config_static_selectorELNS0_4arch9wavefront6targetE0EEEvS10_.has_recursion, 0
	.set _ZN7rocprim17ROCPRIM_400000_NS6detail17trampoline_kernelINS0_14default_configENS1_21merge_config_selectorINS0_5tupleIJssEEENS0_10empty_typeEEEZNS1_10merge_implIS3_NS0_12zip_iteratorINS5_IJN6thrust23THRUST_200600_302600_NS6detail15normal_iteratorINSC_10device_ptrIKsEEEESI_EEEEESK_NSA_INS5_IJNSE_INSF_IsEEEESM_EEEEEPS7_SP_SP_NSC_11hip_rocprim7__merge17predicate_wrapperIssNSC_7greaterIsEEEEEE10hipError_tPvRmT0_T1_T2_T3_T4_T5_mmT6_P12ihipStream_tbEUlT_E_NS1_11comp_targetILNS1_3genE4ELNS1_11target_archE910ELNS1_3gpuE8ELNS1_3repE0EEENS1_30default_config_static_selectorELNS0_4arch9wavefront6targetE0EEEvS10_.has_indirect_call, 0
	.section	.AMDGPU.csdata,"",@progbits
; Kernel info:
; codeLenInByte = 0
; TotalNumSgprs: 0
; NumVgprs: 0
; ScratchSize: 0
; MemoryBound: 0
; FloatMode: 240
; IeeeMode: 1
; LDSByteSize: 0 bytes/workgroup (compile time only)
; SGPRBlocks: 0
; VGPRBlocks: 0
; NumSGPRsForWavesPerEU: 1
; NumVGPRsForWavesPerEU: 1
; Occupancy: 16
; WaveLimiterHint : 0
; COMPUTE_PGM_RSRC2:SCRATCH_EN: 0
; COMPUTE_PGM_RSRC2:USER_SGPR: 6
; COMPUTE_PGM_RSRC2:TRAP_HANDLER: 0
; COMPUTE_PGM_RSRC2:TGID_X_EN: 1
; COMPUTE_PGM_RSRC2:TGID_Y_EN: 0
; COMPUTE_PGM_RSRC2:TGID_Z_EN: 0
; COMPUTE_PGM_RSRC2:TIDIG_COMP_CNT: 0
	.section	.text._ZN7rocprim17ROCPRIM_400000_NS6detail17trampoline_kernelINS0_14default_configENS1_21merge_config_selectorINS0_5tupleIJssEEENS0_10empty_typeEEEZNS1_10merge_implIS3_NS0_12zip_iteratorINS5_IJN6thrust23THRUST_200600_302600_NS6detail15normal_iteratorINSC_10device_ptrIKsEEEESI_EEEEESK_NSA_INS5_IJNSE_INSF_IsEEEESM_EEEEEPS7_SP_SP_NSC_11hip_rocprim7__merge17predicate_wrapperIssNSC_7greaterIsEEEEEE10hipError_tPvRmT0_T1_T2_T3_T4_T5_mmT6_P12ihipStream_tbEUlT_E_NS1_11comp_targetILNS1_3genE3ELNS1_11target_archE908ELNS1_3gpuE7ELNS1_3repE0EEENS1_30default_config_static_selectorELNS0_4arch9wavefront6targetE0EEEvS10_,"axG",@progbits,_ZN7rocprim17ROCPRIM_400000_NS6detail17trampoline_kernelINS0_14default_configENS1_21merge_config_selectorINS0_5tupleIJssEEENS0_10empty_typeEEEZNS1_10merge_implIS3_NS0_12zip_iteratorINS5_IJN6thrust23THRUST_200600_302600_NS6detail15normal_iteratorINSC_10device_ptrIKsEEEESI_EEEEESK_NSA_INS5_IJNSE_INSF_IsEEEESM_EEEEEPS7_SP_SP_NSC_11hip_rocprim7__merge17predicate_wrapperIssNSC_7greaterIsEEEEEE10hipError_tPvRmT0_T1_T2_T3_T4_T5_mmT6_P12ihipStream_tbEUlT_E_NS1_11comp_targetILNS1_3genE3ELNS1_11target_archE908ELNS1_3gpuE7ELNS1_3repE0EEENS1_30default_config_static_selectorELNS0_4arch9wavefront6targetE0EEEvS10_,comdat
	.protected	_ZN7rocprim17ROCPRIM_400000_NS6detail17trampoline_kernelINS0_14default_configENS1_21merge_config_selectorINS0_5tupleIJssEEENS0_10empty_typeEEEZNS1_10merge_implIS3_NS0_12zip_iteratorINS5_IJN6thrust23THRUST_200600_302600_NS6detail15normal_iteratorINSC_10device_ptrIKsEEEESI_EEEEESK_NSA_INS5_IJNSE_INSF_IsEEEESM_EEEEEPS7_SP_SP_NSC_11hip_rocprim7__merge17predicate_wrapperIssNSC_7greaterIsEEEEEE10hipError_tPvRmT0_T1_T2_T3_T4_T5_mmT6_P12ihipStream_tbEUlT_E_NS1_11comp_targetILNS1_3genE3ELNS1_11target_archE908ELNS1_3gpuE7ELNS1_3repE0EEENS1_30default_config_static_selectorELNS0_4arch9wavefront6targetE0EEEvS10_ ; -- Begin function _ZN7rocprim17ROCPRIM_400000_NS6detail17trampoline_kernelINS0_14default_configENS1_21merge_config_selectorINS0_5tupleIJssEEENS0_10empty_typeEEEZNS1_10merge_implIS3_NS0_12zip_iteratorINS5_IJN6thrust23THRUST_200600_302600_NS6detail15normal_iteratorINSC_10device_ptrIKsEEEESI_EEEEESK_NSA_INS5_IJNSE_INSF_IsEEEESM_EEEEEPS7_SP_SP_NSC_11hip_rocprim7__merge17predicate_wrapperIssNSC_7greaterIsEEEEEE10hipError_tPvRmT0_T1_T2_T3_T4_T5_mmT6_P12ihipStream_tbEUlT_E_NS1_11comp_targetILNS1_3genE3ELNS1_11target_archE908ELNS1_3gpuE7ELNS1_3repE0EEENS1_30default_config_static_selectorELNS0_4arch9wavefront6targetE0EEEvS10_
	.globl	_ZN7rocprim17ROCPRIM_400000_NS6detail17trampoline_kernelINS0_14default_configENS1_21merge_config_selectorINS0_5tupleIJssEEENS0_10empty_typeEEEZNS1_10merge_implIS3_NS0_12zip_iteratorINS5_IJN6thrust23THRUST_200600_302600_NS6detail15normal_iteratorINSC_10device_ptrIKsEEEESI_EEEEESK_NSA_INS5_IJNSE_INSF_IsEEEESM_EEEEEPS7_SP_SP_NSC_11hip_rocprim7__merge17predicate_wrapperIssNSC_7greaterIsEEEEEE10hipError_tPvRmT0_T1_T2_T3_T4_T5_mmT6_P12ihipStream_tbEUlT_E_NS1_11comp_targetILNS1_3genE3ELNS1_11target_archE908ELNS1_3gpuE7ELNS1_3repE0EEENS1_30default_config_static_selectorELNS0_4arch9wavefront6targetE0EEEvS10_
	.p2align	8
	.type	_ZN7rocprim17ROCPRIM_400000_NS6detail17trampoline_kernelINS0_14default_configENS1_21merge_config_selectorINS0_5tupleIJssEEENS0_10empty_typeEEEZNS1_10merge_implIS3_NS0_12zip_iteratorINS5_IJN6thrust23THRUST_200600_302600_NS6detail15normal_iteratorINSC_10device_ptrIKsEEEESI_EEEEESK_NSA_INS5_IJNSE_INSF_IsEEEESM_EEEEEPS7_SP_SP_NSC_11hip_rocprim7__merge17predicate_wrapperIssNSC_7greaterIsEEEEEE10hipError_tPvRmT0_T1_T2_T3_T4_T5_mmT6_P12ihipStream_tbEUlT_E_NS1_11comp_targetILNS1_3genE3ELNS1_11target_archE908ELNS1_3gpuE7ELNS1_3repE0EEENS1_30default_config_static_selectorELNS0_4arch9wavefront6targetE0EEEvS10_,@function
_ZN7rocprim17ROCPRIM_400000_NS6detail17trampoline_kernelINS0_14default_configENS1_21merge_config_selectorINS0_5tupleIJssEEENS0_10empty_typeEEEZNS1_10merge_implIS3_NS0_12zip_iteratorINS5_IJN6thrust23THRUST_200600_302600_NS6detail15normal_iteratorINSC_10device_ptrIKsEEEESI_EEEEESK_NSA_INS5_IJNSE_INSF_IsEEEESM_EEEEEPS7_SP_SP_NSC_11hip_rocprim7__merge17predicate_wrapperIssNSC_7greaterIsEEEEEE10hipError_tPvRmT0_T1_T2_T3_T4_T5_mmT6_P12ihipStream_tbEUlT_E_NS1_11comp_targetILNS1_3genE3ELNS1_11target_archE908ELNS1_3gpuE7ELNS1_3repE0EEENS1_30default_config_static_selectorELNS0_4arch9wavefront6targetE0EEEvS10_: ; @_ZN7rocprim17ROCPRIM_400000_NS6detail17trampoline_kernelINS0_14default_configENS1_21merge_config_selectorINS0_5tupleIJssEEENS0_10empty_typeEEEZNS1_10merge_implIS3_NS0_12zip_iteratorINS5_IJN6thrust23THRUST_200600_302600_NS6detail15normal_iteratorINSC_10device_ptrIKsEEEESI_EEEEESK_NSA_INS5_IJNSE_INSF_IsEEEESM_EEEEEPS7_SP_SP_NSC_11hip_rocprim7__merge17predicate_wrapperIssNSC_7greaterIsEEEEEE10hipError_tPvRmT0_T1_T2_T3_T4_T5_mmT6_P12ihipStream_tbEUlT_E_NS1_11comp_targetILNS1_3genE3ELNS1_11target_archE908ELNS1_3gpuE7ELNS1_3repE0EEENS1_30default_config_static_selectorELNS0_4arch9wavefront6targetE0EEEvS10_
; %bb.0:
	.section	.rodata,"a",@progbits
	.p2align	6, 0x0
	.amdhsa_kernel _ZN7rocprim17ROCPRIM_400000_NS6detail17trampoline_kernelINS0_14default_configENS1_21merge_config_selectorINS0_5tupleIJssEEENS0_10empty_typeEEEZNS1_10merge_implIS3_NS0_12zip_iteratorINS5_IJN6thrust23THRUST_200600_302600_NS6detail15normal_iteratorINSC_10device_ptrIKsEEEESI_EEEEESK_NSA_INS5_IJNSE_INSF_IsEEEESM_EEEEEPS7_SP_SP_NSC_11hip_rocprim7__merge17predicate_wrapperIssNSC_7greaterIsEEEEEE10hipError_tPvRmT0_T1_T2_T3_T4_T5_mmT6_P12ihipStream_tbEUlT_E_NS1_11comp_targetILNS1_3genE3ELNS1_11target_archE908ELNS1_3gpuE7ELNS1_3repE0EEENS1_30default_config_static_selectorELNS0_4arch9wavefront6targetE0EEEvS10_
		.amdhsa_group_segment_fixed_size 0
		.amdhsa_private_segment_fixed_size 0
		.amdhsa_kernarg_size 64
		.amdhsa_user_sgpr_count 6
		.amdhsa_user_sgpr_private_segment_buffer 1
		.amdhsa_user_sgpr_dispatch_ptr 0
		.amdhsa_user_sgpr_queue_ptr 0
		.amdhsa_user_sgpr_kernarg_segment_ptr 1
		.amdhsa_user_sgpr_dispatch_id 0
		.amdhsa_user_sgpr_flat_scratch_init 0
		.amdhsa_user_sgpr_private_segment_size 0
		.amdhsa_wavefront_size32 1
		.amdhsa_uses_dynamic_stack 0
		.amdhsa_system_sgpr_private_segment_wavefront_offset 0
		.amdhsa_system_sgpr_workgroup_id_x 1
		.amdhsa_system_sgpr_workgroup_id_y 0
		.amdhsa_system_sgpr_workgroup_id_z 0
		.amdhsa_system_sgpr_workgroup_info 0
		.amdhsa_system_vgpr_workitem_id 0
		.amdhsa_next_free_vgpr 1
		.amdhsa_next_free_sgpr 1
		.amdhsa_reserve_vcc 0
		.amdhsa_reserve_flat_scratch 0
		.amdhsa_float_round_mode_32 0
		.amdhsa_float_round_mode_16_64 0
		.amdhsa_float_denorm_mode_32 3
		.amdhsa_float_denorm_mode_16_64 3
		.amdhsa_dx10_clamp 1
		.amdhsa_ieee_mode 1
		.amdhsa_fp16_overflow 0
		.amdhsa_workgroup_processor_mode 1
		.amdhsa_memory_ordered 1
		.amdhsa_forward_progress 1
		.amdhsa_shared_vgpr_count 0
		.amdhsa_exception_fp_ieee_invalid_op 0
		.amdhsa_exception_fp_denorm_src 0
		.amdhsa_exception_fp_ieee_div_zero 0
		.amdhsa_exception_fp_ieee_overflow 0
		.amdhsa_exception_fp_ieee_underflow 0
		.amdhsa_exception_fp_ieee_inexact 0
		.amdhsa_exception_int_div_zero 0
	.end_amdhsa_kernel
	.section	.text._ZN7rocprim17ROCPRIM_400000_NS6detail17trampoline_kernelINS0_14default_configENS1_21merge_config_selectorINS0_5tupleIJssEEENS0_10empty_typeEEEZNS1_10merge_implIS3_NS0_12zip_iteratorINS5_IJN6thrust23THRUST_200600_302600_NS6detail15normal_iteratorINSC_10device_ptrIKsEEEESI_EEEEESK_NSA_INS5_IJNSE_INSF_IsEEEESM_EEEEEPS7_SP_SP_NSC_11hip_rocprim7__merge17predicate_wrapperIssNSC_7greaterIsEEEEEE10hipError_tPvRmT0_T1_T2_T3_T4_T5_mmT6_P12ihipStream_tbEUlT_E_NS1_11comp_targetILNS1_3genE3ELNS1_11target_archE908ELNS1_3gpuE7ELNS1_3repE0EEENS1_30default_config_static_selectorELNS0_4arch9wavefront6targetE0EEEvS10_,"axG",@progbits,_ZN7rocprim17ROCPRIM_400000_NS6detail17trampoline_kernelINS0_14default_configENS1_21merge_config_selectorINS0_5tupleIJssEEENS0_10empty_typeEEEZNS1_10merge_implIS3_NS0_12zip_iteratorINS5_IJN6thrust23THRUST_200600_302600_NS6detail15normal_iteratorINSC_10device_ptrIKsEEEESI_EEEEESK_NSA_INS5_IJNSE_INSF_IsEEEESM_EEEEEPS7_SP_SP_NSC_11hip_rocprim7__merge17predicate_wrapperIssNSC_7greaterIsEEEEEE10hipError_tPvRmT0_T1_T2_T3_T4_T5_mmT6_P12ihipStream_tbEUlT_E_NS1_11comp_targetILNS1_3genE3ELNS1_11target_archE908ELNS1_3gpuE7ELNS1_3repE0EEENS1_30default_config_static_selectorELNS0_4arch9wavefront6targetE0EEEvS10_,comdat
.Lfunc_end446:
	.size	_ZN7rocprim17ROCPRIM_400000_NS6detail17trampoline_kernelINS0_14default_configENS1_21merge_config_selectorINS0_5tupleIJssEEENS0_10empty_typeEEEZNS1_10merge_implIS3_NS0_12zip_iteratorINS5_IJN6thrust23THRUST_200600_302600_NS6detail15normal_iteratorINSC_10device_ptrIKsEEEESI_EEEEESK_NSA_INS5_IJNSE_INSF_IsEEEESM_EEEEEPS7_SP_SP_NSC_11hip_rocprim7__merge17predicate_wrapperIssNSC_7greaterIsEEEEEE10hipError_tPvRmT0_T1_T2_T3_T4_T5_mmT6_P12ihipStream_tbEUlT_E_NS1_11comp_targetILNS1_3genE3ELNS1_11target_archE908ELNS1_3gpuE7ELNS1_3repE0EEENS1_30default_config_static_selectorELNS0_4arch9wavefront6targetE0EEEvS10_, .Lfunc_end446-_ZN7rocprim17ROCPRIM_400000_NS6detail17trampoline_kernelINS0_14default_configENS1_21merge_config_selectorINS0_5tupleIJssEEENS0_10empty_typeEEEZNS1_10merge_implIS3_NS0_12zip_iteratorINS5_IJN6thrust23THRUST_200600_302600_NS6detail15normal_iteratorINSC_10device_ptrIKsEEEESI_EEEEESK_NSA_INS5_IJNSE_INSF_IsEEEESM_EEEEEPS7_SP_SP_NSC_11hip_rocprim7__merge17predicate_wrapperIssNSC_7greaterIsEEEEEE10hipError_tPvRmT0_T1_T2_T3_T4_T5_mmT6_P12ihipStream_tbEUlT_E_NS1_11comp_targetILNS1_3genE3ELNS1_11target_archE908ELNS1_3gpuE7ELNS1_3repE0EEENS1_30default_config_static_selectorELNS0_4arch9wavefront6targetE0EEEvS10_
                                        ; -- End function
	.set _ZN7rocprim17ROCPRIM_400000_NS6detail17trampoline_kernelINS0_14default_configENS1_21merge_config_selectorINS0_5tupleIJssEEENS0_10empty_typeEEEZNS1_10merge_implIS3_NS0_12zip_iteratorINS5_IJN6thrust23THRUST_200600_302600_NS6detail15normal_iteratorINSC_10device_ptrIKsEEEESI_EEEEESK_NSA_INS5_IJNSE_INSF_IsEEEESM_EEEEEPS7_SP_SP_NSC_11hip_rocprim7__merge17predicate_wrapperIssNSC_7greaterIsEEEEEE10hipError_tPvRmT0_T1_T2_T3_T4_T5_mmT6_P12ihipStream_tbEUlT_E_NS1_11comp_targetILNS1_3genE3ELNS1_11target_archE908ELNS1_3gpuE7ELNS1_3repE0EEENS1_30default_config_static_selectorELNS0_4arch9wavefront6targetE0EEEvS10_.num_vgpr, 0
	.set _ZN7rocprim17ROCPRIM_400000_NS6detail17trampoline_kernelINS0_14default_configENS1_21merge_config_selectorINS0_5tupleIJssEEENS0_10empty_typeEEEZNS1_10merge_implIS3_NS0_12zip_iteratorINS5_IJN6thrust23THRUST_200600_302600_NS6detail15normal_iteratorINSC_10device_ptrIKsEEEESI_EEEEESK_NSA_INS5_IJNSE_INSF_IsEEEESM_EEEEEPS7_SP_SP_NSC_11hip_rocprim7__merge17predicate_wrapperIssNSC_7greaterIsEEEEEE10hipError_tPvRmT0_T1_T2_T3_T4_T5_mmT6_P12ihipStream_tbEUlT_E_NS1_11comp_targetILNS1_3genE3ELNS1_11target_archE908ELNS1_3gpuE7ELNS1_3repE0EEENS1_30default_config_static_selectorELNS0_4arch9wavefront6targetE0EEEvS10_.num_agpr, 0
	.set _ZN7rocprim17ROCPRIM_400000_NS6detail17trampoline_kernelINS0_14default_configENS1_21merge_config_selectorINS0_5tupleIJssEEENS0_10empty_typeEEEZNS1_10merge_implIS3_NS0_12zip_iteratorINS5_IJN6thrust23THRUST_200600_302600_NS6detail15normal_iteratorINSC_10device_ptrIKsEEEESI_EEEEESK_NSA_INS5_IJNSE_INSF_IsEEEESM_EEEEEPS7_SP_SP_NSC_11hip_rocprim7__merge17predicate_wrapperIssNSC_7greaterIsEEEEEE10hipError_tPvRmT0_T1_T2_T3_T4_T5_mmT6_P12ihipStream_tbEUlT_E_NS1_11comp_targetILNS1_3genE3ELNS1_11target_archE908ELNS1_3gpuE7ELNS1_3repE0EEENS1_30default_config_static_selectorELNS0_4arch9wavefront6targetE0EEEvS10_.numbered_sgpr, 0
	.set _ZN7rocprim17ROCPRIM_400000_NS6detail17trampoline_kernelINS0_14default_configENS1_21merge_config_selectorINS0_5tupleIJssEEENS0_10empty_typeEEEZNS1_10merge_implIS3_NS0_12zip_iteratorINS5_IJN6thrust23THRUST_200600_302600_NS6detail15normal_iteratorINSC_10device_ptrIKsEEEESI_EEEEESK_NSA_INS5_IJNSE_INSF_IsEEEESM_EEEEEPS7_SP_SP_NSC_11hip_rocprim7__merge17predicate_wrapperIssNSC_7greaterIsEEEEEE10hipError_tPvRmT0_T1_T2_T3_T4_T5_mmT6_P12ihipStream_tbEUlT_E_NS1_11comp_targetILNS1_3genE3ELNS1_11target_archE908ELNS1_3gpuE7ELNS1_3repE0EEENS1_30default_config_static_selectorELNS0_4arch9wavefront6targetE0EEEvS10_.num_named_barrier, 0
	.set _ZN7rocprim17ROCPRIM_400000_NS6detail17trampoline_kernelINS0_14default_configENS1_21merge_config_selectorINS0_5tupleIJssEEENS0_10empty_typeEEEZNS1_10merge_implIS3_NS0_12zip_iteratorINS5_IJN6thrust23THRUST_200600_302600_NS6detail15normal_iteratorINSC_10device_ptrIKsEEEESI_EEEEESK_NSA_INS5_IJNSE_INSF_IsEEEESM_EEEEEPS7_SP_SP_NSC_11hip_rocprim7__merge17predicate_wrapperIssNSC_7greaterIsEEEEEE10hipError_tPvRmT0_T1_T2_T3_T4_T5_mmT6_P12ihipStream_tbEUlT_E_NS1_11comp_targetILNS1_3genE3ELNS1_11target_archE908ELNS1_3gpuE7ELNS1_3repE0EEENS1_30default_config_static_selectorELNS0_4arch9wavefront6targetE0EEEvS10_.private_seg_size, 0
	.set _ZN7rocprim17ROCPRIM_400000_NS6detail17trampoline_kernelINS0_14default_configENS1_21merge_config_selectorINS0_5tupleIJssEEENS0_10empty_typeEEEZNS1_10merge_implIS3_NS0_12zip_iteratorINS5_IJN6thrust23THRUST_200600_302600_NS6detail15normal_iteratorINSC_10device_ptrIKsEEEESI_EEEEESK_NSA_INS5_IJNSE_INSF_IsEEEESM_EEEEEPS7_SP_SP_NSC_11hip_rocprim7__merge17predicate_wrapperIssNSC_7greaterIsEEEEEE10hipError_tPvRmT0_T1_T2_T3_T4_T5_mmT6_P12ihipStream_tbEUlT_E_NS1_11comp_targetILNS1_3genE3ELNS1_11target_archE908ELNS1_3gpuE7ELNS1_3repE0EEENS1_30default_config_static_selectorELNS0_4arch9wavefront6targetE0EEEvS10_.uses_vcc, 0
	.set _ZN7rocprim17ROCPRIM_400000_NS6detail17trampoline_kernelINS0_14default_configENS1_21merge_config_selectorINS0_5tupleIJssEEENS0_10empty_typeEEEZNS1_10merge_implIS3_NS0_12zip_iteratorINS5_IJN6thrust23THRUST_200600_302600_NS6detail15normal_iteratorINSC_10device_ptrIKsEEEESI_EEEEESK_NSA_INS5_IJNSE_INSF_IsEEEESM_EEEEEPS7_SP_SP_NSC_11hip_rocprim7__merge17predicate_wrapperIssNSC_7greaterIsEEEEEE10hipError_tPvRmT0_T1_T2_T3_T4_T5_mmT6_P12ihipStream_tbEUlT_E_NS1_11comp_targetILNS1_3genE3ELNS1_11target_archE908ELNS1_3gpuE7ELNS1_3repE0EEENS1_30default_config_static_selectorELNS0_4arch9wavefront6targetE0EEEvS10_.uses_flat_scratch, 0
	.set _ZN7rocprim17ROCPRIM_400000_NS6detail17trampoline_kernelINS0_14default_configENS1_21merge_config_selectorINS0_5tupleIJssEEENS0_10empty_typeEEEZNS1_10merge_implIS3_NS0_12zip_iteratorINS5_IJN6thrust23THRUST_200600_302600_NS6detail15normal_iteratorINSC_10device_ptrIKsEEEESI_EEEEESK_NSA_INS5_IJNSE_INSF_IsEEEESM_EEEEEPS7_SP_SP_NSC_11hip_rocprim7__merge17predicate_wrapperIssNSC_7greaterIsEEEEEE10hipError_tPvRmT0_T1_T2_T3_T4_T5_mmT6_P12ihipStream_tbEUlT_E_NS1_11comp_targetILNS1_3genE3ELNS1_11target_archE908ELNS1_3gpuE7ELNS1_3repE0EEENS1_30default_config_static_selectorELNS0_4arch9wavefront6targetE0EEEvS10_.has_dyn_sized_stack, 0
	.set _ZN7rocprim17ROCPRIM_400000_NS6detail17trampoline_kernelINS0_14default_configENS1_21merge_config_selectorINS0_5tupleIJssEEENS0_10empty_typeEEEZNS1_10merge_implIS3_NS0_12zip_iteratorINS5_IJN6thrust23THRUST_200600_302600_NS6detail15normal_iteratorINSC_10device_ptrIKsEEEESI_EEEEESK_NSA_INS5_IJNSE_INSF_IsEEEESM_EEEEEPS7_SP_SP_NSC_11hip_rocprim7__merge17predicate_wrapperIssNSC_7greaterIsEEEEEE10hipError_tPvRmT0_T1_T2_T3_T4_T5_mmT6_P12ihipStream_tbEUlT_E_NS1_11comp_targetILNS1_3genE3ELNS1_11target_archE908ELNS1_3gpuE7ELNS1_3repE0EEENS1_30default_config_static_selectorELNS0_4arch9wavefront6targetE0EEEvS10_.has_recursion, 0
	.set _ZN7rocprim17ROCPRIM_400000_NS6detail17trampoline_kernelINS0_14default_configENS1_21merge_config_selectorINS0_5tupleIJssEEENS0_10empty_typeEEEZNS1_10merge_implIS3_NS0_12zip_iteratorINS5_IJN6thrust23THRUST_200600_302600_NS6detail15normal_iteratorINSC_10device_ptrIKsEEEESI_EEEEESK_NSA_INS5_IJNSE_INSF_IsEEEESM_EEEEEPS7_SP_SP_NSC_11hip_rocprim7__merge17predicate_wrapperIssNSC_7greaterIsEEEEEE10hipError_tPvRmT0_T1_T2_T3_T4_T5_mmT6_P12ihipStream_tbEUlT_E_NS1_11comp_targetILNS1_3genE3ELNS1_11target_archE908ELNS1_3gpuE7ELNS1_3repE0EEENS1_30default_config_static_selectorELNS0_4arch9wavefront6targetE0EEEvS10_.has_indirect_call, 0
	.section	.AMDGPU.csdata,"",@progbits
; Kernel info:
; codeLenInByte = 0
; TotalNumSgprs: 0
; NumVgprs: 0
; ScratchSize: 0
; MemoryBound: 0
; FloatMode: 240
; IeeeMode: 1
; LDSByteSize: 0 bytes/workgroup (compile time only)
; SGPRBlocks: 0
; VGPRBlocks: 0
; NumSGPRsForWavesPerEU: 1
; NumVGPRsForWavesPerEU: 1
; Occupancy: 16
; WaveLimiterHint : 0
; COMPUTE_PGM_RSRC2:SCRATCH_EN: 0
; COMPUTE_PGM_RSRC2:USER_SGPR: 6
; COMPUTE_PGM_RSRC2:TRAP_HANDLER: 0
; COMPUTE_PGM_RSRC2:TGID_X_EN: 1
; COMPUTE_PGM_RSRC2:TGID_Y_EN: 0
; COMPUTE_PGM_RSRC2:TGID_Z_EN: 0
; COMPUTE_PGM_RSRC2:TIDIG_COMP_CNT: 0
	.section	.text._ZN7rocprim17ROCPRIM_400000_NS6detail17trampoline_kernelINS0_14default_configENS1_21merge_config_selectorINS0_5tupleIJssEEENS0_10empty_typeEEEZNS1_10merge_implIS3_NS0_12zip_iteratorINS5_IJN6thrust23THRUST_200600_302600_NS6detail15normal_iteratorINSC_10device_ptrIKsEEEESI_EEEEESK_NSA_INS5_IJNSE_INSF_IsEEEESM_EEEEEPS7_SP_SP_NSC_11hip_rocprim7__merge17predicate_wrapperIssNSC_7greaterIsEEEEEE10hipError_tPvRmT0_T1_T2_T3_T4_T5_mmT6_P12ihipStream_tbEUlT_E_NS1_11comp_targetILNS1_3genE2ELNS1_11target_archE906ELNS1_3gpuE6ELNS1_3repE0EEENS1_30default_config_static_selectorELNS0_4arch9wavefront6targetE0EEEvS10_,"axG",@progbits,_ZN7rocprim17ROCPRIM_400000_NS6detail17trampoline_kernelINS0_14default_configENS1_21merge_config_selectorINS0_5tupleIJssEEENS0_10empty_typeEEEZNS1_10merge_implIS3_NS0_12zip_iteratorINS5_IJN6thrust23THRUST_200600_302600_NS6detail15normal_iteratorINSC_10device_ptrIKsEEEESI_EEEEESK_NSA_INS5_IJNSE_INSF_IsEEEESM_EEEEEPS7_SP_SP_NSC_11hip_rocprim7__merge17predicate_wrapperIssNSC_7greaterIsEEEEEE10hipError_tPvRmT0_T1_T2_T3_T4_T5_mmT6_P12ihipStream_tbEUlT_E_NS1_11comp_targetILNS1_3genE2ELNS1_11target_archE906ELNS1_3gpuE6ELNS1_3repE0EEENS1_30default_config_static_selectorELNS0_4arch9wavefront6targetE0EEEvS10_,comdat
	.protected	_ZN7rocprim17ROCPRIM_400000_NS6detail17trampoline_kernelINS0_14default_configENS1_21merge_config_selectorINS0_5tupleIJssEEENS0_10empty_typeEEEZNS1_10merge_implIS3_NS0_12zip_iteratorINS5_IJN6thrust23THRUST_200600_302600_NS6detail15normal_iteratorINSC_10device_ptrIKsEEEESI_EEEEESK_NSA_INS5_IJNSE_INSF_IsEEEESM_EEEEEPS7_SP_SP_NSC_11hip_rocprim7__merge17predicate_wrapperIssNSC_7greaterIsEEEEEE10hipError_tPvRmT0_T1_T2_T3_T4_T5_mmT6_P12ihipStream_tbEUlT_E_NS1_11comp_targetILNS1_3genE2ELNS1_11target_archE906ELNS1_3gpuE6ELNS1_3repE0EEENS1_30default_config_static_selectorELNS0_4arch9wavefront6targetE0EEEvS10_ ; -- Begin function _ZN7rocprim17ROCPRIM_400000_NS6detail17trampoline_kernelINS0_14default_configENS1_21merge_config_selectorINS0_5tupleIJssEEENS0_10empty_typeEEEZNS1_10merge_implIS3_NS0_12zip_iteratorINS5_IJN6thrust23THRUST_200600_302600_NS6detail15normal_iteratorINSC_10device_ptrIKsEEEESI_EEEEESK_NSA_INS5_IJNSE_INSF_IsEEEESM_EEEEEPS7_SP_SP_NSC_11hip_rocprim7__merge17predicate_wrapperIssNSC_7greaterIsEEEEEE10hipError_tPvRmT0_T1_T2_T3_T4_T5_mmT6_P12ihipStream_tbEUlT_E_NS1_11comp_targetILNS1_3genE2ELNS1_11target_archE906ELNS1_3gpuE6ELNS1_3repE0EEENS1_30default_config_static_selectorELNS0_4arch9wavefront6targetE0EEEvS10_
	.globl	_ZN7rocprim17ROCPRIM_400000_NS6detail17trampoline_kernelINS0_14default_configENS1_21merge_config_selectorINS0_5tupleIJssEEENS0_10empty_typeEEEZNS1_10merge_implIS3_NS0_12zip_iteratorINS5_IJN6thrust23THRUST_200600_302600_NS6detail15normal_iteratorINSC_10device_ptrIKsEEEESI_EEEEESK_NSA_INS5_IJNSE_INSF_IsEEEESM_EEEEEPS7_SP_SP_NSC_11hip_rocprim7__merge17predicate_wrapperIssNSC_7greaterIsEEEEEE10hipError_tPvRmT0_T1_T2_T3_T4_T5_mmT6_P12ihipStream_tbEUlT_E_NS1_11comp_targetILNS1_3genE2ELNS1_11target_archE906ELNS1_3gpuE6ELNS1_3repE0EEENS1_30default_config_static_selectorELNS0_4arch9wavefront6targetE0EEEvS10_
	.p2align	8
	.type	_ZN7rocprim17ROCPRIM_400000_NS6detail17trampoline_kernelINS0_14default_configENS1_21merge_config_selectorINS0_5tupleIJssEEENS0_10empty_typeEEEZNS1_10merge_implIS3_NS0_12zip_iteratorINS5_IJN6thrust23THRUST_200600_302600_NS6detail15normal_iteratorINSC_10device_ptrIKsEEEESI_EEEEESK_NSA_INS5_IJNSE_INSF_IsEEEESM_EEEEEPS7_SP_SP_NSC_11hip_rocprim7__merge17predicate_wrapperIssNSC_7greaterIsEEEEEE10hipError_tPvRmT0_T1_T2_T3_T4_T5_mmT6_P12ihipStream_tbEUlT_E_NS1_11comp_targetILNS1_3genE2ELNS1_11target_archE906ELNS1_3gpuE6ELNS1_3repE0EEENS1_30default_config_static_selectorELNS0_4arch9wavefront6targetE0EEEvS10_,@function
_ZN7rocprim17ROCPRIM_400000_NS6detail17trampoline_kernelINS0_14default_configENS1_21merge_config_selectorINS0_5tupleIJssEEENS0_10empty_typeEEEZNS1_10merge_implIS3_NS0_12zip_iteratorINS5_IJN6thrust23THRUST_200600_302600_NS6detail15normal_iteratorINSC_10device_ptrIKsEEEESI_EEEEESK_NSA_INS5_IJNSE_INSF_IsEEEESM_EEEEEPS7_SP_SP_NSC_11hip_rocprim7__merge17predicate_wrapperIssNSC_7greaterIsEEEEEE10hipError_tPvRmT0_T1_T2_T3_T4_T5_mmT6_P12ihipStream_tbEUlT_E_NS1_11comp_targetILNS1_3genE2ELNS1_11target_archE906ELNS1_3gpuE6ELNS1_3repE0EEENS1_30default_config_static_selectorELNS0_4arch9wavefront6targetE0EEEvS10_: ; @_ZN7rocprim17ROCPRIM_400000_NS6detail17trampoline_kernelINS0_14default_configENS1_21merge_config_selectorINS0_5tupleIJssEEENS0_10empty_typeEEEZNS1_10merge_implIS3_NS0_12zip_iteratorINS5_IJN6thrust23THRUST_200600_302600_NS6detail15normal_iteratorINSC_10device_ptrIKsEEEESI_EEEEESK_NSA_INS5_IJNSE_INSF_IsEEEESM_EEEEEPS7_SP_SP_NSC_11hip_rocprim7__merge17predicate_wrapperIssNSC_7greaterIsEEEEEE10hipError_tPvRmT0_T1_T2_T3_T4_T5_mmT6_P12ihipStream_tbEUlT_E_NS1_11comp_targetILNS1_3genE2ELNS1_11target_archE906ELNS1_3gpuE6ELNS1_3repE0EEENS1_30default_config_static_selectorELNS0_4arch9wavefront6targetE0EEEvS10_
; %bb.0:
	.section	.rodata,"a",@progbits
	.p2align	6, 0x0
	.amdhsa_kernel _ZN7rocprim17ROCPRIM_400000_NS6detail17trampoline_kernelINS0_14default_configENS1_21merge_config_selectorINS0_5tupleIJssEEENS0_10empty_typeEEEZNS1_10merge_implIS3_NS0_12zip_iteratorINS5_IJN6thrust23THRUST_200600_302600_NS6detail15normal_iteratorINSC_10device_ptrIKsEEEESI_EEEEESK_NSA_INS5_IJNSE_INSF_IsEEEESM_EEEEEPS7_SP_SP_NSC_11hip_rocprim7__merge17predicate_wrapperIssNSC_7greaterIsEEEEEE10hipError_tPvRmT0_T1_T2_T3_T4_T5_mmT6_P12ihipStream_tbEUlT_E_NS1_11comp_targetILNS1_3genE2ELNS1_11target_archE906ELNS1_3gpuE6ELNS1_3repE0EEENS1_30default_config_static_selectorELNS0_4arch9wavefront6targetE0EEEvS10_
		.amdhsa_group_segment_fixed_size 0
		.amdhsa_private_segment_fixed_size 0
		.amdhsa_kernarg_size 64
		.amdhsa_user_sgpr_count 6
		.amdhsa_user_sgpr_private_segment_buffer 1
		.amdhsa_user_sgpr_dispatch_ptr 0
		.amdhsa_user_sgpr_queue_ptr 0
		.amdhsa_user_sgpr_kernarg_segment_ptr 1
		.amdhsa_user_sgpr_dispatch_id 0
		.amdhsa_user_sgpr_flat_scratch_init 0
		.amdhsa_user_sgpr_private_segment_size 0
		.amdhsa_wavefront_size32 1
		.amdhsa_uses_dynamic_stack 0
		.amdhsa_system_sgpr_private_segment_wavefront_offset 0
		.amdhsa_system_sgpr_workgroup_id_x 1
		.amdhsa_system_sgpr_workgroup_id_y 0
		.amdhsa_system_sgpr_workgroup_id_z 0
		.amdhsa_system_sgpr_workgroup_info 0
		.amdhsa_system_vgpr_workitem_id 0
		.amdhsa_next_free_vgpr 1
		.amdhsa_next_free_sgpr 1
		.amdhsa_reserve_vcc 0
		.amdhsa_reserve_flat_scratch 0
		.amdhsa_float_round_mode_32 0
		.amdhsa_float_round_mode_16_64 0
		.amdhsa_float_denorm_mode_32 3
		.amdhsa_float_denorm_mode_16_64 3
		.amdhsa_dx10_clamp 1
		.amdhsa_ieee_mode 1
		.amdhsa_fp16_overflow 0
		.amdhsa_workgroup_processor_mode 1
		.amdhsa_memory_ordered 1
		.amdhsa_forward_progress 1
		.amdhsa_shared_vgpr_count 0
		.amdhsa_exception_fp_ieee_invalid_op 0
		.amdhsa_exception_fp_denorm_src 0
		.amdhsa_exception_fp_ieee_div_zero 0
		.amdhsa_exception_fp_ieee_overflow 0
		.amdhsa_exception_fp_ieee_underflow 0
		.amdhsa_exception_fp_ieee_inexact 0
		.amdhsa_exception_int_div_zero 0
	.end_amdhsa_kernel
	.section	.text._ZN7rocprim17ROCPRIM_400000_NS6detail17trampoline_kernelINS0_14default_configENS1_21merge_config_selectorINS0_5tupleIJssEEENS0_10empty_typeEEEZNS1_10merge_implIS3_NS0_12zip_iteratorINS5_IJN6thrust23THRUST_200600_302600_NS6detail15normal_iteratorINSC_10device_ptrIKsEEEESI_EEEEESK_NSA_INS5_IJNSE_INSF_IsEEEESM_EEEEEPS7_SP_SP_NSC_11hip_rocprim7__merge17predicate_wrapperIssNSC_7greaterIsEEEEEE10hipError_tPvRmT0_T1_T2_T3_T4_T5_mmT6_P12ihipStream_tbEUlT_E_NS1_11comp_targetILNS1_3genE2ELNS1_11target_archE906ELNS1_3gpuE6ELNS1_3repE0EEENS1_30default_config_static_selectorELNS0_4arch9wavefront6targetE0EEEvS10_,"axG",@progbits,_ZN7rocprim17ROCPRIM_400000_NS6detail17trampoline_kernelINS0_14default_configENS1_21merge_config_selectorINS0_5tupleIJssEEENS0_10empty_typeEEEZNS1_10merge_implIS3_NS0_12zip_iteratorINS5_IJN6thrust23THRUST_200600_302600_NS6detail15normal_iteratorINSC_10device_ptrIKsEEEESI_EEEEESK_NSA_INS5_IJNSE_INSF_IsEEEESM_EEEEEPS7_SP_SP_NSC_11hip_rocprim7__merge17predicate_wrapperIssNSC_7greaterIsEEEEEE10hipError_tPvRmT0_T1_T2_T3_T4_T5_mmT6_P12ihipStream_tbEUlT_E_NS1_11comp_targetILNS1_3genE2ELNS1_11target_archE906ELNS1_3gpuE6ELNS1_3repE0EEENS1_30default_config_static_selectorELNS0_4arch9wavefront6targetE0EEEvS10_,comdat
.Lfunc_end447:
	.size	_ZN7rocprim17ROCPRIM_400000_NS6detail17trampoline_kernelINS0_14default_configENS1_21merge_config_selectorINS0_5tupleIJssEEENS0_10empty_typeEEEZNS1_10merge_implIS3_NS0_12zip_iteratorINS5_IJN6thrust23THRUST_200600_302600_NS6detail15normal_iteratorINSC_10device_ptrIKsEEEESI_EEEEESK_NSA_INS5_IJNSE_INSF_IsEEEESM_EEEEEPS7_SP_SP_NSC_11hip_rocprim7__merge17predicate_wrapperIssNSC_7greaterIsEEEEEE10hipError_tPvRmT0_T1_T2_T3_T4_T5_mmT6_P12ihipStream_tbEUlT_E_NS1_11comp_targetILNS1_3genE2ELNS1_11target_archE906ELNS1_3gpuE6ELNS1_3repE0EEENS1_30default_config_static_selectorELNS0_4arch9wavefront6targetE0EEEvS10_, .Lfunc_end447-_ZN7rocprim17ROCPRIM_400000_NS6detail17trampoline_kernelINS0_14default_configENS1_21merge_config_selectorINS0_5tupleIJssEEENS0_10empty_typeEEEZNS1_10merge_implIS3_NS0_12zip_iteratorINS5_IJN6thrust23THRUST_200600_302600_NS6detail15normal_iteratorINSC_10device_ptrIKsEEEESI_EEEEESK_NSA_INS5_IJNSE_INSF_IsEEEESM_EEEEEPS7_SP_SP_NSC_11hip_rocprim7__merge17predicate_wrapperIssNSC_7greaterIsEEEEEE10hipError_tPvRmT0_T1_T2_T3_T4_T5_mmT6_P12ihipStream_tbEUlT_E_NS1_11comp_targetILNS1_3genE2ELNS1_11target_archE906ELNS1_3gpuE6ELNS1_3repE0EEENS1_30default_config_static_selectorELNS0_4arch9wavefront6targetE0EEEvS10_
                                        ; -- End function
	.set _ZN7rocprim17ROCPRIM_400000_NS6detail17trampoline_kernelINS0_14default_configENS1_21merge_config_selectorINS0_5tupleIJssEEENS0_10empty_typeEEEZNS1_10merge_implIS3_NS0_12zip_iteratorINS5_IJN6thrust23THRUST_200600_302600_NS6detail15normal_iteratorINSC_10device_ptrIKsEEEESI_EEEEESK_NSA_INS5_IJNSE_INSF_IsEEEESM_EEEEEPS7_SP_SP_NSC_11hip_rocprim7__merge17predicate_wrapperIssNSC_7greaterIsEEEEEE10hipError_tPvRmT0_T1_T2_T3_T4_T5_mmT6_P12ihipStream_tbEUlT_E_NS1_11comp_targetILNS1_3genE2ELNS1_11target_archE906ELNS1_3gpuE6ELNS1_3repE0EEENS1_30default_config_static_selectorELNS0_4arch9wavefront6targetE0EEEvS10_.num_vgpr, 0
	.set _ZN7rocprim17ROCPRIM_400000_NS6detail17trampoline_kernelINS0_14default_configENS1_21merge_config_selectorINS0_5tupleIJssEEENS0_10empty_typeEEEZNS1_10merge_implIS3_NS0_12zip_iteratorINS5_IJN6thrust23THRUST_200600_302600_NS6detail15normal_iteratorINSC_10device_ptrIKsEEEESI_EEEEESK_NSA_INS5_IJNSE_INSF_IsEEEESM_EEEEEPS7_SP_SP_NSC_11hip_rocprim7__merge17predicate_wrapperIssNSC_7greaterIsEEEEEE10hipError_tPvRmT0_T1_T2_T3_T4_T5_mmT6_P12ihipStream_tbEUlT_E_NS1_11comp_targetILNS1_3genE2ELNS1_11target_archE906ELNS1_3gpuE6ELNS1_3repE0EEENS1_30default_config_static_selectorELNS0_4arch9wavefront6targetE0EEEvS10_.num_agpr, 0
	.set _ZN7rocprim17ROCPRIM_400000_NS6detail17trampoline_kernelINS0_14default_configENS1_21merge_config_selectorINS0_5tupleIJssEEENS0_10empty_typeEEEZNS1_10merge_implIS3_NS0_12zip_iteratorINS5_IJN6thrust23THRUST_200600_302600_NS6detail15normal_iteratorINSC_10device_ptrIKsEEEESI_EEEEESK_NSA_INS5_IJNSE_INSF_IsEEEESM_EEEEEPS7_SP_SP_NSC_11hip_rocprim7__merge17predicate_wrapperIssNSC_7greaterIsEEEEEE10hipError_tPvRmT0_T1_T2_T3_T4_T5_mmT6_P12ihipStream_tbEUlT_E_NS1_11comp_targetILNS1_3genE2ELNS1_11target_archE906ELNS1_3gpuE6ELNS1_3repE0EEENS1_30default_config_static_selectorELNS0_4arch9wavefront6targetE0EEEvS10_.numbered_sgpr, 0
	.set _ZN7rocprim17ROCPRIM_400000_NS6detail17trampoline_kernelINS0_14default_configENS1_21merge_config_selectorINS0_5tupleIJssEEENS0_10empty_typeEEEZNS1_10merge_implIS3_NS0_12zip_iteratorINS5_IJN6thrust23THRUST_200600_302600_NS6detail15normal_iteratorINSC_10device_ptrIKsEEEESI_EEEEESK_NSA_INS5_IJNSE_INSF_IsEEEESM_EEEEEPS7_SP_SP_NSC_11hip_rocprim7__merge17predicate_wrapperIssNSC_7greaterIsEEEEEE10hipError_tPvRmT0_T1_T2_T3_T4_T5_mmT6_P12ihipStream_tbEUlT_E_NS1_11comp_targetILNS1_3genE2ELNS1_11target_archE906ELNS1_3gpuE6ELNS1_3repE0EEENS1_30default_config_static_selectorELNS0_4arch9wavefront6targetE0EEEvS10_.num_named_barrier, 0
	.set _ZN7rocprim17ROCPRIM_400000_NS6detail17trampoline_kernelINS0_14default_configENS1_21merge_config_selectorINS0_5tupleIJssEEENS0_10empty_typeEEEZNS1_10merge_implIS3_NS0_12zip_iteratorINS5_IJN6thrust23THRUST_200600_302600_NS6detail15normal_iteratorINSC_10device_ptrIKsEEEESI_EEEEESK_NSA_INS5_IJNSE_INSF_IsEEEESM_EEEEEPS7_SP_SP_NSC_11hip_rocprim7__merge17predicate_wrapperIssNSC_7greaterIsEEEEEE10hipError_tPvRmT0_T1_T2_T3_T4_T5_mmT6_P12ihipStream_tbEUlT_E_NS1_11comp_targetILNS1_3genE2ELNS1_11target_archE906ELNS1_3gpuE6ELNS1_3repE0EEENS1_30default_config_static_selectorELNS0_4arch9wavefront6targetE0EEEvS10_.private_seg_size, 0
	.set _ZN7rocprim17ROCPRIM_400000_NS6detail17trampoline_kernelINS0_14default_configENS1_21merge_config_selectorINS0_5tupleIJssEEENS0_10empty_typeEEEZNS1_10merge_implIS3_NS0_12zip_iteratorINS5_IJN6thrust23THRUST_200600_302600_NS6detail15normal_iteratorINSC_10device_ptrIKsEEEESI_EEEEESK_NSA_INS5_IJNSE_INSF_IsEEEESM_EEEEEPS7_SP_SP_NSC_11hip_rocprim7__merge17predicate_wrapperIssNSC_7greaterIsEEEEEE10hipError_tPvRmT0_T1_T2_T3_T4_T5_mmT6_P12ihipStream_tbEUlT_E_NS1_11comp_targetILNS1_3genE2ELNS1_11target_archE906ELNS1_3gpuE6ELNS1_3repE0EEENS1_30default_config_static_selectorELNS0_4arch9wavefront6targetE0EEEvS10_.uses_vcc, 0
	.set _ZN7rocprim17ROCPRIM_400000_NS6detail17trampoline_kernelINS0_14default_configENS1_21merge_config_selectorINS0_5tupleIJssEEENS0_10empty_typeEEEZNS1_10merge_implIS3_NS0_12zip_iteratorINS5_IJN6thrust23THRUST_200600_302600_NS6detail15normal_iteratorINSC_10device_ptrIKsEEEESI_EEEEESK_NSA_INS5_IJNSE_INSF_IsEEEESM_EEEEEPS7_SP_SP_NSC_11hip_rocprim7__merge17predicate_wrapperIssNSC_7greaterIsEEEEEE10hipError_tPvRmT0_T1_T2_T3_T4_T5_mmT6_P12ihipStream_tbEUlT_E_NS1_11comp_targetILNS1_3genE2ELNS1_11target_archE906ELNS1_3gpuE6ELNS1_3repE0EEENS1_30default_config_static_selectorELNS0_4arch9wavefront6targetE0EEEvS10_.uses_flat_scratch, 0
	.set _ZN7rocprim17ROCPRIM_400000_NS6detail17trampoline_kernelINS0_14default_configENS1_21merge_config_selectorINS0_5tupleIJssEEENS0_10empty_typeEEEZNS1_10merge_implIS3_NS0_12zip_iteratorINS5_IJN6thrust23THRUST_200600_302600_NS6detail15normal_iteratorINSC_10device_ptrIKsEEEESI_EEEEESK_NSA_INS5_IJNSE_INSF_IsEEEESM_EEEEEPS7_SP_SP_NSC_11hip_rocprim7__merge17predicate_wrapperIssNSC_7greaterIsEEEEEE10hipError_tPvRmT0_T1_T2_T3_T4_T5_mmT6_P12ihipStream_tbEUlT_E_NS1_11comp_targetILNS1_3genE2ELNS1_11target_archE906ELNS1_3gpuE6ELNS1_3repE0EEENS1_30default_config_static_selectorELNS0_4arch9wavefront6targetE0EEEvS10_.has_dyn_sized_stack, 0
	.set _ZN7rocprim17ROCPRIM_400000_NS6detail17trampoline_kernelINS0_14default_configENS1_21merge_config_selectorINS0_5tupleIJssEEENS0_10empty_typeEEEZNS1_10merge_implIS3_NS0_12zip_iteratorINS5_IJN6thrust23THRUST_200600_302600_NS6detail15normal_iteratorINSC_10device_ptrIKsEEEESI_EEEEESK_NSA_INS5_IJNSE_INSF_IsEEEESM_EEEEEPS7_SP_SP_NSC_11hip_rocprim7__merge17predicate_wrapperIssNSC_7greaterIsEEEEEE10hipError_tPvRmT0_T1_T2_T3_T4_T5_mmT6_P12ihipStream_tbEUlT_E_NS1_11comp_targetILNS1_3genE2ELNS1_11target_archE906ELNS1_3gpuE6ELNS1_3repE0EEENS1_30default_config_static_selectorELNS0_4arch9wavefront6targetE0EEEvS10_.has_recursion, 0
	.set _ZN7rocprim17ROCPRIM_400000_NS6detail17trampoline_kernelINS0_14default_configENS1_21merge_config_selectorINS0_5tupleIJssEEENS0_10empty_typeEEEZNS1_10merge_implIS3_NS0_12zip_iteratorINS5_IJN6thrust23THRUST_200600_302600_NS6detail15normal_iteratorINSC_10device_ptrIKsEEEESI_EEEEESK_NSA_INS5_IJNSE_INSF_IsEEEESM_EEEEEPS7_SP_SP_NSC_11hip_rocprim7__merge17predicate_wrapperIssNSC_7greaterIsEEEEEE10hipError_tPvRmT0_T1_T2_T3_T4_T5_mmT6_P12ihipStream_tbEUlT_E_NS1_11comp_targetILNS1_3genE2ELNS1_11target_archE906ELNS1_3gpuE6ELNS1_3repE0EEENS1_30default_config_static_selectorELNS0_4arch9wavefront6targetE0EEEvS10_.has_indirect_call, 0
	.section	.AMDGPU.csdata,"",@progbits
; Kernel info:
; codeLenInByte = 0
; TotalNumSgprs: 0
; NumVgprs: 0
; ScratchSize: 0
; MemoryBound: 0
; FloatMode: 240
; IeeeMode: 1
; LDSByteSize: 0 bytes/workgroup (compile time only)
; SGPRBlocks: 0
; VGPRBlocks: 0
; NumSGPRsForWavesPerEU: 1
; NumVGPRsForWavesPerEU: 1
; Occupancy: 16
; WaveLimiterHint : 0
; COMPUTE_PGM_RSRC2:SCRATCH_EN: 0
; COMPUTE_PGM_RSRC2:USER_SGPR: 6
; COMPUTE_PGM_RSRC2:TRAP_HANDLER: 0
; COMPUTE_PGM_RSRC2:TGID_X_EN: 1
; COMPUTE_PGM_RSRC2:TGID_Y_EN: 0
; COMPUTE_PGM_RSRC2:TGID_Z_EN: 0
; COMPUTE_PGM_RSRC2:TIDIG_COMP_CNT: 0
	.section	.text._ZN7rocprim17ROCPRIM_400000_NS6detail17trampoline_kernelINS0_14default_configENS1_21merge_config_selectorINS0_5tupleIJssEEENS0_10empty_typeEEEZNS1_10merge_implIS3_NS0_12zip_iteratorINS5_IJN6thrust23THRUST_200600_302600_NS6detail15normal_iteratorINSC_10device_ptrIKsEEEESI_EEEEESK_NSA_INS5_IJNSE_INSF_IsEEEESM_EEEEEPS7_SP_SP_NSC_11hip_rocprim7__merge17predicate_wrapperIssNSC_7greaterIsEEEEEE10hipError_tPvRmT0_T1_T2_T3_T4_T5_mmT6_P12ihipStream_tbEUlT_E_NS1_11comp_targetILNS1_3genE10ELNS1_11target_archE1201ELNS1_3gpuE5ELNS1_3repE0EEENS1_30default_config_static_selectorELNS0_4arch9wavefront6targetE0EEEvS10_,"axG",@progbits,_ZN7rocprim17ROCPRIM_400000_NS6detail17trampoline_kernelINS0_14default_configENS1_21merge_config_selectorINS0_5tupleIJssEEENS0_10empty_typeEEEZNS1_10merge_implIS3_NS0_12zip_iteratorINS5_IJN6thrust23THRUST_200600_302600_NS6detail15normal_iteratorINSC_10device_ptrIKsEEEESI_EEEEESK_NSA_INS5_IJNSE_INSF_IsEEEESM_EEEEEPS7_SP_SP_NSC_11hip_rocprim7__merge17predicate_wrapperIssNSC_7greaterIsEEEEEE10hipError_tPvRmT0_T1_T2_T3_T4_T5_mmT6_P12ihipStream_tbEUlT_E_NS1_11comp_targetILNS1_3genE10ELNS1_11target_archE1201ELNS1_3gpuE5ELNS1_3repE0EEENS1_30default_config_static_selectorELNS0_4arch9wavefront6targetE0EEEvS10_,comdat
	.protected	_ZN7rocprim17ROCPRIM_400000_NS6detail17trampoline_kernelINS0_14default_configENS1_21merge_config_selectorINS0_5tupleIJssEEENS0_10empty_typeEEEZNS1_10merge_implIS3_NS0_12zip_iteratorINS5_IJN6thrust23THRUST_200600_302600_NS6detail15normal_iteratorINSC_10device_ptrIKsEEEESI_EEEEESK_NSA_INS5_IJNSE_INSF_IsEEEESM_EEEEEPS7_SP_SP_NSC_11hip_rocprim7__merge17predicate_wrapperIssNSC_7greaterIsEEEEEE10hipError_tPvRmT0_T1_T2_T3_T4_T5_mmT6_P12ihipStream_tbEUlT_E_NS1_11comp_targetILNS1_3genE10ELNS1_11target_archE1201ELNS1_3gpuE5ELNS1_3repE0EEENS1_30default_config_static_selectorELNS0_4arch9wavefront6targetE0EEEvS10_ ; -- Begin function _ZN7rocprim17ROCPRIM_400000_NS6detail17trampoline_kernelINS0_14default_configENS1_21merge_config_selectorINS0_5tupleIJssEEENS0_10empty_typeEEEZNS1_10merge_implIS3_NS0_12zip_iteratorINS5_IJN6thrust23THRUST_200600_302600_NS6detail15normal_iteratorINSC_10device_ptrIKsEEEESI_EEEEESK_NSA_INS5_IJNSE_INSF_IsEEEESM_EEEEEPS7_SP_SP_NSC_11hip_rocprim7__merge17predicate_wrapperIssNSC_7greaterIsEEEEEE10hipError_tPvRmT0_T1_T2_T3_T4_T5_mmT6_P12ihipStream_tbEUlT_E_NS1_11comp_targetILNS1_3genE10ELNS1_11target_archE1201ELNS1_3gpuE5ELNS1_3repE0EEENS1_30default_config_static_selectorELNS0_4arch9wavefront6targetE0EEEvS10_
	.globl	_ZN7rocprim17ROCPRIM_400000_NS6detail17trampoline_kernelINS0_14default_configENS1_21merge_config_selectorINS0_5tupleIJssEEENS0_10empty_typeEEEZNS1_10merge_implIS3_NS0_12zip_iteratorINS5_IJN6thrust23THRUST_200600_302600_NS6detail15normal_iteratorINSC_10device_ptrIKsEEEESI_EEEEESK_NSA_INS5_IJNSE_INSF_IsEEEESM_EEEEEPS7_SP_SP_NSC_11hip_rocprim7__merge17predicate_wrapperIssNSC_7greaterIsEEEEEE10hipError_tPvRmT0_T1_T2_T3_T4_T5_mmT6_P12ihipStream_tbEUlT_E_NS1_11comp_targetILNS1_3genE10ELNS1_11target_archE1201ELNS1_3gpuE5ELNS1_3repE0EEENS1_30default_config_static_selectorELNS0_4arch9wavefront6targetE0EEEvS10_
	.p2align	8
	.type	_ZN7rocprim17ROCPRIM_400000_NS6detail17trampoline_kernelINS0_14default_configENS1_21merge_config_selectorINS0_5tupleIJssEEENS0_10empty_typeEEEZNS1_10merge_implIS3_NS0_12zip_iteratorINS5_IJN6thrust23THRUST_200600_302600_NS6detail15normal_iteratorINSC_10device_ptrIKsEEEESI_EEEEESK_NSA_INS5_IJNSE_INSF_IsEEEESM_EEEEEPS7_SP_SP_NSC_11hip_rocprim7__merge17predicate_wrapperIssNSC_7greaterIsEEEEEE10hipError_tPvRmT0_T1_T2_T3_T4_T5_mmT6_P12ihipStream_tbEUlT_E_NS1_11comp_targetILNS1_3genE10ELNS1_11target_archE1201ELNS1_3gpuE5ELNS1_3repE0EEENS1_30default_config_static_selectorELNS0_4arch9wavefront6targetE0EEEvS10_,@function
_ZN7rocprim17ROCPRIM_400000_NS6detail17trampoline_kernelINS0_14default_configENS1_21merge_config_selectorINS0_5tupleIJssEEENS0_10empty_typeEEEZNS1_10merge_implIS3_NS0_12zip_iteratorINS5_IJN6thrust23THRUST_200600_302600_NS6detail15normal_iteratorINSC_10device_ptrIKsEEEESI_EEEEESK_NSA_INS5_IJNSE_INSF_IsEEEESM_EEEEEPS7_SP_SP_NSC_11hip_rocprim7__merge17predicate_wrapperIssNSC_7greaterIsEEEEEE10hipError_tPvRmT0_T1_T2_T3_T4_T5_mmT6_P12ihipStream_tbEUlT_E_NS1_11comp_targetILNS1_3genE10ELNS1_11target_archE1201ELNS1_3gpuE5ELNS1_3repE0EEENS1_30default_config_static_selectorELNS0_4arch9wavefront6targetE0EEEvS10_: ; @_ZN7rocprim17ROCPRIM_400000_NS6detail17trampoline_kernelINS0_14default_configENS1_21merge_config_selectorINS0_5tupleIJssEEENS0_10empty_typeEEEZNS1_10merge_implIS3_NS0_12zip_iteratorINS5_IJN6thrust23THRUST_200600_302600_NS6detail15normal_iteratorINSC_10device_ptrIKsEEEESI_EEEEESK_NSA_INS5_IJNSE_INSF_IsEEEESM_EEEEEPS7_SP_SP_NSC_11hip_rocprim7__merge17predicate_wrapperIssNSC_7greaterIsEEEEEE10hipError_tPvRmT0_T1_T2_T3_T4_T5_mmT6_P12ihipStream_tbEUlT_E_NS1_11comp_targetILNS1_3genE10ELNS1_11target_archE1201ELNS1_3gpuE5ELNS1_3repE0EEENS1_30default_config_static_selectorELNS0_4arch9wavefront6targetE0EEEvS10_
; %bb.0:
	.section	.rodata,"a",@progbits
	.p2align	6, 0x0
	.amdhsa_kernel _ZN7rocprim17ROCPRIM_400000_NS6detail17trampoline_kernelINS0_14default_configENS1_21merge_config_selectorINS0_5tupleIJssEEENS0_10empty_typeEEEZNS1_10merge_implIS3_NS0_12zip_iteratorINS5_IJN6thrust23THRUST_200600_302600_NS6detail15normal_iteratorINSC_10device_ptrIKsEEEESI_EEEEESK_NSA_INS5_IJNSE_INSF_IsEEEESM_EEEEEPS7_SP_SP_NSC_11hip_rocprim7__merge17predicate_wrapperIssNSC_7greaterIsEEEEEE10hipError_tPvRmT0_T1_T2_T3_T4_T5_mmT6_P12ihipStream_tbEUlT_E_NS1_11comp_targetILNS1_3genE10ELNS1_11target_archE1201ELNS1_3gpuE5ELNS1_3repE0EEENS1_30default_config_static_selectorELNS0_4arch9wavefront6targetE0EEEvS10_
		.amdhsa_group_segment_fixed_size 0
		.amdhsa_private_segment_fixed_size 0
		.amdhsa_kernarg_size 64
		.amdhsa_user_sgpr_count 6
		.amdhsa_user_sgpr_private_segment_buffer 1
		.amdhsa_user_sgpr_dispatch_ptr 0
		.amdhsa_user_sgpr_queue_ptr 0
		.amdhsa_user_sgpr_kernarg_segment_ptr 1
		.amdhsa_user_sgpr_dispatch_id 0
		.amdhsa_user_sgpr_flat_scratch_init 0
		.amdhsa_user_sgpr_private_segment_size 0
		.amdhsa_wavefront_size32 1
		.amdhsa_uses_dynamic_stack 0
		.amdhsa_system_sgpr_private_segment_wavefront_offset 0
		.amdhsa_system_sgpr_workgroup_id_x 1
		.amdhsa_system_sgpr_workgroup_id_y 0
		.amdhsa_system_sgpr_workgroup_id_z 0
		.amdhsa_system_sgpr_workgroup_info 0
		.amdhsa_system_vgpr_workitem_id 0
		.amdhsa_next_free_vgpr 1
		.amdhsa_next_free_sgpr 1
		.amdhsa_reserve_vcc 0
		.amdhsa_reserve_flat_scratch 0
		.amdhsa_float_round_mode_32 0
		.amdhsa_float_round_mode_16_64 0
		.amdhsa_float_denorm_mode_32 3
		.amdhsa_float_denorm_mode_16_64 3
		.amdhsa_dx10_clamp 1
		.amdhsa_ieee_mode 1
		.amdhsa_fp16_overflow 0
		.amdhsa_workgroup_processor_mode 1
		.amdhsa_memory_ordered 1
		.amdhsa_forward_progress 1
		.amdhsa_shared_vgpr_count 0
		.amdhsa_exception_fp_ieee_invalid_op 0
		.amdhsa_exception_fp_denorm_src 0
		.amdhsa_exception_fp_ieee_div_zero 0
		.amdhsa_exception_fp_ieee_overflow 0
		.amdhsa_exception_fp_ieee_underflow 0
		.amdhsa_exception_fp_ieee_inexact 0
		.amdhsa_exception_int_div_zero 0
	.end_amdhsa_kernel
	.section	.text._ZN7rocprim17ROCPRIM_400000_NS6detail17trampoline_kernelINS0_14default_configENS1_21merge_config_selectorINS0_5tupleIJssEEENS0_10empty_typeEEEZNS1_10merge_implIS3_NS0_12zip_iteratorINS5_IJN6thrust23THRUST_200600_302600_NS6detail15normal_iteratorINSC_10device_ptrIKsEEEESI_EEEEESK_NSA_INS5_IJNSE_INSF_IsEEEESM_EEEEEPS7_SP_SP_NSC_11hip_rocprim7__merge17predicate_wrapperIssNSC_7greaterIsEEEEEE10hipError_tPvRmT0_T1_T2_T3_T4_T5_mmT6_P12ihipStream_tbEUlT_E_NS1_11comp_targetILNS1_3genE10ELNS1_11target_archE1201ELNS1_3gpuE5ELNS1_3repE0EEENS1_30default_config_static_selectorELNS0_4arch9wavefront6targetE0EEEvS10_,"axG",@progbits,_ZN7rocprim17ROCPRIM_400000_NS6detail17trampoline_kernelINS0_14default_configENS1_21merge_config_selectorINS0_5tupleIJssEEENS0_10empty_typeEEEZNS1_10merge_implIS3_NS0_12zip_iteratorINS5_IJN6thrust23THRUST_200600_302600_NS6detail15normal_iteratorINSC_10device_ptrIKsEEEESI_EEEEESK_NSA_INS5_IJNSE_INSF_IsEEEESM_EEEEEPS7_SP_SP_NSC_11hip_rocprim7__merge17predicate_wrapperIssNSC_7greaterIsEEEEEE10hipError_tPvRmT0_T1_T2_T3_T4_T5_mmT6_P12ihipStream_tbEUlT_E_NS1_11comp_targetILNS1_3genE10ELNS1_11target_archE1201ELNS1_3gpuE5ELNS1_3repE0EEENS1_30default_config_static_selectorELNS0_4arch9wavefront6targetE0EEEvS10_,comdat
.Lfunc_end448:
	.size	_ZN7rocprim17ROCPRIM_400000_NS6detail17trampoline_kernelINS0_14default_configENS1_21merge_config_selectorINS0_5tupleIJssEEENS0_10empty_typeEEEZNS1_10merge_implIS3_NS0_12zip_iteratorINS5_IJN6thrust23THRUST_200600_302600_NS6detail15normal_iteratorINSC_10device_ptrIKsEEEESI_EEEEESK_NSA_INS5_IJNSE_INSF_IsEEEESM_EEEEEPS7_SP_SP_NSC_11hip_rocprim7__merge17predicate_wrapperIssNSC_7greaterIsEEEEEE10hipError_tPvRmT0_T1_T2_T3_T4_T5_mmT6_P12ihipStream_tbEUlT_E_NS1_11comp_targetILNS1_3genE10ELNS1_11target_archE1201ELNS1_3gpuE5ELNS1_3repE0EEENS1_30default_config_static_selectorELNS0_4arch9wavefront6targetE0EEEvS10_, .Lfunc_end448-_ZN7rocprim17ROCPRIM_400000_NS6detail17trampoline_kernelINS0_14default_configENS1_21merge_config_selectorINS0_5tupleIJssEEENS0_10empty_typeEEEZNS1_10merge_implIS3_NS0_12zip_iteratorINS5_IJN6thrust23THRUST_200600_302600_NS6detail15normal_iteratorINSC_10device_ptrIKsEEEESI_EEEEESK_NSA_INS5_IJNSE_INSF_IsEEEESM_EEEEEPS7_SP_SP_NSC_11hip_rocprim7__merge17predicate_wrapperIssNSC_7greaterIsEEEEEE10hipError_tPvRmT0_T1_T2_T3_T4_T5_mmT6_P12ihipStream_tbEUlT_E_NS1_11comp_targetILNS1_3genE10ELNS1_11target_archE1201ELNS1_3gpuE5ELNS1_3repE0EEENS1_30default_config_static_selectorELNS0_4arch9wavefront6targetE0EEEvS10_
                                        ; -- End function
	.set _ZN7rocprim17ROCPRIM_400000_NS6detail17trampoline_kernelINS0_14default_configENS1_21merge_config_selectorINS0_5tupleIJssEEENS0_10empty_typeEEEZNS1_10merge_implIS3_NS0_12zip_iteratorINS5_IJN6thrust23THRUST_200600_302600_NS6detail15normal_iteratorINSC_10device_ptrIKsEEEESI_EEEEESK_NSA_INS5_IJNSE_INSF_IsEEEESM_EEEEEPS7_SP_SP_NSC_11hip_rocprim7__merge17predicate_wrapperIssNSC_7greaterIsEEEEEE10hipError_tPvRmT0_T1_T2_T3_T4_T5_mmT6_P12ihipStream_tbEUlT_E_NS1_11comp_targetILNS1_3genE10ELNS1_11target_archE1201ELNS1_3gpuE5ELNS1_3repE0EEENS1_30default_config_static_selectorELNS0_4arch9wavefront6targetE0EEEvS10_.num_vgpr, 0
	.set _ZN7rocprim17ROCPRIM_400000_NS6detail17trampoline_kernelINS0_14default_configENS1_21merge_config_selectorINS0_5tupleIJssEEENS0_10empty_typeEEEZNS1_10merge_implIS3_NS0_12zip_iteratorINS5_IJN6thrust23THRUST_200600_302600_NS6detail15normal_iteratorINSC_10device_ptrIKsEEEESI_EEEEESK_NSA_INS5_IJNSE_INSF_IsEEEESM_EEEEEPS7_SP_SP_NSC_11hip_rocprim7__merge17predicate_wrapperIssNSC_7greaterIsEEEEEE10hipError_tPvRmT0_T1_T2_T3_T4_T5_mmT6_P12ihipStream_tbEUlT_E_NS1_11comp_targetILNS1_3genE10ELNS1_11target_archE1201ELNS1_3gpuE5ELNS1_3repE0EEENS1_30default_config_static_selectorELNS0_4arch9wavefront6targetE0EEEvS10_.num_agpr, 0
	.set _ZN7rocprim17ROCPRIM_400000_NS6detail17trampoline_kernelINS0_14default_configENS1_21merge_config_selectorINS0_5tupleIJssEEENS0_10empty_typeEEEZNS1_10merge_implIS3_NS0_12zip_iteratorINS5_IJN6thrust23THRUST_200600_302600_NS6detail15normal_iteratorINSC_10device_ptrIKsEEEESI_EEEEESK_NSA_INS5_IJNSE_INSF_IsEEEESM_EEEEEPS7_SP_SP_NSC_11hip_rocprim7__merge17predicate_wrapperIssNSC_7greaterIsEEEEEE10hipError_tPvRmT0_T1_T2_T3_T4_T5_mmT6_P12ihipStream_tbEUlT_E_NS1_11comp_targetILNS1_3genE10ELNS1_11target_archE1201ELNS1_3gpuE5ELNS1_3repE0EEENS1_30default_config_static_selectorELNS0_4arch9wavefront6targetE0EEEvS10_.numbered_sgpr, 0
	.set _ZN7rocprim17ROCPRIM_400000_NS6detail17trampoline_kernelINS0_14default_configENS1_21merge_config_selectorINS0_5tupleIJssEEENS0_10empty_typeEEEZNS1_10merge_implIS3_NS0_12zip_iteratorINS5_IJN6thrust23THRUST_200600_302600_NS6detail15normal_iteratorINSC_10device_ptrIKsEEEESI_EEEEESK_NSA_INS5_IJNSE_INSF_IsEEEESM_EEEEEPS7_SP_SP_NSC_11hip_rocprim7__merge17predicate_wrapperIssNSC_7greaterIsEEEEEE10hipError_tPvRmT0_T1_T2_T3_T4_T5_mmT6_P12ihipStream_tbEUlT_E_NS1_11comp_targetILNS1_3genE10ELNS1_11target_archE1201ELNS1_3gpuE5ELNS1_3repE0EEENS1_30default_config_static_selectorELNS0_4arch9wavefront6targetE0EEEvS10_.num_named_barrier, 0
	.set _ZN7rocprim17ROCPRIM_400000_NS6detail17trampoline_kernelINS0_14default_configENS1_21merge_config_selectorINS0_5tupleIJssEEENS0_10empty_typeEEEZNS1_10merge_implIS3_NS0_12zip_iteratorINS5_IJN6thrust23THRUST_200600_302600_NS6detail15normal_iteratorINSC_10device_ptrIKsEEEESI_EEEEESK_NSA_INS5_IJNSE_INSF_IsEEEESM_EEEEEPS7_SP_SP_NSC_11hip_rocprim7__merge17predicate_wrapperIssNSC_7greaterIsEEEEEE10hipError_tPvRmT0_T1_T2_T3_T4_T5_mmT6_P12ihipStream_tbEUlT_E_NS1_11comp_targetILNS1_3genE10ELNS1_11target_archE1201ELNS1_3gpuE5ELNS1_3repE0EEENS1_30default_config_static_selectorELNS0_4arch9wavefront6targetE0EEEvS10_.private_seg_size, 0
	.set _ZN7rocprim17ROCPRIM_400000_NS6detail17trampoline_kernelINS0_14default_configENS1_21merge_config_selectorINS0_5tupleIJssEEENS0_10empty_typeEEEZNS1_10merge_implIS3_NS0_12zip_iteratorINS5_IJN6thrust23THRUST_200600_302600_NS6detail15normal_iteratorINSC_10device_ptrIKsEEEESI_EEEEESK_NSA_INS5_IJNSE_INSF_IsEEEESM_EEEEEPS7_SP_SP_NSC_11hip_rocprim7__merge17predicate_wrapperIssNSC_7greaterIsEEEEEE10hipError_tPvRmT0_T1_T2_T3_T4_T5_mmT6_P12ihipStream_tbEUlT_E_NS1_11comp_targetILNS1_3genE10ELNS1_11target_archE1201ELNS1_3gpuE5ELNS1_3repE0EEENS1_30default_config_static_selectorELNS0_4arch9wavefront6targetE0EEEvS10_.uses_vcc, 0
	.set _ZN7rocprim17ROCPRIM_400000_NS6detail17trampoline_kernelINS0_14default_configENS1_21merge_config_selectorINS0_5tupleIJssEEENS0_10empty_typeEEEZNS1_10merge_implIS3_NS0_12zip_iteratorINS5_IJN6thrust23THRUST_200600_302600_NS6detail15normal_iteratorINSC_10device_ptrIKsEEEESI_EEEEESK_NSA_INS5_IJNSE_INSF_IsEEEESM_EEEEEPS7_SP_SP_NSC_11hip_rocprim7__merge17predicate_wrapperIssNSC_7greaterIsEEEEEE10hipError_tPvRmT0_T1_T2_T3_T4_T5_mmT6_P12ihipStream_tbEUlT_E_NS1_11comp_targetILNS1_3genE10ELNS1_11target_archE1201ELNS1_3gpuE5ELNS1_3repE0EEENS1_30default_config_static_selectorELNS0_4arch9wavefront6targetE0EEEvS10_.uses_flat_scratch, 0
	.set _ZN7rocprim17ROCPRIM_400000_NS6detail17trampoline_kernelINS0_14default_configENS1_21merge_config_selectorINS0_5tupleIJssEEENS0_10empty_typeEEEZNS1_10merge_implIS3_NS0_12zip_iteratorINS5_IJN6thrust23THRUST_200600_302600_NS6detail15normal_iteratorINSC_10device_ptrIKsEEEESI_EEEEESK_NSA_INS5_IJNSE_INSF_IsEEEESM_EEEEEPS7_SP_SP_NSC_11hip_rocprim7__merge17predicate_wrapperIssNSC_7greaterIsEEEEEE10hipError_tPvRmT0_T1_T2_T3_T4_T5_mmT6_P12ihipStream_tbEUlT_E_NS1_11comp_targetILNS1_3genE10ELNS1_11target_archE1201ELNS1_3gpuE5ELNS1_3repE0EEENS1_30default_config_static_selectorELNS0_4arch9wavefront6targetE0EEEvS10_.has_dyn_sized_stack, 0
	.set _ZN7rocprim17ROCPRIM_400000_NS6detail17trampoline_kernelINS0_14default_configENS1_21merge_config_selectorINS0_5tupleIJssEEENS0_10empty_typeEEEZNS1_10merge_implIS3_NS0_12zip_iteratorINS5_IJN6thrust23THRUST_200600_302600_NS6detail15normal_iteratorINSC_10device_ptrIKsEEEESI_EEEEESK_NSA_INS5_IJNSE_INSF_IsEEEESM_EEEEEPS7_SP_SP_NSC_11hip_rocprim7__merge17predicate_wrapperIssNSC_7greaterIsEEEEEE10hipError_tPvRmT0_T1_T2_T3_T4_T5_mmT6_P12ihipStream_tbEUlT_E_NS1_11comp_targetILNS1_3genE10ELNS1_11target_archE1201ELNS1_3gpuE5ELNS1_3repE0EEENS1_30default_config_static_selectorELNS0_4arch9wavefront6targetE0EEEvS10_.has_recursion, 0
	.set _ZN7rocprim17ROCPRIM_400000_NS6detail17trampoline_kernelINS0_14default_configENS1_21merge_config_selectorINS0_5tupleIJssEEENS0_10empty_typeEEEZNS1_10merge_implIS3_NS0_12zip_iteratorINS5_IJN6thrust23THRUST_200600_302600_NS6detail15normal_iteratorINSC_10device_ptrIKsEEEESI_EEEEESK_NSA_INS5_IJNSE_INSF_IsEEEESM_EEEEEPS7_SP_SP_NSC_11hip_rocprim7__merge17predicate_wrapperIssNSC_7greaterIsEEEEEE10hipError_tPvRmT0_T1_T2_T3_T4_T5_mmT6_P12ihipStream_tbEUlT_E_NS1_11comp_targetILNS1_3genE10ELNS1_11target_archE1201ELNS1_3gpuE5ELNS1_3repE0EEENS1_30default_config_static_selectorELNS0_4arch9wavefront6targetE0EEEvS10_.has_indirect_call, 0
	.section	.AMDGPU.csdata,"",@progbits
; Kernel info:
; codeLenInByte = 0
; TotalNumSgprs: 0
; NumVgprs: 0
; ScratchSize: 0
; MemoryBound: 0
; FloatMode: 240
; IeeeMode: 1
; LDSByteSize: 0 bytes/workgroup (compile time only)
; SGPRBlocks: 0
; VGPRBlocks: 0
; NumSGPRsForWavesPerEU: 1
; NumVGPRsForWavesPerEU: 1
; Occupancy: 16
; WaveLimiterHint : 0
; COMPUTE_PGM_RSRC2:SCRATCH_EN: 0
; COMPUTE_PGM_RSRC2:USER_SGPR: 6
; COMPUTE_PGM_RSRC2:TRAP_HANDLER: 0
; COMPUTE_PGM_RSRC2:TGID_X_EN: 1
; COMPUTE_PGM_RSRC2:TGID_Y_EN: 0
; COMPUTE_PGM_RSRC2:TGID_Z_EN: 0
; COMPUTE_PGM_RSRC2:TIDIG_COMP_CNT: 0
	.section	.text._ZN7rocprim17ROCPRIM_400000_NS6detail17trampoline_kernelINS0_14default_configENS1_21merge_config_selectorINS0_5tupleIJssEEENS0_10empty_typeEEEZNS1_10merge_implIS3_NS0_12zip_iteratorINS5_IJN6thrust23THRUST_200600_302600_NS6detail15normal_iteratorINSC_10device_ptrIKsEEEESI_EEEEESK_NSA_INS5_IJNSE_INSF_IsEEEESM_EEEEEPS7_SP_SP_NSC_11hip_rocprim7__merge17predicate_wrapperIssNSC_7greaterIsEEEEEE10hipError_tPvRmT0_T1_T2_T3_T4_T5_mmT6_P12ihipStream_tbEUlT_E_NS1_11comp_targetILNS1_3genE10ELNS1_11target_archE1200ELNS1_3gpuE4ELNS1_3repE0EEENS1_30default_config_static_selectorELNS0_4arch9wavefront6targetE0EEEvS10_,"axG",@progbits,_ZN7rocprim17ROCPRIM_400000_NS6detail17trampoline_kernelINS0_14default_configENS1_21merge_config_selectorINS0_5tupleIJssEEENS0_10empty_typeEEEZNS1_10merge_implIS3_NS0_12zip_iteratorINS5_IJN6thrust23THRUST_200600_302600_NS6detail15normal_iteratorINSC_10device_ptrIKsEEEESI_EEEEESK_NSA_INS5_IJNSE_INSF_IsEEEESM_EEEEEPS7_SP_SP_NSC_11hip_rocprim7__merge17predicate_wrapperIssNSC_7greaterIsEEEEEE10hipError_tPvRmT0_T1_T2_T3_T4_T5_mmT6_P12ihipStream_tbEUlT_E_NS1_11comp_targetILNS1_3genE10ELNS1_11target_archE1200ELNS1_3gpuE4ELNS1_3repE0EEENS1_30default_config_static_selectorELNS0_4arch9wavefront6targetE0EEEvS10_,comdat
	.protected	_ZN7rocprim17ROCPRIM_400000_NS6detail17trampoline_kernelINS0_14default_configENS1_21merge_config_selectorINS0_5tupleIJssEEENS0_10empty_typeEEEZNS1_10merge_implIS3_NS0_12zip_iteratorINS5_IJN6thrust23THRUST_200600_302600_NS6detail15normal_iteratorINSC_10device_ptrIKsEEEESI_EEEEESK_NSA_INS5_IJNSE_INSF_IsEEEESM_EEEEEPS7_SP_SP_NSC_11hip_rocprim7__merge17predicate_wrapperIssNSC_7greaterIsEEEEEE10hipError_tPvRmT0_T1_T2_T3_T4_T5_mmT6_P12ihipStream_tbEUlT_E_NS1_11comp_targetILNS1_3genE10ELNS1_11target_archE1200ELNS1_3gpuE4ELNS1_3repE0EEENS1_30default_config_static_selectorELNS0_4arch9wavefront6targetE0EEEvS10_ ; -- Begin function _ZN7rocprim17ROCPRIM_400000_NS6detail17trampoline_kernelINS0_14default_configENS1_21merge_config_selectorINS0_5tupleIJssEEENS0_10empty_typeEEEZNS1_10merge_implIS3_NS0_12zip_iteratorINS5_IJN6thrust23THRUST_200600_302600_NS6detail15normal_iteratorINSC_10device_ptrIKsEEEESI_EEEEESK_NSA_INS5_IJNSE_INSF_IsEEEESM_EEEEEPS7_SP_SP_NSC_11hip_rocprim7__merge17predicate_wrapperIssNSC_7greaterIsEEEEEE10hipError_tPvRmT0_T1_T2_T3_T4_T5_mmT6_P12ihipStream_tbEUlT_E_NS1_11comp_targetILNS1_3genE10ELNS1_11target_archE1200ELNS1_3gpuE4ELNS1_3repE0EEENS1_30default_config_static_selectorELNS0_4arch9wavefront6targetE0EEEvS10_
	.globl	_ZN7rocprim17ROCPRIM_400000_NS6detail17trampoline_kernelINS0_14default_configENS1_21merge_config_selectorINS0_5tupleIJssEEENS0_10empty_typeEEEZNS1_10merge_implIS3_NS0_12zip_iteratorINS5_IJN6thrust23THRUST_200600_302600_NS6detail15normal_iteratorINSC_10device_ptrIKsEEEESI_EEEEESK_NSA_INS5_IJNSE_INSF_IsEEEESM_EEEEEPS7_SP_SP_NSC_11hip_rocprim7__merge17predicate_wrapperIssNSC_7greaterIsEEEEEE10hipError_tPvRmT0_T1_T2_T3_T4_T5_mmT6_P12ihipStream_tbEUlT_E_NS1_11comp_targetILNS1_3genE10ELNS1_11target_archE1200ELNS1_3gpuE4ELNS1_3repE0EEENS1_30default_config_static_selectorELNS0_4arch9wavefront6targetE0EEEvS10_
	.p2align	8
	.type	_ZN7rocprim17ROCPRIM_400000_NS6detail17trampoline_kernelINS0_14default_configENS1_21merge_config_selectorINS0_5tupleIJssEEENS0_10empty_typeEEEZNS1_10merge_implIS3_NS0_12zip_iteratorINS5_IJN6thrust23THRUST_200600_302600_NS6detail15normal_iteratorINSC_10device_ptrIKsEEEESI_EEEEESK_NSA_INS5_IJNSE_INSF_IsEEEESM_EEEEEPS7_SP_SP_NSC_11hip_rocprim7__merge17predicate_wrapperIssNSC_7greaterIsEEEEEE10hipError_tPvRmT0_T1_T2_T3_T4_T5_mmT6_P12ihipStream_tbEUlT_E_NS1_11comp_targetILNS1_3genE10ELNS1_11target_archE1200ELNS1_3gpuE4ELNS1_3repE0EEENS1_30default_config_static_selectorELNS0_4arch9wavefront6targetE0EEEvS10_,@function
_ZN7rocprim17ROCPRIM_400000_NS6detail17trampoline_kernelINS0_14default_configENS1_21merge_config_selectorINS0_5tupleIJssEEENS0_10empty_typeEEEZNS1_10merge_implIS3_NS0_12zip_iteratorINS5_IJN6thrust23THRUST_200600_302600_NS6detail15normal_iteratorINSC_10device_ptrIKsEEEESI_EEEEESK_NSA_INS5_IJNSE_INSF_IsEEEESM_EEEEEPS7_SP_SP_NSC_11hip_rocprim7__merge17predicate_wrapperIssNSC_7greaterIsEEEEEE10hipError_tPvRmT0_T1_T2_T3_T4_T5_mmT6_P12ihipStream_tbEUlT_E_NS1_11comp_targetILNS1_3genE10ELNS1_11target_archE1200ELNS1_3gpuE4ELNS1_3repE0EEENS1_30default_config_static_selectorELNS0_4arch9wavefront6targetE0EEEvS10_: ; @_ZN7rocprim17ROCPRIM_400000_NS6detail17trampoline_kernelINS0_14default_configENS1_21merge_config_selectorINS0_5tupleIJssEEENS0_10empty_typeEEEZNS1_10merge_implIS3_NS0_12zip_iteratorINS5_IJN6thrust23THRUST_200600_302600_NS6detail15normal_iteratorINSC_10device_ptrIKsEEEESI_EEEEESK_NSA_INS5_IJNSE_INSF_IsEEEESM_EEEEEPS7_SP_SP_NSC_11hip_rocprim7__merge17predicate_wrapperIssNSC_7greaterIsEEEEEE10hipError_tPvRmT0_T1_T2_T3_T4_T5_mmT6_P12ihipStream_tbEUlT_E_NS1_11comp_targetILNS1_3genE10ELNS1_11target_archE1200ELNS1_3gpuE4ELNS1_3repE0EEENS1_30default_config_static_selectorELNS0_4arch9wavefront6targetE0EEEvS10_
; %bb.0:
	.section	.rodata,"a",@progbits
	.p2align	6, 0x0
	.amdhsa_kernel _ZN7rocprim17ROCPRIM_400000_NS6detail17trampoline_kernelINS0_14default_configENS1_21merge_config_selectorINS0_5tupleIJssEEENS0_10empty_typeEEEZNS1_10merge_implIS3_NS0_12zip_iteratorINS5_IJN6thrust23THRUST_200600_302600_NS6detail15normal_iteratorINSC_10device_ptrIKsEEEESI_EEEEESK_NSA_INS5_IJNSE_INSF_IsEEEESM_EEEEEPS7_SP_SP_NSC_11hip_rocprim7__merge17predicate_wrapperIssNSC_7greaterIsEEEEEE10hipError_tPvRmT0_T1_T2_T3_T4_T5_mmT6_P12ihipStream_tbEUlT_E_NS1_11comp_targetILNS1_3genE10ELNS1_11target_archE1200ELNS1_3gpuE4ELNS1_3repE0EEENS1_30default_config_static_selectorELNS0_4arch9wavefront6targetE0EEEvS10_
		.amdhsa_group_segment_fixed_size 0
		.amdhsa_private_segment_fixed_size 0
		.amdhsa_kernarg_size 64
		.amdhsa_user_sgpr_count 6
		.amdhsa_user_sgpr_private_segment_buffer 1
		.amdhsa_user_sgpr_dispatch_ptr 0
		.amdhsa_user_sgpr_queue_ptr 0
		.amdhsa_user_sgpr_kernarg_segment_ptr 1
		.amdhsa_user_sgpr_dispatch_id 0
		.amdhsa_user_sgpr_flat_scratch_init 0
		.amdhsa_user_sgpr_private_segment_size 0
		.amdhsa_wavefront_size32 1
		.amdhsa_uses_dynamic_stack 0
		.amdhsa_system_sgpr_private_segment_wavefront_offset 0
		.amdhsa_system_sgpr_workgroup_id_x 1
		.amdhsa_system_sgpr_workgroup_id_y 0
		.amdhsa_system_sgpr_workgroup_id_z 0
		.amdhsa_system_sgpr_workgroup_info 0
		.amdhsa_system_vgpr_workitem_id 0
		.amdhsa_next_free_vgpr 1
		.amdhsa_next_free_sgpr 1
		.amdhsa_reserve_vcc 0
		.amdhsa_reserve_flat_scratch 0
		.amdhsa_float_round_mode_32 0
		.amdhsa_float_round_mode_16_64 0
		.amdhsa_float_denorm_mode_32 3
		.amdhsa_float_denorm_mode_16_64 3
		.amdhsa_dx10_clamp 1
		.amdhsa_ieee_mode 1
		.amdhsa_fp16_overflow 0
		.amdhsa_workgroup_processor_mode 1
		.amdhsa_memory_ordered 1
		.amdhsa_forward_progress 1
		.amdhsa_shared_vgpr_count 0
		.amdhsa_exception_fp_ieee_invalid_op 0
		.amdhsa_exception_fp_denorm_src 0
		.amdhsa_exception_fp_ieee_div_zero 0
		.amdhsa_exception_fp_ieee_overflow 0
		.amdhsa_exception_fp_ieee_underflow 0
		.amdhsa_exception_fp_ieee_inexact 0
		.amdhsa_exception_int_div_zero 0
	.end_amdhsa_kernel
	.section	.text._ZN7rocprim17ROCPRIM_400000_NS6detail17trampoline_kernelINS0_14default_configENS1_21merge_config_selectorINS0_5tupleIJssEEENS0_10empty_typeEEEZNS1_10merge_implIS3_NS0_12zip_iteratorINS5_IJN6thrust23THRUST_200600_302600_NS6detail15normal_iteratorINSC_10device_ptrIKsEEEESI_EEEEESK_NSA_INS5_IJNSE_INSF_IsEEEESM_EEEEEPS7_SP_SP_NSC_11hip_rocprim7__merge17predicate_wrapperIssNSC_7greaterIsEEEEEE10hipError_tPvRmT0_T1_T2_T3_T4_T5_mmT6_P12ihipStream_tbEUlT_E_NS1_11comp_targetILNS1_3genE10ELNS1_11target_archE1200ELNS1_3gpuE4ELNS1_3repE0EEENS1_30default_config_static_selectorELNS0_4arch9wavefront6targetE0EEEvS10_,"axG",@progbits,_ZN7rocprim17ROCPRIM_400000_NS6detail17trampoline_kernelINS0_14default_configENS1_21merge_config_selectorINS0_5tupleIJssEEENS0_10empty_typeEEEZNS1_10merge_implIS3_NS0_12zip_iteratorINS5_IJN6thrust23THRUST_200600_302600_NS6detail15normal_iteratorINSC_10device_ptrIKsEEEESI_EEEEESK_NSA_INS5_IJNSE_INSF_IsEEEESM_EEEEEPS7_SP_SP_NSC_11hip_rocprim7__merge17predicate_wrapperIssNSC_7greaterIsEEEEEE10hipError_tPvRmT0_T1_T2_T3_T4_T5_mmT6_P12ihipStream_tbEUlT_E_NS1_11comp_targetILNS1_3genE10ELNS1_11target_archE1200ELNS1_3gpuE4ELNS1_3repE0EEENS1_30default_config_static_selectorELNS0_4arch9wavefront6targetE0EEEvS10_,comdat
.Lfunc_end449:
	.size	_ZN7rocprim17ROCPRIM_400000_NS6detail17trampoline_kernelINS0_14default_configENS1_21merge_config_selectorINS0_5tupleIJssEEENS0_10empty_typeEEEZNS1_10merge_implIS3_NS0_12zip_iteratorINS5_IJN6thrust23THRUST_200600_302600_NS6detail15normal_iteratorINSC_10device_ptrIKsEEEESI_EEEEESK_NSA_INS5_IJNSE_INSF_IsEEEESM_EEEEEPS7_SP_SP_NSC_11hip_rocprim7__merge17predicate_wrapperIssNSC_7greaterIsEEEEEE10hipError_tPvRmT0_T1_T2_T3_T4_T5_mmT6_P12ihipStream_tbEUlT_E_NS1_11comp_targetILNS1_3genE10ELNS1_11target_archE1200ELNS1_3gpuE4ELNS1_3repE0EEENS1_30default_config_static_selectorELNS0_4arch9wavefront6targetE0EEEvS10_, .Lfunc_end449-_ZN7rocprim17ROCPRIM_400000_NS6detail17trampoline_kernelINS0_14default_configENS1_21merge_config_selectorINS0_5tupleIJssEEENS0_10empty_typeEEEZNS1_10merge_implIS3_NS0_12zip_iteratorINS5_IJN6thrust23THRUST_200600_302600_NS6detail15normal_iteratorINSC_10device_ptrIKsEEEESI_EEEEESK_NSA_INS5_IJNSE_INSF_IsEEEESM_EEEEEPS7_SP_SP_NSC_11hip_rocprim7__merge17predicate_wrapperIssNSC_7greaterIsEEEEEE10hipError_tPvRmT0_T1_T2_T3_T4_T5_mmT6_P12ihipStream_tbEUlT_E_NS1_11comp_targetILNS1_3genE10ELNS1_11target_archE1200ELNS1_3gpuE4ELNS1_3repE0EEENS1_30default_config_static_selectorELNS0_4arch9wavefront6targetE0EEEvS10_
                                        ; -- End function
	.set _ZN7rocprim17ROCPRIM_400000_NS6detail17trampoline_kernelINS0_14default_configENS1_21merge_config_selectorINS0_5tupleIJssEEENS0_10empty_typeEEEZNS1_10merge_implIS3_NS0_12zip_iteratorINS5_IJN6thrust23THRUST_200600_302600_NS6detail15normal_iteratorINSC_10device_ptrIKsEEEESI_EEEEESK_NSA_INS5_IJNSE_INSF_IsEEEESM_EEEEEPS7_SP_SP_NSC_11hip_rocprim7__merge17predicate_wrapperIssNSC_7greaterIsEEEEEE10hipError_tPvRmT0_T1_T2_T3_T4_T5_mmT6_P12ihipStream_tbEUlT_E_NS1_11comp_targetILNS1_3genE10ELNS1_11target_archE1200ELNS1_3gpuE4ELNS1_3repE0EEENS1_30default_config_static_selectorELNS0_4arch9wavefront6targetE0EEEvS10_.num_vgpr, 0
	.set _ZN7rocprim17ROCPRIM_400000_NS6detail17trampoline_kernelINS0_14default_configENS1_21merge_config_selectorINS0_5tupleIJssEEENS0_10empty_typeEEEZNS1_10merge_implIS3_NS0_12zip_iteratorINS5_IJN6thrust23THRUST_200600_302600_NS6detail15normal_iteratorINSC_10device_ptrIKsEEEESI_EEEEESK_NSA_INS5_IJNSE_INSF_IsEEEESM_EEEEEPS7_SP_SP_NSC_11hip_rocprim7__merge17predicate_wrapperIssNSC_7greaterIsEEEEEE10hipError_tPvRmT0_T1_T2_T3_T4_T5_mmT6_P12ihipStream_tbEUlT_E_NS1_11comp_targetILNS1_3genE10ELNS1_11target_archE1200ELNS1_3gpuE4ELNS1_3repE0EEENS1_30default_config_static_selectorELNS0_4arch9wavefront6targetE0EEEvS10_.num_agpr, 0
	.set _ZN7rocprim17ROCPRIM_400000_NS6detail17trampoline_kernelINS0_14default_configENS1_21merge_config_selectorINS0_5tupleIJssEEENS0_10empty_typeEEEZNS1_10merge_implIS3_NS0_12zip_iteratorINS5_IJN6thrust23THRUST_200600_302600_NS6detail15normal_iteratorINSC_10device_ptrIKsEEEESI_EEEEESK_NSA_INS5_IJNSE_INSF_IsEEEESM_EEEEEPS7_SP_SP_NSC_11hip_rocprim7__merge17predicate_wrapperIssNSC_7greaterIsEEEEEE10hipError_tPvRmT0_T1_T2_T3_T4_T5_mmT6_P12ihipStream_tbEUlT_E_NS1_11comp_targetILNS1_3genE10ELNS1_11target_archE1200ELNS1_3gpuE4ELNS1_3repE0EEENS1_30default_config_static_selectorELNS0_4arch9wavefront6targetE0EEEvS10_.numbered_sgpr, 0
	.set _ZN7rocprim17ROCPRIM_400000_NS6detail17trampoline_kernelINS0_14default_configENS1_21merge_config_selectorINS0_5tupleIJssEEENS0_10empty_typeEEEZNS1_10merge_implIS3_NS0_12zip_iteratorINS5_IJN6thrust23THRUST_200600_302600_NS6detail15normal_iteratorINSC_10device_ptrIKsEEEESI_EEEEESK_NSA_INS5_IJNSE_INSF_IsEEEESM_EEEEEPS7_SP_SP_NSC_11hip_rocprim7__merge17predicate_wrapperIssNSC_7greaterIsEEEEEE10hipError_tPvRmT0_T1_T2_T3_T4_T5_mmT6_P12ihipStream_tbEUlT_E_NS1_11comp_targetILNS1_3genE10ELNS1_11target_archE1200ELNS1_3gpuE4ELNS1_3repE0EEENS1_30default_config_static_selectorELNS0_4arch9wavefront6targetE0EEEvS10_.num_named_barrier, 0
	.set _ZN7rocprim17ROCPRIM_400000_NS6detail17trampoline_kernelINS0_14default_configENS1_21merge_config_selectorINS0_5tupleIJssEEENS0_10empty_typeEEEZNS1_10merge_implIS3_NS0_12zip_iteratorINS5_IJN6thrust23THRUST_200600_302600_NS6detail15normal_iteratorINSC_10device_ptrIKsEEEESI_EEEEESK_NSA_INS5_IJNSE_INSF_IsEEEESM_EEEEEPS7_SP_SP_NSC_11hip_rocprim7__merge17predicate_wrapperIssNSC_7greaterIsEEEEEE10hipError_tPvRmT0_T1_T2_T3_T4_T5_mmT6_P12ihipStream_tbEUlT_E_NS1_11comp_targetILNS1_3genE10ELNS1_11target_archE1200ELNS1_3gpuE4ELNS1_3repE0EEENS1_30default_config_static_selectorELNS0_4arch9wavefront6targetE0EEEvS10_.private_seg_size, 0
	.set _ZN7rocprim17ROCPRIM_400000_NS6detail17trampoline_kernelINS0_14default_configENS1_21merge_config_selectorINS0_5tupleIJssEEENS0_10empty_typeEEEZNS1_10merge_implIS3_NS0_12zip_iteratorINS5_IJN6thrust23THRUST_200600_302600_NS6detail15normal_iteratorINSC_10device_ptrIKsEEEESI_EEEEESK_NSA_INS5_IJNSE_INSF_IsEEEESM_EEEEEPS7_SP_SP_NSC_11hip_rocprim7__merge17predicate_wrapperIssNSC_7greaterIsEEEEEE10hipError_tPvRmT0_T1_T2_T3_T4_T5_mmT6_P12ihipStream_tbEUlT_E_NS1_11comp_targetILNS1_3genE10ELNS1_11target_archE1200ELNS1_3gpuE4ELNS1_3repE0EEENS1_30default_config_static_selectorELNS0_4arch9wavefront6targetE0EEEvS10_.uses_vcc, 0
	.set _ZN7rocprim17ROCPRIM_400000_NS6detail17trampoline_kernelINS0_14default_configENS1_21merge_config_selectorINS0_5tupleIJssEEENS0_10empty_typeEEEZNS1_10merge_implIS3_NS0_12zip_iteratorINS5_IJN6thrust23THRUST_200600_302600_NS6detail15normal_iteratorINSC_10device_ptrIKsEEEESI_EEEEESK_NSA_INS5_IJNSE_INSF_IsEEEESM_EEEEEPS7_SP_SP_NSC_11hip_rocprim7__merge17predicate_wrapperIssNSC_7greaterIsEEEEEE10hipError_tPvRmT0_T1_T2_T3_T4_T5_mmT6_P12ihipStream_tbEUlT_E_NS1_11comp_targetILNS1_3genE10ELNS1_11target_archE1200ELNS1_3gpuE4ELNS1_3repE0EEENS1_30default_config_static_selectorELNS0_4arch9wavefront6targetE0EEEvS10_.uses_flat_scratch, 0
	.set _ZN7rocprim17ROCPRIM_400000_NS6detail17trampoline_kernelINS0_14default_configENS1_21merge_config_selectorINS0_5tupleIJssEEENS0_10empty_typeEEEZNS1_10merge_implIS3_NS0_12zip_iteratorINS5_IJN6thrust23THRUST_200600_302600_NS6detail15normal_iteratorINSC_10device_ptrIKsEEEESI_EEEEESK_NSA_INS5_IJNSE_INSF_IsEEEESM_EEEEEPS7_SP_SP_NSC_11hip_rocprim7__merge17predicate_wrapperIssNSC_7greaterIsEEEEEE10hipError_tPvRmT0_T1_T2_T3_T4_T5_mmT6_P12ihipStream_tbEUlT_E_NS1_11comp_targetILNS1_3genE10ELNS1_11target_archE1200ELNS1_3gpuE4ELNS1_3repE0EEENS1_30default_config_static_selectorELNS0_4arch9wavefront6targetE0EEEvS10_.has_dyn_sized_stack, 0
	.set _ZN7rocprim17ROCPRIM_400000_NS6detail17trampoline_kernelINS0_14default_configENS1_21merge_config_selectorINS0_5tupleIJssEEENS0_10empty_typeEEEZNS1_10merge_implIS3_NS0_12zip_iteratorINS5_IJN6thrust23THRUST_200600_302600_NS6detail15normal_iteratorINSC_10device_ptrIKsEEEESI_EEEEESK_NSA_INS5_IJNSE_INSF_IsEEEESM_EEEEEPS7_SP_SP_NSC_11hip_rocprim7__merge17predicate_wrapperIssNSC_7greaterIsEEEEEE10hipError_tPvRmT0_T1_T2_T3_T4_T5_mmT6_P12ihipStream_tbEUlT_E_NS1_11comp_targetILNS1_3genE10ELNS1_11target_archE1200ELNS1_3gpuE4ELNS1_3repE0EEENS1_30default_config_static_selectorELNS0_4arch9wavefront6targetE0EEEvS10_.has_recursion, 0
	.set _ZN7rocprim17ROCPRIM_400000_NS6detail17trampoline_kernelINS0_14default_configENS1_21merge_config_selectorINS0_5tupleIJssEEENS0_10empty_typeEEEZNS1_10merge_implIS3_NS0_12zip_iteratorINS5_IJN6thrust23THRUST_200600_302600_NS6detail15normal_iteratorINSC_10device_ptrIKsEEEESI_EEEEESK_NSA_INS5_IJNSE_INSF_IsEEEESM_EEEEEPS7_SP_SP_NSC_11hip_rocprim7__merge17predicate_wrapperIssNSC_7greaterIsEEEEEE10hipError_tPvRmT0_T1_T2_T3_T4_T5_mmT6_P12ihipStream_tbEUlT_E_NS1_11comp_targetILNS1_3genE10ELNS1_11target_archE1200ELNS1_3gpuE4ELNS1_3repE0EEENS1_30default_config_static_selectorELNS0_4arch9wavefront6targetE0EEEvS10_.has_indirect_call, 0
	.section	.AMDGPU.csdata,"",@progbits
; Kernel info:
; codeLenInByte = 0
; TotalNumSgprs: 0
; NumVgprs: 0
; ScratchSize: 0
; MemoryBound: 0
; FloatMode: 240
; IeeeMode: 1
; LDSByteSize: 0 bytes/workgroup (compile time only)
; SGPRBlocks: 0
; VGPRBlocks: 0
; NumSGPRsForWavesPerEU: 1
; NumVGPRsForWavesPerEU: 1
; Occupancy: 16
; WaveLimiterHint : 0
; COMPUTE_PGM_RSRC2:SCRATCH_EN: 0
; COMPUTE_PGM_RSRC2:USER_SGPR: 6
; COMPUTE_PGM_RSRC2:TRAP_HANDLER: 0
; COMPUTE_PGM_RSRC2:TGID_X_EN: 1
; COMPUTE_PGM_RSRC2:TGID_Y_EN: 0
; COMPUTE_PGM_RSRC2:TGID_Z_EN: 0
; COMPUTE_PGM_RSRC2:TIDIG_COMP_CNT: 0
	.section	.text._ZN7rocprim17ROCPRIM_400000_NS6detail17trampoline_kernelINS0_14default_configENS1_21merge_config_selectorINS0_5tupleIJssEEENS0_10empty_typeEEEZNS1_10merge_implIS3_NS0_12zip_iteratorINS5_IJN6thrust23THRUST_200600_302600_NS6detail15normal_iteratorINSC_10device_ptrIKsEEEESI_EEEEESK_NSA_INS5_IJNSE_INSF_IsEEEESM_EEEEEPS7_SP_SP_NSC_11hip_rocprim7__merge17predicate_wrapperIssNSC_7greaterIsEEEEEE10hipError_tPvRmT0_T1_T2_T3_T4_T5_mmT6_P12ihipStream_tbEUlT_E_NS1_11comp_targetILNS1_3genE9ELNS1_11target_archE1100ELNS1_3gpuE3ELNS1_3repE0EEENS1_30default_config_static_selectorELNS0_4arch9wavefront6targetE0EEEvS10_,"axG",@progbits,_ZN7rocprim17ROCPRIM_400000_NS6detail17trampoline_kernelINS0_14default_configENS1_21merge_config_selectorINS0_5tupleIJssEEENS0_10empty_typeEEEZNS1_10merge_implIS3_NS0_12zip_iteratorINS5_IJN6thrust23THRUST_200600_302600_NS6detail15normal_iteratorINSC_10device_ptrIKsEEEESI_EEEEESK_NSA_INS5_IJNSE_INSF_IsEEEESM_EEEEEPS7_SP_SP_NSC_11hip_rocprim7__merge17predicate_wrapperIssNSC_7greaterIsEEEEEE10hipError_tPvRmT0_T1_T2_T3_T4_T5_mmT6_P12ihipStream_tbEUlT_E_NS1_11comp_targetILNS1_3genE9ELNS1_11target_archE1100ELNS1_3gpuE3ELNS1_3repE0EEENS1_30default_config_static_selectorELNS0_4arch9wavefront6targetE0EEEvS10_,comdat
	.protected	_ZN7rocprim17ROCPRIM_400000_NS6detail17trampoline_kernelINS0_14default_configENS1_21merge_config_selectorINS0_5tupleIJssEEENS0_10empty_typeEEEZNS1_10merge_implIS3_NS0_12zip_iteratorINS5_IJN6thrust23THRUST_200600_302600_NS6detail15normal_iteratorINSC_10device_ptrIKsEEEESI_EEEEESK_NSA_INS5_IJNSE_INSF_IsEEEESM_EEEEEPS7_SP_SP_NSC_11hip_rocprim7__merge17predicate_wrapperIssNSC_7greaterIsEEEEEE10hipError_tPvRmT0_T1_T2_T3_T4_T5_mmT6_P12ihipStream_tbEUlT_E_NS1_11comp_targetILNS1_3genE9ELNS1_11target_archE1100ELNS1_3gpuE3ELNS1_3repE0EEENS1_30default_config_static_selectorELNS0_4arch9wavefront6targetE0EEEvS10_ ; -- Begin function _ZN7rocprim17ROCPRIM_400000_NS6detail17trampoline_kernelINS0_14default_configENS1_21merge_config_selectorINS0_5tupleIJssEEENS0_10empty_typeEEEZNS1_10merge_implIS3_NS0_12zip_iteratorINS5_IJN6thrust23THRUST_200600_302600_NS6detail15normal_iteratorINSC_10device_ptrIKsEEEESI_EEEEESK_NSA_INS5_IJNSE_INSF_IsEEEESM_EEEEEPS7_SP_SP_NSC_11hip_rocprim7__merge17predicate_wrapperIssNSC_7greaterIsEEEEEE10hipError_tPvRmT0_T1_T2_T3_T4_T5_mmT6_P12ihipStream_tbEUlT_E_NS1_11comp_targetILNS1_3genE9ELNS1_11target_archE1100ELNS1_3gpuE3ELNS1_3repE0EEENS1_30default_config_static_selectorELNS0_4arch9wavefront6targetE0EEEvS10_
	.globl	_ZN7rocprim17ROCPRIM_400000_NS6detail17trampoline_kernelINS0_14default_configENS1_21merge_config_selectorINS0_5tupleIJssEEENS0_10empty_typeEEEZNS1_10merge_implIS3_NS0_12zip_iteratorINS5_IJN6thrust23THRUST_200600_302600_NS6detail15normal_iteratorINSC_10device_ptrIKsEEEESI_EEEEESK_NSA_INS5_IJNSE_INSF_IsEEEESM_EEEEEPS7_SP_SP_NSC_11hip_rocprim7__merge17predicate_wrapperIssNSC_7greaterIsEEEEEE10hipError_tPvRmT0_T1_T2_T3_T4_T5_mmT6_P12ihipStream_tbEUlT_E_NS1_11comp_targetILNS1_3genE9ELNS1_11target_archE1100ELNS1_3gpuE3ELNS1_3repE0EEENS1_30default_config_static_selectorELNS0_4arch9wavefront6targetE0EEEvS10_
	.p2align	8
	.type	_ZN7rocprim17ROCPRIM_400000_NS6detail17trampoline_kernelINS0_14default_configENS1_21merge_config_selectorINS0_5tupleIJssEEENS0_10empty_typeEEEZNS1_10merge_implIS3_NS0_12zip_iteratorINS5_IJN6thrust23THRUST_200600_302600_NS6detail15normal_iteratorINSC_10device_ptrIKsEEEESI_EEEEESK_NSA_INS5_IJNSE_INSF_IsEEEESM_EEEEEPS7_SP_SP_NSC_11hip_rocprim7__merge17predicate_wrapperIssNSC_7greaterIsEEEEEE10hipError_tPvRmT0_T1_T2_T3_T4_T5_mmT6_P12ihipStream_tbEUlT_E_NS1_11comp_targetILNS1_3genE9ELNS1_11target_archE1100ELNS1_3gpuE3ELNS1_3repE0EEENS1_30default_config_static_selectorELNS0_4arch9wavefront6targetE0EEEvS10_,@function
_ZN7rocprim17ROCPRIM_400000_NS6detail17trampoline_kernelINS0_14default_configENS1_21merge_config_selectorINS0_5tupleIJssEEENS0_10empty_typeEEEZNS1_10merge_implIS3_NS0_12zip_iteratorINS5_IJN6thrust23THRUST_200600_302600_NS6detail15normal_iteratorINSC_10device_ptrIKsEEEESI_EEEEESK_NSA_INS5_IJNSE_INSF_IsEEEESM_EEEEEPS7_SP_SP_NSC_11hip_rocprim7__merge17predicate_wrapperIssNSC_7greaterIsEEEEEE10hipError_tPvRmT0_T1_T2_T3_T4_T5_mmT6_P12ihipStream_tbEUlT_E_NS1_11comp_targetILNS1_3genE9ELNS1_11target_archE1100ELNS1_3gpuE3ELNS1_3repE0EEENS1_30default_config_static_selectorELNS0_4arch9wavefront6targetE0EEEvS10_: ; @_ZN7rocprim17ROCPRIM_400000_NS6detail17trampoline_kernelINS0_14default_configENS1_21merge_config_selectorINS0_5tupleIJssEEENS0_10empty_typeEEEZNS1_10merge_implIS3_NS0_12zip_iteratorINS5_IJN6thrust23THRUST_200600_302600_NS6detail15normal_iteratorINSC_10device_ptrIKsEEEESI_EEEEESK_NSA_INS5_IJNSE_INSF_IsEEEESM_EEEEEPS7_SP_SP_NSC_11hip_rocprim7__merge17predicate_wrapperIssNSC_7greaterIsEEEEEE10hipError_tPvRmT0_T1_T2_T3_T4_T5_mmT6_P12ihipStream_tbEUlT_E_NS1_11comp_targetILNS1_3genE9ELNS1_11target_archE1100ELNS1_3gpuE3ELNS1_3repE0EEENS1_30default_config_static_selectorELNS0_4arch9wavefront6targetE0EEEvS10_
; %bb.0:
	.section	.rodata,"a",@progbits
	.p2align	6, 0x0
	.amdhsa_kernel _ZN7rocprim17ROCPRIM_400000_NS6detail17trampoline_kernelINS0_14default_configENS1_21merge_config_selectorINS0_5tupleIJssEEENS0_10empty_typeEEEZNS1_10merge_implIS3_NS0_12zip_iteratorINS5_IJN6thrust23THRUST_200600_302600_NS6detail15normal_iteratorINSC_10device_ptrIKsEEEESI_EEEEESK_NSA_INS5_IJNSE_INSF_IsEEEESM_EEEEEPS7_SP_SP_NSC_11hip_rocprim7__merge17predicate_wrapperIssNSC_7greaterIsEEEEEE10hipError_tPvRmT0_T1_T2_T3_T4_T5_mmT6_P12ihipStream_tbEUlT_E_NS1_11comp_targetILNS1_3genE9ELNS1_11target_archE1100ELNS1_3gpuE3ELNS1_3repE0EEENS1_30default_config_static_selectorELNS0_4arch9wavefront6targetE0EEEvS10_
		.amdhsa_group_segment_fixed_size 0
		.amdhsa_private_segment_fixed_size 0
		.amdhsa_kernarg_size 64
		.amdhsa_user_sgpr_count 6
		.amdhsa_user_sgpr_private_segment_buffer 1
		.amdhsa_user_sgpr_dispatch_ptr 0
		.amdhsa_user_sgpr_queue_ptr 0
		.amdhsa_user_sgpr_kernarg_segment_ptr 1
		.amdhsa_user_sgpr_dispatch_id 0
		.amdhsa_user_sgpr_flat_scratch_init 0
		.amdhsa_user_sgpr_private_segment_size 0
		.amdhsa_wavefront_size32 1
		.amdhsa_uses_dynamic_stack 0
		.amdhsa_system_sgpr_private_segment_wavefront_offset 0
		.amdhsa_system_sgpr_workgroup_id_x 1
		.amdhsa_system_sgpr_workgroup_id_y 0
		.amdhsa_system_sgpr_workgroup_id_z 0
		.amdhsa_system_sgpr_workgroup_info 0
		.amdhsa_system_vgpr_workitem_id 0
		.amdhsa_next_free_vgpr 1
		.amdhsa_next_free_sgpr 1
		.amdhsa_reserve_vcc 0
		.amdhsa_reserve_flat_scratch 0
		.amdhsa_float_round_mode_32 0
		.amdhsa_float_round_mode_16_64 0
		.amdhsa_float_denorm_mode_32 3
		.amdhsa_float_denorm_mode_16_64 3
		.amdhsa_dx10_clamp 1
		.amdhsa_ieee_mode 1
		.amdhsa_fp16_overflow 0
		.amdhsa_workgroup_processor_mode 1
		.amdhsa_memory_ordered 1
		.amdhsa_forward_progress 1
		.amdhsa_shared_vgpr_count 0
		.amdhsa_exception_fp_ieee_invalid_op 0
		.amdhsa_exception_fp_denorm_src 0
		.amdhsa_exception_fp_ieee_div_zero 0
		.amdhsa_exception_fp_ieee_overflow 0
		.amdhsa_exception_fp_ieee_underflow 0
		.amdhsa_exception_fp_ieee_inexact 0
		.amdhsa_exception_int_div_zero 0
	.end_amdhsa_kernel
	.section	.text._ZN7rocprim17ROCPRIM_400000_NS6detail17trampoline_kernelINS0_14default_configENS1_21merge_config_selectorINS0_5tupleIJssEEENS0_10empty_typeEEEZNS1_10merge_implIS3_NS0_12zip_iteratorINS5_IJN6thrust23THRUST_200600_302600_NS6detail15normal_iteratorINSC_10device_ptrIKsEEEESI_EEEEESK_NSA_INS5_IJNSE_INSF_IsEEEESM_EEEEEPS7_SP_SP_NSC_11hip_rocprim7__merge17predicate_wrapperIssNSC_7greaterIsEEEEEE10hipError_tPvRmT0_T1_T2_T3_T4_T5_mmT6_P12ihipStream_tbEUlT_E_NS1_11comp_targetILNS1_3genE9ELNS1_11target_archE1100ELNS1_3gpuE3ELNS1_3repE0EEENS1_30default_config_static_selectorELNS0_4arch9wavefront6targetE0EEEvS10_,"axG",@progbits,_ZN7rocprim17ROCPRIM_400000_NS6detail17trampoline_kernelINS0_14default_configENS1_21merge_config_selectorINS0_5tupleIJssEEENS0_10empty_typeEEEZNS1_10merge_implIS3_NS0_12zip_iteratorINS5_IJN6thrust23THRUST_200600_302600_NS6detail15normal_iteratorINSC_10device_ptrIKsEEEESI_EEEEESK_NSA_INS5_IJNSE_INSF_IsEEEESM_EEEEEPS7_SP_SP_NSC_11hip_rocprim7__merge17predicate_wrapperIssNSC_7greaterIsEEEEEE10hipError_tPvRmT0_T1_T2_T3_T4_T5_mmT6_P12ihipStream_tbEUlT_E_NS1_11comp_targetILNS1_3genE9ELNS1_11target_archE1100ELNS1_3gpuE3ELNS1_3repE0EEENS1_30default_config_static_selectorELNS0_4arch9wavefront6targetE0EEEvS10_,comdat
.Lfunc_end450:
	.size	_ZN7rocprim17ROCPRIM_400000_NS6detail17trampoline_kernelINS0_14default_configENS1_21merge_config_selectorINS0_5tupleIJssEEENS0_10empty_typeEEEZNS1_10merge_implIS3_NS0_12zip_iteratorINS5_IJN6thrust23THRUST_200600_302600_NS6detail15normal_iteratorINSC_10device_ptrIKsEEEESI_EEEEESK_NSA_INS5_IJNSE_INSF_IsEEEESM_EEEEEPS7_SP_SP_NSC_11hip_rocprim7__merge17predicate_wrapperIssNSC_7greaterIsEEEEEE10hipError_tPvRmT0_T1_T2_T3_T4_T5_mmT6_P12ihipStream_tbEUlT_E_NS1_11comp_targetILNS1_3genE9ELNS1_11target_archE1100ELNS1_3gpuE3ELNS1_3repE0EEENS1_30default_config_static_selectorELNS0_4arch9wavefront6targetE0EEEvS10_, .Lfunc_end450-_ZN7rocprim17ROCPRIM_400000_NS6detail17trampoline_kernelINS0_14default_configENS1_21merge_config_selectorINS0_5tupleIJssEEENS0_10empty_typeEEEZNS1_10merge_implIS3_NS0_12zip_iteratorINS5_IJN6thrust23THRUST_200600_302600_NS6detail15normal_iteratorINSC_10device_ptrIKsEEEESI_EEEEESK_NSA_INS5_IJNSE_INSF_IsEEEESM_EEEEEPS7_SP_SP_NSC_11hip_rocprim7__merge17predicate_wrapperIssNSC_7greaterIsEEEEEE10hipError_tPvRmT0_T1_T2_T3_T4_T5_mmT6_P12ihipStream_tbEUlT_E_NS1_11comp_targetILNS1_3genE9ELNS1_11target_archE1100ELNS1_3gpuE3ELNS1_3repE0EEENS1_30default_config_static_selectorELNS0_4arch9wavefront6targetE0EEEvS10_
                                        ; -- End function
	.set _ZN7rocprim17ROCPRIM_400000_NS6detail17trampoline_kernelINS0_14default_configENS1_21merge_config_selectorINS0_5tupleIJssEEENS0_10empty_typeEEEZNS1_10merge_implIS3_NS0_12zip_iteratorINS5_IJN6thrust23THRUST_200600_302600_NS6detail15normal_iteratorINSC_10device_ptrIKsEEEESI_EEEEESK_NSA_INS5_IJNSE_INSF_IsEEEESM_EEEEEPS7_SP_SP_NSC_11hip_rocprim7__merge17predicate_wrapperIssNSC_7greaterIsEEEEEE10hipError_tPvRmT0_T1_T2_T3_T4_T5_mmT6_P12ihipStream_tbEUlT_E_NS1_11comp_targetILNS1_3genE9ELNS1_11target_archE1100ELNS1_3gpuE3ELNS1_3repE0EEENS1_30default_config_static_selectorELNS0_4arch9wavefront6targetE0EEEvS10_.num_vgpr, 0
	.set _ZN7rocprim17ROCPRIM_400000_NS6detail17trampoline_kernelINS0_14default_configENS1_21merge_config_selectorINS0_5tupleIJssEEENS0_10empty_typeEEEZNS1_10merge_implIS3_NS0_12zip_iteratorINS5_IJN6thrust23THRUST_200600_302600_NS6detail15normal_iteratorINSC_10device_ptrIKsEEEESI_EEEEESK_NSA_INS5_IJNSE_INSF_IsEEEESM_EEEEEPS7_SP_SP_NSC_11hip_rocprim7__merge17predicate_wrapperIssNSC_7greaterIsEEEEEE10hipError_tPvRmT0_T1_T2_T3_T4_T5_mmT6_P12ihipStream_tbEUlT_E_NS1_11comp_targetILNS1_3genE9ELNS1_11target_archE1100ELNS1_3gpuE3ELNS1_3repE0EEENS1_30default_config_static_selectorELNS0_4arch9wavefront6targetE0EEEvS10_.num_agpr, 0
	.set _ZN7rocprim17ROCPRIM_400000_NS6detail17trampoline_kernelINS0_14default_configENS1_21merge_config_selectorINS0_5tupleIJssEEENS0_10empty_typeEEEZNS1_10merge_implIS3_NS0_12zip_iteratorINS5_IJN6thrust23THRUST_200600_302600_NS6detail15normal_iteratorINSC_10device_ptrIKsEEEESI_EEEEESK_NSA_INS5_IJNSE_INSF_IsEEEESM_EEEEEPS7_SP_SP_NSC_11hip_rocprim7__merge17predicate_wrapperIssNSC_7greaterIsEEEEEE10hipError_tPvRmT0_T1_T2_T3_T4_T5_mmT6_P12ihipStream_tbEUlT_E_NS1_11comp_targetILNS1_3genE9ELNS1_11target_archE1100ELNS1_3gpuE3ELNS1_3repE0EEENS1_30default_config_static_selectorELNS0_4arch9wavefront6targetE0EEEvS10_.numbered_sgpr, 0
	.set _ZN7rocprim17ROCPRIM_400000_NS6detail17trampoline_kernelINS0_14default_configENS1_21merge_config_selectorINS0_5tupleIJssEEENS0_10empty_typeEEEZNS1_10merge_implIS3_NS0_12zip_iteratorINS5_IJN6thrust23THRUST_200600_302600_NS6detail15normal_iteratorINSC_10device_ptrIKsEEEESI_EEEEESK_NSA_INS5_IJNSE_INSF_IsEEEESM_EEEEEPS7_SP_SP_NSC_11hip_rocprim7__merge17predicate_wrapperIssNSC_7greaterIsEEEEEE10hipError_tPvRmT0_T1_T2_T3_T4_T5_mmT6_P12ihipStream_tbEUlT_E_NS1_11comp_targetILNS1_3genE9ELNS1_11target_archE1100ELNS1_3gpuE3ELNS1_3repE0EEENS1_30default_config_static_selectorELNS0_4arch9wavefront6targetE0EEEvS10_.num_named_barrier, 0
	.set _ZN7rocprim17ROCPRIM_400000_NS6detail17trampoline_kernelINS0_14default_configENS1_21merge_config_selectorINS0_5tupleIJssEEENS0_10empty_typeEEEZNS1_10merge_implIS3_NS0_12zip_iteratorINS5_IJN6thrust23THRUST_200600_302600_NS6detail15normal_iteratorINSC_10device_ptrIKsEEEESI_EEEEESK_NSA_INS5_IJNSE_INSF_IsEEEESM_EEEEEPS7_SP_SP_NSC_11hip_rocprim7__merge17predicate_wrapperIssNSC_7greaterIsEEEEEE10hipError_tPvRmT0_T1_T2_T3_T4_T5_mmT6_P12ihipStream_tbEUlT_E_NS1_11comp_targetILNS1_3genE9ELNS1_11target_archE1100ELNS1_3gpuE3ELNS1_3repE0EEENS1_30default_config_static_selectorELNS0_4arch9wavefront6targetE0EEEvS10_.private_seg_size, 0
	.set _ZN7rocprim17ROCPRIM_400000_NS6detail17trampoline_kernelINS0_14default_configENS1_21merge_config_selectorINS0_5tupleIJssEEENS0_10empty_typeEEEZNS1_10merge_implIS3_NS0_12zip_iteratorINS5_IJN6thrust23THRUST_200600_302600_NS6detail15normal_iteratorINSC_10device_ptrIKsEEEESI_EEEEESK_NSA_INS5_IJNSE_INSF_IsEEEESM_EEEEEPS7_SP_SP_NSC_11hip_rocprim7__merge17predicate_wrapperIssNSC_7greaterIsEEEEEE10hipError_tPvRmT0_T1_T2_T3_T4_T5_mmT6_P12ihipStream_tbEUlT_E_NS1_11comp_targetILNS1_3genE9ELNS1_11target_archE1100ELNS1_3gpuE3ELNS1_3repE0EEENS1_30default_config_static_selectorELNS0_4arch9wavefront6targetE0EEEvS10_.uses_vcc, 0
	.set _ZN7rocprim17ROCPRIM_400000_NS6detail17trampoline_kernelINS0_14default_configENS1_21merge_config_selectorINS0_5tupleIJssEEENS0_10empty_typeEEEZNS1_10merge_implIS3_NS0_12zip_iteratorINS5_IJN6thrust23THRUST_200600_302600_NS6detail15normal_iteratorINSC_10device_ptrIKsEEEESI_EEEEESK_NSA_INS5_IJNSE_INSF_IsEEEESM_EEEEEPS7_SP_SP_NSC_11hip_rocprim7__merge17predicate_wrapperIssNSC_7greaterIsEEEEEE10hipError_tPvRmT0_T1_T2_T3_T4_T5_mmT6_P12ihipStream_tbEUlT_E_NS1_11comp_targetILNS1_3genE9ELNS1_11target_archE1100ELNS1_3gpuE3ELNS1_3repE0EEENS1_30default_config_static_selectorELNS0_4arch9wavefront6targetE0EEEvS10_.uses_flat_scratch, 0
	.set _ZN7rocprim17ROCPRIM_400000_NS6detail17trampoline_kernelINS0_14default_configENS1_21merge_config_selectorINS0_5tupleIJssEEENS0_10empty_typeEEEZNS1_10merge_implIS3_NS0_12zip_iteratorINS5_IJN6thrust23THRUST_200600_302600_NS6detail15normal_iteratorINSC_10device_ptrIKsEEEESI_EEEEESK_NSA_INS5_IJNSE_INSF_IsEEEESM_EEEEEPS7_SP_SP_NSC_11hip_rocprim7__merge17predicate_wrapperIssNSC_7greaterIsEEEEEE10hipError_tPvRmT0_T1_T2_T3_T4_T5_mmT6_P12ihipStream_tbEUlT_E_NS1_11comp_targetILNS1_3genE9ELNS1_11target_archE1100ELNS1_3gpuE3ELNS1_3repE0EEENS1_30default_config_static_selectorELNS0_4arch9wavefront6targetE0EEEvS10_.has_dyn_sized_stack, 0
	.set _ZN7rocprim17ROCPRIM_400000_NS6detail17trampoline_kernelINS0_14default_configENS1_21merge_config_selectorINS0_5tupleIJssEEENS0_10empty_typeEEEZNS1_10merge_implIS3_NS0_12zip_iteratorINS5_IJN6thrust23THRUST_200600_302600_NS6detail15normal_iteratorINSC_10device_ptrIKsEEEESI_EEEEESK_NSA_INS5_IJNSE_INSF_IsEEEESM_EEEEEPS7_SP_SP_NSC_11hip_rocprim7__merge17predicate_wrapperIssNSC_7greaterIsEEEEEE10hipError_tPvRmT0_T1_T2_T3_T4_T5_mmT6_P12ihipStream_tbEUlT_E_NS1_11comp_targetILNS1_3genE9ELNS1_11target_archE1100ELNS1_3gpuE3ELNS1_3repE0EEENS1_30default_config_static_selectorELNS0_4arch9wavefront6targetE0EEEvS10_.has_recursion, 0
	.set _ZN7rocprim17ROCPRIM_400000_NS6detail17trampoline_kernelINS0_14default_configENS1_21merge_config_selectorINS0_5tupleIJssEEENS0_10empty_typeEEEZNS1_10merge_implIS3_NS0_12zip_iteratorINS5_IJN6thrust23THRUST_200600_302600_NS6detail15normal_iteratorINSC_10device_ptrIKsEEEESI_EEEEESK_NSA_INS5_IJNSE_INSF_IsEEEESM_EEEEEPS7_SP_SP_NSC_11hip_rocprim7__merge17predicate_wrapperIssNSC_7greaterIsEEEEEE10hipError_tPvRmT0_T1_T2_T3_T4_T5_mmT6_P12ihipStream_tbEUlT_E_NS1_11comp_targetILNS1_3genE9ELNS1_11target_archE1100ELNS1_3gpuE3ELNS1_3repE0EEENS1_30default_config_static_selectorELNS0_4arch9wavefront6targetE0EEEvS10_.has_indirect_call, 0
	.section	.AMDGPU.csdata,"",@progbits
; Kernel info:
; codeLenInByte = 0
; TotalNumSgprs: 0
; NumVgprs: 0
; ScratchSize: 0
; MemoryBound: 0
; FloatMode: 240
; IeeeMode: 1
; LDSByteSize: 0 bytes/workgroup (compile time only)
; SGPRBlocks: 0
; VGPRBlocks: 0
; NumSGPRsForWavesPerEU: 1
; NumVGPRsForWavesPerEU: 1
; Occupancy: 16
; WaveLimiterHint : 0
; COMPUTE_PGM_RSRC2:SCRATCH_EN: 0
; COMPUTE_PGM_RSRC2:USER_SGPR: 6
; COMPUTE_PGM_RSRC2:TRAP_HANDLER: 0
; COMPUTE_PGM_RSRC2:TGID_X_EN: 1
; COMPUTE_PGM_RSRC2:TGID_Y_EN: 0
; COMPUTE_PGM_RSRC2:TGID_Z_EN: 0
; COMPUTE_PGM_RSRC2:TIDIG_COMP_CNT: 0
	.section	.text._ZN7rocprim17ROCPRIM_400000_NS6detail17trampoline_kernelINS0_14default_configENS1_21merge_config_selectorINS0_5tupleIJssEEENS0_10empty_typeEEEZNS1_10merge_implIS3_NS0_12zip_iteratorINS5_IJN6thrust23THRUST_200600_302600_NS6detail15normal_iteratorINSC_10device_ptrIKsEEEESI_EEEEESK_NSA_INS5_IJNSE_INSF_IsEEEESM_EEEEEPS7_SP_SP_NSC_11hip_rocprim7__merge17predicate_wrapperIssNSC_7greaterIsEEEEEE10hipError_tPvRmT0_T1_T2_T3_T4_T5_mmT6_P12ihipStream_tbEUlT_E_NS1_11comp_targetILNS1_3genE8ELNS1_11target_archE1030ELNS1_3gpuE2ELNS1_3repE0EEENS1_30default_config_static_selectorELNS0_4arch9wavefront6targetE0EEEvS10_,"axG",@progbits,_ZN7rocprim17ROCPRIM_400000_NS6detail17trampoline_kernelINS0_14default_configENS1_21merge_config_selectorINS0_5tupleIJssEEENS0_10empty_typeEEEZNS1_10merge_implIS3_NS0_12zip_iteratorINS5_IJN6thrust23THRUST_200600_302600_NS6detail15normal_iteratorINSC_10device_ptrIKsEEEESI_EEEEESK_NSA_INS5_IJNSE_INSF_IsEEEESM_EEEEEPS7_SP_SP_NSC_11hip_rocprim7__merge17predicate_wrapperIssNSC_7greaterIsEEEEEE10hipError_tPvRmT0_T1_T2_T3_T4_T5_mmT6_P12ihipStream_tbEUlT_E_NS1_11comp_targetILNS1_3genE8ELNS1_11target_archE1030ELNS1_3gpuE2ELNS1_3repE0EEENS1_30default_config_static_selectorELNS0_4arch9wavefront6targetE0EEEvS10_,comdat
	.protected	_ZN7rocprim17ROCPRIM_400000_NS6detail17trampoline_kernelINS0_14default_configENS1_21merge_config_selectorINS0_5tupleIJssEEENS0_10empty_typeEEEZNS1_10merge_implIS3_NS0_12zip_iteratorINS5_IJN6thrust23THRUST_200600_302600_NS6detail15normal_iteratorINSC_10device_ptrIKsEEEESI_EEEEESK_NSA_INS5_IJNSE_INSF_IsEEEESM_EEEEEPS7_SP_SP_NSC_11hip_rocprim7__merge17predicate_wrapperIssNSC_7greaterIsEEEEEE10hipError_tPvRmT0_T1_T2_T3_T4_T5_mmT6_P12ihipStream_tbEUlT_E_NS1_11comp_targetILNS1_3genE8ELNS1_11target_archE1030ELNS1_3gpuE2ELNS1_3repE0EEENS1_30default_config_static_selectorELNS0_4arch9wavefront6targetE0EEEvS10_ ; -- Begin function _ZN7rocprim17ROCPRIM_400000_NS6detail17trampoline_kernelINS0_14default_configENS1_21merge_config_selectorINS0_5tupleIJssEEENS0_10empty_typeEEEZNS1_10merge_implIS3_NS0_12zip_iteratorINS5_IJN6thrust23THRUST_200600_302600_NS6detail15normal_iteratorINSC_10device_ptrIKsEEEESI_EEEEESK_NSA_INS5_IJNSE_INSF_IsEEEESM_EEEEEPS7_SP_SP_NSC_11hip_rocprim7__merge17predicate_wrapperIssNSC_7greaterIsEEEEEE10hipError_tPvRmT0_T1_T2_T3_T4_T5_mmT6_P12ihipStream_tbEUlT_E_NS1_11comp_targetILNS1_3genE8ELNS1_11target_archE1030ELNS1_3gpuE2ELNS1_3repE0EEENS1_30default_config_static_selectorELNS0_4arch9wavefront6targetE0EEEvS10_
	.globl	_ZN7rocprim17ROCPRIM_400000_NS6detail17trampoline_kernelINS0_14default_configENS1_21merge_config_selectorINS0_5tupleIJssEEENS0_10empty_typeEEEZNS1_10merge_implIS3_NS0_12zip_iteratorINS5_IJN6thrust23THRUST_200600_302600_NS6detail15normal_iteratorINSC_10device_ptrIKsEEEESI_EEEEESK_NSA_INS5_IJNSE_INSF_IsEEEESM_EEEEEPS7_SP_SP_NSC_11hip_rocprim7__merge17predicate_wrapperIssNSC_7greaterIsEEEEEE10hipError_tPvRmT0_T1_T2_T3_T4_T5_mmT6_P12ihipStream_tbEUlT_E_NS1_11comp_targetILNS1_3genE8ELNS1_11target_archE1030ELNS1_3gpuE2ELNS1_3repE0EEENS1_30default_config_static_selectorELNS0_4arch9wavefront6targetE0EEEvS10_
	.p2align	8
	.type	_ZN7rocprim17ROCPRIM_400000_NS6detail17trampoline_kernelINS0_14default_configENS1_21merge_config_selectorINS0_5tupleIJssEEENS0_10empty_typeEEEZNS1_10merge_implIS3_NS0_12zip_iteratorINS5_IJN6thrust23THRUST_200600_302600_NS6detail15normal_iteratorINSC_10device_ptrIKsEEEESI_EEEEESK_NSA_INS5_IJNSE_INSF_IsEEEESM_EEEEEPS7_SP_SP_NSC_11hip_rocprim7__merge17predicate_wrapperIssNSC_7greaterIsEEEEEE10hipError_tPvRmT0_T1_T2_T3_T4_T5_mmT6_P12ihipStream_tbEUlT_E_NS1_11comp_targetILNS1_3genE8ELNS1_11target_archE1030ELNS1_3gpuE2ELNS1_3repE0EEENS1_30default_config_static_selectorELNS0_4arch9wavefront6targetE0EEEvS10_,@function
_ZN7rocprim17ROCPRIM_400000_NS6detail17trampoline_kernelINS0_14default_configENS1_21merge_config_selectorINS0_5tupleIJssEEENS0_10empty_typeEEEZNS1_10merge_implIS3_NS0_12zip_iteratorINS5_IJN6thrust23THRUST_200600_302600_NS6detail15normal_iteratorINSC_10device_ptrIKsEEEESI_EEEEESK_NSA_INS5_IJNSE_INSF_IsEEEESM_EEEEEPS7_SP_SP_NSC_11hip_rocprim7__merge17predicate_wrapperIssNSC_7greaterIsEEEEEE10hipError_tPvRmT0_T1_T2_T3_T4_T5_mmT6_P12ihipStream_tbEUlT_E_NS1_11comp_targetILNS1_3genE8ELNS1_11target_archE1030ELNS1_3gpuE2ELNS1_3repE0EEENS1_30default_config_static_selectorELNS0_4arch9wavefront6targetE0EEEvS10_: ; @_ZN7rocprim17ROCPRIM_400000_NS6detail17trampoline_kernelINS0_14default_configENS1_21merge_config_selectorINS0_5tupleIJssEEENS0_10empty_typeEEEZNS1_10merge_implIS3_NS0_12zip_iteratorINS5_IJN6thrust23THRUST_200600_302600_NS6detail15normal_iteratorINSC_10device_ptrIKsEEEESI_EEEEESK_NSA_INS5_IJNSE_INSF_IsEEEESM_EEEEEPS7_SP_SP_NSC_11hip_rocprim7__merge17predicate_wrapperIssNSC_7greaterIsEEEEEE10hipError_tPvRmT0_T1_T2_T3_T4_T5_mmT6_P12ihipStream_tbEUlT_E_NS1_11comp_targetILNS1_3genE8ELNS1_11target_archE1030ELNS1_3gpuE2ELNS1_3repE0EEENS1_30default_config_static_selectorELNS0_4arch9wavefront6targetE0EEEvS10_
; %bb.0:
	s_clause 0x2
	s_load_dword s2, s[4:5], 0x38
	s_load_dword s0, s[4:5], 0x4c
	s_load_dwordx4 s[12:15], s[4:5], 0x28
	s_waitcnt lgkmcnt(0)
	v_cvt_f32_u32_e32 v1, s2
	s_and_b32 s3, s0, 0xffff
	s_add_u32 s0, s14, s12
	s_addc_u32 s1, s15, s13
	s_sub_i32 s8, 0, s2
	v_rcp_iflag_f32_e32 v1, v1
	s_add_i32 s9, s2, s0
	s_add_i32 s9, s9, -1
	v_mul_f32_e32 v1, 0x4f7ffffe, v1
	v_cvt_u32_f32_e32 v1, v1
	v_readfirstlane_b32 s7, v1
	v_mad_u64_u32 v[0:1], null, s6, s3, v[0:1]
	s_mul_i32 s8, s8, s7
	s_mul_hi_u32 s8, s7, s8
	s_add_i32 s7, s7, s8
	s_mul_hi_u32 s7, s9, s7
	s_mul_i32 s8, s7, s2
	s_sub_i32 s8, s9, s8
	s_add_i32 s9, s7, 1
	s_sub_i32 s10, s8, s2
	s_cmp_ge_u32 s8, s2
	s_cselect_b32 s3, s9, s7
	s_cselect_b32 s6, s10, s8
	s_add_i32 s7, s3, 1
	s_cmp_ge_u32 s6, s2
	s_cselect_b32 s3, s7, s3
	v_cmp_ge_u32_e32 vcc_lo, s3, v0
	s_and_saveexec_b32 s3, vcc_lo
	s_cbranch_execz .LBB451_6
; %bb.1:
	v_mul_lo_u32 v1, v0, s2
	v_mov_b32_e32 v2, 0
	s_load_dwordx4 s[8:11], s[4:5], 0x0
	v_cmp_gt_u64_e32 vcc_lo, s[0:1], v[1:2]
	v_cndmask_b32_e32 v6, s0, v1, vcc_lo
	v_cndmask_b32_e64 v7, s1, 0, vcc_lo
	v_sub_co_u32 v1, vcc_lo, v6, s14
	v_subrev_co_ci_u32_e64 v2, null, s15, v7, vcc_lo
	v_cmp_gt_u64_e64 s0, s[12:13], v[6:7]
	v_cmp_gt_u64_e32 vcc_lo, v[1:2], v[6:7]
	v_cndmask_b32_e64 v5, s13, v7, s0
	v_cndmask_b32_e64 v4, s12, v6, s0
	s_mov_b32 s0, exec_lo
	v_cndmask_b32_e64 v3, v2, 0, vcc_lo
	v_cndmask_b32_e64 v2, v1, 0, vcc_lo
	v_cmpx_lt_u64_e64 v[2:3], v[4:5]
	s_cbranch_execz .LBB451_5
; %bb.2:
	s_load_dwordx2 s[2:3], s[4:5], 0x18
	v_lshlrev_b64 v[6:7], 1, v[6:7]
	s_mov_b32 s1, 0
	s_waitcnt lgkmcnt(0)
	v_add_co_u32 v1, vcc_lo, s2, v6
	v_add_co_ci_u32_e64 v6, null, s3, v7, vcc_lo
	s_inst_prefetch 0x1
	.p2align	6
.LBB451_3:                              ; =>This Inner Loop Header: Depth=1
	v_add_co_u32 v7, vcc_lo, v4, v2
	v_add_co_ci_u32_e64 v8, null, v5, v3, vcc_lo
	v_and_b32_e32 v9, -2, v7
	v_xor_b32_e32 v12, -1, v8
	v_xor_b32_e32 v11, -2, v9
	v_add_co_u32 v9, vcc_lo, s10, v9
	v_add_co_ci_u32_e64 v10, null, s11, v8, vcc_lo
	v_add_co_u32 v11, vcc_lo, v1, v11
	v_add_co_ci_u32_e64 v12, null, v6, v12, vcc_lo
	v_lshrrev_b64 v[7:8], 1, v[7:8]
	global_load_ushort v9, v[9:10], off
	global_load_ushort v10, v[11:12], off
	v_add_co_u32 v11, vcc_lo, v7, 1
	v_add_co_ci_u32_e64 v12, null, 0, v8, vcc_lo
	s_waitcnt vmcnt(0)
	v_cmp_gt_i16_e32 vcc_lo, v10, v9
	v_cndmask_b32_e32 v5, v5, v8, vcc_lo
	v_cndmask_b32_e32 v4, v4, v7, vcc_lo
	v_cndmask_b32_e32 v3, v12, v3, vcc_lo
	v_cndmask_b32_e32 v2, v11, v2, vcc_lo
	v_cmp_ge_u64_e32 vcc_lo, v[2:3], v[4:5]
	s_or_b32 s1, vcc_lo, s1
	s_andn2_b32 exec_lo, exec_lo, s1
	s_cbranch_execnz .LBB451_3
; %bb.4:
	s_inst_prefetch 0x2
	s_or_b32 exec_lo, exec_lo, s1
.LBB451_5:
	s_or_b32 exec_lo, exec_lo, s0
	v_mov_b32_e32 v1, 0
	v_lshlrev_b64 v[0:1], 2, v[0:1]
	s_waitcnt lgkmcnt(0)
	v_add_co_u32 v0, vcc_lo, s8, v0
	v_add_co_ci_u32_e64 v1, null, s9, v1, vcc_lo
	global_store_dword v[0:1], v2, off
.LBB451_6:
	s_endpgm
	.section	.rodata,"a",@progbits
	.p2align	6, 0x0
	.amdhsa_kernel _ZN7rocprim17ROCPRIM_400000_NS6detail17trampoline_kernelINS0_14default_configENS1_21merge_config_selectorINS0_5tupleIJssEEENS0_10empty_typeEEEZNS1_10merge_implIS3_NS0_12zip_iteratorINS5_IJN6thrust23THRUST_200600_302600_NS6detail15normal_iteratorINSC_10device_ptrIKsEEEESI_EEEEESK_NSA_INS5_IJNSE_INSF_IsEEEESM_EEEEEPS7_SP_SP_NSC_11hip_rocprim7__merge17predicate_wrapperIssNSC_7greaterIsEEEEEE10hipError_tPvRmT0_T1_T2_T3_T4_T5_mmT6_P12ihipStream_tbEUlT_E_NS1_11comp_targetILNS1_3genE8ELNS1_11target_archE1030ELNS1_3gpuE2ELNS1_3repE0EEENS1_30default_config_static_selectorELNS0_4arch9wavefront6targetE0EEEvS10_
		.amdhsa_group_segment_fixed_size 0
		.amdhsa_private_segment_fixed_size 0
		.amdhsa_kernarg_size 320
		.amdhsa_user_sgpr_count 6
		.amdhsa_user_sgpr_private_segment_buffer 1
		.amdhsa_user_sgpr_dispatch_ptr 0
		.amdhsa_user_sgpr_queue_ptr 0
		.amdhsa_user_sgpr_kernarg_segment_ptr 1
		.amdhsa_user_sgpr_dispatch_id 0
		.amdhsa_user_sgpr_flat_scratch_init 0
		.amdhsa_user_sgpr_private_segment_size 0
		.amdhsa_wavefront_size32 1
		.amdhsa_uses_dynamic_stack 0
		.amdhsa_system_sgpr_private_segment_wavefront_offset 0
		.amdhsa_system_sgpr_workgroup_id_x 1
		.amdhsa_system_sgpr_workgroup_id_y 0
		.amdhsa_system_sgpr_workgroup_id_z 0
		.amdhsa_system_sgpr_workgroup_info 0
		.amdhsa_system_vgpr_workitem_id 0
		.amdhsa_next_free_vgpr 13
		.amdhsa_next_free_sgpr 16
		.amdhsa_reserve_vcc 1
		.amdhsa_reserve_flat_scratch 0
		.amdhsa_float_round_mode_32 0
		.amdhsa_float_round_mode_16_64 0
		.amdhsa_float_denorm_mode_32 3
		.amdhsa_float_denorm_mode_16_64 3
		.amdhsa_dx10_clamp 1
		.amdhsa_ieee_mode 1
		.amdhsa_fp16_overflow 0
		.amdhsa_workgroup_processor_mode 1
		.amdhsa_memory_ordered 1
		.amdhsa_forward_progress 1
		.amdhsa_shared_vgpr_count 0
		.amdhsa_exception_fp_ieee_invalid_op 0
		.amdhsa_exception_fp_denorm_src 0
		.amdhsa_exception_fp_ieee_div_zero 0
		.amdhsa_exception_fp_ieee_overflow 0
		.amdhsa_exception_fp_ieee_underflow 0
		.amdhsa_exception_fp_ieee_inexact 0
		.amdhsa_exception_int_div_zero 0
	.end_amdhsa_kernel
	.section	.text._ZN7rocprim17ROCPRIM_400000_NS6detail17trampoline_kernelINS0_14default_configENS1_21merge_config_selectorINS0_5tupleIJssEEENS0_10empty_typeEEEZNS1_10merge_implIS3_NS0_12zip_iteratorINS5_IJN6thrust23THRUST_200600_302600_NS6detail15normal_iteratorINSC_10device_ptrIKsEEEESI_EEEEESK_NSA_INS5_IJNSE_INSF_IsEEEESM_EEEEEPS7_SP_SP_NSC_11hip_rocprim7__merge17predicate_wrapperIssNSC_7greaterIsEEEEEE10hipError_tPvRmT0_T1_T2_T3_T4_T5_mmT6_P12ihipStream_tbEUlT_E_NS1_11comp_targetILNS1_3genE8ELNS1_11target_archE1030ELNS1_3gpuE2ELNS1_3repE0EEENS1_30default_config_static_selectorELNS0_4arch9wavefront6targetE0EEEvS10_,"axG",@progbits,_ZN7rocprim17ROCPRIM_400000_NS6detail17trampoline_kernelINS0_14default_configENS1_21merge_config_selectorINS0_5tupleIJssEEENS0_10empty_typeEEEZNS1_10merge_implIS3_NS0_12zip_iteratorINS5_IJN6thrust23THRUST_200600_302600_NS6detail15normal_iteratorINSC_10device_ptrIKsEEEESI_EEEEESK_NSA_INS5_IJNSE_INSF_IsEEEESM_EEEEEPS7_SP_SP_NSC_11hip_rocprim7__merge17predicate_wrapperIssNSC_7greaterIsEEEEEE10hipError_tPvRmT0_T1_T2_T3_T4_T5_mmT6_P12ihipStream_tbEUlT_E_NS1_11comp_targetILNS1_3genE8ELNS1_11target_archE1030ELNS1_3gpuE2ELNS1_3repE0EEENS1_30default_config_static_selectorELNS0_4arch9wavefront6targetE0EEEvS10_,comdat
.Lfunc_end451:
	.size	_ZN7rocprim17ROCPRIM_400000_NS6detail17trampoline_kernelINS0_14default_configENS1_21merge_config_selectorINS0_5tupleIJssEEENS0_10empty_typeEEEZNS1_10merge_implIS3_NS0_12zip_iteratorINS5_IJN6thrust23THRUST_200600_302600_NS6detail15normal_iteratorINSC_10device_ptrIKsEEEESI_EEEEESK_NSA_INS5_IJNSE_INSF_IsEEEESM_EEEEEPS7_SP_SP_NSC_11hip_rocprim7__merge17predicate_wrapperIssNSC_7greaterIsEEEEEE10hipError_tPvRmT0_T1_T2_T3_T4_T5_mmT6_P12ihipStream_tbEUlT_E_NS1_11comp_targetILNS1_3genE8ELNS1_11target_archE1030ELNS1_3gpuE2ELNS1_3repE0EEENS1_30default_config_static_selectorELNS0_4arch9wavefront6targetE0EEEvS10_, .Lfunc_end451-_ZN7rocprim17ROCPRIM_400000_NS6detail17trampoline_kernelINS0_14default_configENS1_21merge_config_selectorINS0_5tupleIJssEEENS0_10empty_typeEEEZNS1_10merge_implIS3_NS0_12zip_iteratorINS5_IJN6thrust23THRUST_200600_302600_NS6detail15normal_iteratorINSC_10device_ptrIKsEEEESI_EEEEESK_NSA_INS5_IJNSE_INSF_IsEEEESM_EEEEEPS7_SP_SP_NSC_11hip_rocprim7__merge17predicate_wrapperIssNSC_7greaterIsEEEEEE10hipError_tPvRmT0_T1_T2_T3_T4_T5_mmT6_P12ihipStream_tbEUlT_E_NS1_11comp_targetILNS1_3genE8ELNS1_11target_archE1030ELNS1_3gpuE2ELNS1_3repE0EEENS1_30default_config_static_selectorELNS0_4arch9wavefront6targetE0EEEvS10_
                                        ; -- End function
	.set _ZN7rocprim17ROCPRIM_400000_NS6detail17trampoline_kernelINS0_14default_configENS1_21merge_config_selectorINS0_5tupleIJssEEENS0_10empty_typeEEEZNS1_10merge_implIS3_NS0_12zip_iteratorINS5_IJN6thrust23THRUST_200600_302600_NS6detail15normal_iteratorINSC_10device_ptrIKsEEEESI_EEEEESK_NSA_INS5_IJNSE_INSF_IsEEEESM_EEEEEPS7_SP_SP_NSC_11hip_rocprim7__merge17predicate_wrapperIssNSC_7greaterIsEEEEEE10hipError_tPvRmT0_T1_T2_T3_T4_T5_mmT6_P12ihipStream_tbEUlT_E_NS1_11comp_targetILNS1_3genE8ELNS1_11target_archE1030ELNS1_3gpuE2ELNS1_3repE0EEENS1_30default_config_static_selectorELNS0_4arch9wavefront6targetE0EEEvS10_.num_vgpr, 13
	.set _ZN7rocprim17ROCPRIM_400000_NS6detail17trampoline_kernelINS0_14default_configENS1_21merge_config_selectorINS0_5tupleIJssEEENS0_10empty_typeEEEZNS1_10merge_implIS3_NS0_12zip_iteratorINS5_IJN6thrust23THRUST_200600_302600_NS6detail15normal_iteratorINSC_10device_ptrIKsEEEESI_EEEEESK_NSA_INS5_IJNSE_INSF_IsEEEESM_EEEEEPS7_SP_SP_NSC_11hip_rocprim7__merge17predicate_wrapperIssNSC_7greaterIsEEEEEE10hipError_tPvRmT0_T1_T2_T3_T4_T5_mmT6_P12ihipStream_tbEUlT_E_NS1_11comp_targetILNS1_3genE8ELNS1_11target_archE1030ELNS1_3gpuE2ELNS1_3repE0EEENS1_30default_config_static_selectorELNS0_4arch9wavefront6targetE0EEEvS10_.num_agpr, 0
	.set _ZN7rocprim17ROCPRIM_400000_NS6detail17trampoline_kernelINS0_14default_configENS1_21merge_config_selectorINS0_5tupleIJssEEENS0_10empty_typeEEEZNS1_10merge_implIS3_NS0_12zip_iteratorINS5_IJN6thrust23THRUST_200600_302600_NS6detail15normal_iteratorINSC_10device_ptrIKsEEEESI_EEEEESK_NSA_INS5_IJNSE_INSF_IsEEEESM_EEEEEPS7_SP_SP_NSC_11hip_rocprim7__merge17predicate_wrapperIssNSC_7greaterIsEEEEEE10hipError_tPvRmT0_T1_T2_T3_T4_T5_mmT6_P12ihipStream_tbEUlT_E_NS1_11comp_targetILNS1_3genE8ELNS1_11target_archE1030ELNS1_3gpuE2ELNS1_3repE0EEENS1_30default_config_static_selectorELNS0_4arch9wavefront6targetE0EEEvS10_.numbered_sgpr, 16
	.set _ZN7rocprim17ROCPRIM_400000_NS6detail17trampoline_kernelINS0_14default_configENS1_21merge_config_selectorINS0_5tupleIJssEEENS0_10empty_typeEEEZNS1_10merge_implIS3_NS0_12zip_iteratorINS5_IJN6thrust23THRUST_200600_302600_NS6detail15normal_iteratorINSC_10device_ptrIKsEEEESI_EEEEESK_NSA_INS5_IJNSE_INSF_IsEEEESM_EEEEEPS7_SP_SP_NSC_11hip_rocprim7__merge17predicate_wrapperIssNSC_7greaterIsEEEEEE10hipError_tPvRmT0_T1_T2_T3_T4_T5_mmT6_P12ihipStream_tbEUlT_E_NS1_11comp_targetILNS1_3genE8ELNS1_11target_archE1030ELNS1_3gpuE2ELNS1_3repE0EEENS1_30default_config_static_selectorELNS0_4arch9wavefront6targetE0EEEvS10_.num_named_barrier, 0
	.set _ZN7rocprim17ROCPRIM_400000_NS6detail17trampoline_kernelINS0_14default_configENS1_21merge_config_selectorINS0_5tupleIJssEEENS0_10empty_typeEEEZNS1_10merge_implIS3_NS0_12zip_iteratorINS5_IJN6thrust23THRUST_200600_302600_NS6detail15normal_iteratorINSC_10device_ptrIKsEEEESI_EEEEESK_NSA_INS5_IJNSE_INSF_IsEEEESM_EEEEEPS7_SP_SP_NSC_11hip_rocprim7__merge17predicate_wrapperIssNSC_7greaterIsEEEEEE10hipError_tPvRmT0_T1_T2_T3_T4_T5_mmT6_P12ihipStream_tbEUlT_E_NS1_11comp_targetILNS1_3genE8ELNS1_11target_archE1030ELNS1_3gpuE2ELNS1_3repE0EEENS1_30default_config_static_selectorELNS0_4arch9wavefront6targetE0EEEvS10_.private_seg_size, 0
	.set _ZN7rocprim17ROCPRIM_400000_NS6detail17trampoline_kernelINS0_14default_configENS1_21merge_config_selectorINS0_5tupleIJssEEENS0_10empty_typeEEEZNS1_10merge_implIS3_NS0_12zip_iteratorINS5_IJN6thrust23THRUST_200600_302600_NS6detail15normal_iteratorINSC_10device_ptrIKsEEEESI_EEEEESK_NSA_INS5_IJNSE_INSF_IsEEEESM_EEEEEPS7_SP_SP_NSC_11hip_rocprim7__merge17predicate_wrapperIssNSC_7greaterIsEEEEEE10hipError_tPvRmT0_T1_T2_T3_T4_T5_mmT6_P12ihipStream_tbEUlT_E_NS1_11comp_targetILNS1_3genE8ELNS1_11target_archE1030ELNS1_3gpuE2ELNS1_3repE0EEENS1_30default_config_static_selectorELNS0_4arch9wavefront6targetE0EEEvS10_.uses_vcc, 1
	.set _ZN7rocprim17ROCPRIM_400000_NS6detail17trampoline_kernelINS0_14default_configENS1_21merge_config_selectorINS0_5tupleIJssEEENS0_10empty_typeEEEZNS1_10merge_implIS3_NS0_12zip_iteratorINS5_IJN6thrust23THRUST_200600_302600_NS6detail15normal_iteratorINSC_10device_ptrIKsEEEESI_EEEEESK_NSA_INS5_IJNSE_INSF_IsEEEESM_EEEEEPS7_SP_SP_NSC_11hip_rocprim7__merge17predicate_wrapperIssNSC_7greaterIsEEEEEE10hipError_tPvRmT0_T1_T2_T3_T4_T5_mmT6_P12ihipStream_tbEUlT_E_NS1_11comp_targetILNS1_3genE8ELNS1_11target_archE1030ELNS1_3gpuE2ELNS1_3repE0EEENS1_30default_config_static_selectorELNS0_4arch9wavefront6targetE0EEEvS10_.uses_flat_scratch, 0
	.set _ZN7rocprim17ROCPRIM_400000_NS6detail17trampoline_kernelINS0_14default_configENS1_21merge_config_selectorINS0_5tupleIJssEEENS0_10empty_typeEEEZNS1_10merge_implIS3_NS0_12zip_iteratorINS5_IJN6thrust23THRUST_200600_302600_NS6detail15normal_iteratorINSC_10device_ptrIKsEEEESI_EEEEESK_NSA_INS5_IJNSE_INSF_IsEEEESM_EEEEEPS7_SP_SP_NSC_11hip_rocprim7__merge17predicate_wrapperIssNSC_7greaterIsEEEEEE10hipError_tPvRmT0_T1_T2_T3_T4_T5_mmT6_P12ihipStream_tbEUlT_E_NS1_11comp_targetILNS1_3genE8ELNS1_11target_archE1030ELNS1_3gpuE2ELNS1_3repE0EEENS1_30default_config_static_selectorELNS0_4arch9wavefront6targetE0EEEvS10_.has_dyn_sized_stack, 0
	.set _ZN7rocprim17ROCPRIM_400000_NS6detail17trampoline_kernelINS0_14default_configENS1_21merge_config_selectorINS0_5tupleIJssEEENS0_10empty_typeEEEZNS1_10merge_implIS3_NS0_12zip_iteratorINS5_IJN6thrust23THRUST_200600_302600_NS6detail15normal_iteratorINSC_10device_ptrIKsEEEESI_EEEEESK_NSA_INS5_IJNSE_INSF_IsEEEESM_EEEEEPS7_SP_SP_NSC_11hip_rocprim7__merge17predicate_wrapperIssNSC_7greaterIsEEEEEE10hipError_tPvRmT0_T1_T2_T3_T4_T5_mmT6_P12ihipStream_tbEUlT_E_NS1_11comp_targetILNS1_3genE8ELNS1_11target_archE1030ELNS1_3gpuE2ELNS1_3repE0EEENS1_30default_config_static_selectorELNS0_4arch9wavefront6targetE0EEEvS10_.has_recursion, 0
	.set _ZN7rocprim17ROCPRIM_400000_NS6detail17trampoline_kernelINS0_14default_configENS1_21merge_config_selectorINS0_5tupleIJssEEENS0_10empty_typeEEEZNS1_10merge_implIS3_NS0_12zip_iteratorINS5_IJN6thrust23THRUST_200600_302600_NS6detail15normal_iteratorINSC_10device_ptrIKsEEEESI_EEEEESK_NSA_INS5_IJNSE_INSF_IsEEEESM_EEEEEPS7_SP_SP_NSC_11hip_rocprim7__merge17predicate_wrapperIssNSC_7greaterIsEEEEEE10hipError_tPvRmT0_T1_T2_T3_T4_T5_mmT6_P12ihipStream_tbEUlT_E_NS1_11comp_targetILNS1_3genE8ELNS1_11target_archE1030ELNS1_3gpuE2ELNS1_3repE0EEENS1_30default_config_static_selectorELNS0_4arch9wavefront6targetE0EEEvS10_.has_indirect_call, 0
	.section	.AMDGPU.csdata,"",@progbits
; Kernel info:
; codeLenInByte = 516
; TotalNumSgprs: 18
; NumVgprs: 13
; ScratchSize: 0
; MemoryBound: 0
; FloatMode: 240
; IeeeMode: 1
; LDSByteSize: 0 bytes/workgroup (compile time only)
; SGPRBlocks: 0
; VGPRBlocks: 1
; NumSGPRsForWavesPerEU: 18
; NumVGPRsForWavesPerEU: 13
; Occupancy: 16
; WaveLimiterHint : 0
; COMPUTE_PGM_RSRC2:SCRATCH_EN: 0
; COMPUTE_PGM_RSRC2:USER_SGPR: 6
; COMPUTE_PGM_RSRC2:TRAP_HANDLER: 0
; COMPUTE_PGM_RSRC2:TGID_X_EN: 1
; COMPUTE_PGM_RSRC2:TGID_Y_EN: 0
; COMPUTE_PGM_RSRC2:TGID_Z_EN: 0
; COMPUTE_PGM_RSRC2:TIDIG_COMP_CNT: 0
	.section	.text._ZN7rocprim17ROCPRIM_400000_NS6detail17trampoline_kernelINS0_14default_configENS1_21merge_config_selectorINS0_5tupleIJssEEENS0_10empty_typeEEEZNS1_10merge_implIS3_NS0_12zip_iteratorINS5_IJN6thrust23THRUST_200600_302600_NS6detail15normal_iteratorINSC_10device_ptrIKsEEEESI_EEEEESK_NSA_INS5_IJNSE_INSF_IsEEEESM_EEEEEPS7_SP_SP_NSC_11hip_rocprim7__merge17predicate_wrapperIssNSC_7greaterIsEEEEEE10hipError_tPvRmT0_T1_T2_T3_T4_T5_mmT6_P12ihipStream_tbEUlT_E0_NS1_11comp_targetILNS1_3genE0ELNS1_11target_archE4294967295ELNS1_3gpuE0ELNS1_3repE0EEENS1_30default_config_static_selectorELNS0_4arch9wavefront6targetE0EEEvS10_,"axG",@progbits,_ZN7rocprim17ROCPRIM_400000_NS6detail17trampoline_kernelINS0_14default_configENS1_21merge_config_selectorINS0_5tupleIJssEEENS0_10empty_typeEEEZNS1_10merge_implIS3_NS0_12zip_iteratorINS5_IJN6thrust23THRUST_200600_302600_NS6detail15normal_iteratorINSC_10device_ptrIKsEEEESI_EEEEESK_NSA_INS5_IJNSE_INSF_IsEEEESM_EEEEEPS7_SP_SP_NSC_11hip_rocprim7__merge17predicate_wrapperIssNSC_7greaterIsEEEEEE10hipError_tPvRmT0_T1_T2_T3_T4_T5_mmT6_P12ihipStream_tbEUlT_E0_NS1_11comp_targetILNS1_3genE0ELNS1_11target_archE4294967295ELNS1_3gpuE0ELNS1_3repE0EEENS1_30default_config_static_selectorELNS0_4arch9wavefront6targetE0EEEvS10_,comdat
	.protected	_ZN7rocprim17ROCPRIM_400000_NS6detail17trampoline_kernelINS0_14default_configENS1_21merge_config_selectorINS0_5tupleIJssEEENS0_10empty_typeEEEZNS1_10merge_implIS3_NS0_12zip_iteratorINS5_IJN6thrust23THRUST_200600_302600_NS6detail15normal_iteratorINSC_10device_ptrIKsEEEESI_EEEEESK_NSA_INS5_IJNSE_INSF_IsEEEESM_EEEEEPS7_SP_SP_NSC_11hip_rocprim7__merge17predicate_wrapperIssNSC_7greaterIsEEEEEE10hipError_tPvRmT0_T1_T2_T3_T4_T5_mmT6_P12ihipStream_tbEUlT_E0_NS1_11comp_targetILNS1_3genE0ELNS1_11target_archE4294967295ELNS1_3gpuE0ELNS1_3repE0EEENS1_30default_config_static_selectorELNS0_4arch9wavefront6targetE0EEEvS10_ ; -- Begin function _ZN7rocprim17ROCPRIM_400000_NS6detail17trampoline_kernelINS0_14default_configENS1_21merge_config_selectorINS0_5tupleIJssEEENS0_10empty_typeEEEZNS1_10merge_implIS3_NS0_12zip_iteratorINS5_IJN6thrust23THRUST_200600_302600_NS6detail15normal_iteratorINSC_10device_ptrIKsEEEESI_EEEEESK_NSA_INS5_IJNSE_INSF_IsEEEESM_EEEEEPS7_SP_SP_NSC_11hip_rocprim7__merge17predicate_wrapperIssNSC_7greaterIsEEEEEE10hipError_tPvRmT0_T1_T2_T3_T4_T5_mmT6_P12ihipStream_tbEUlT_E0_NS1_11comp_targetILNS1_3genE0ELNS1_11target_archE4294967295ELNS1_3gpuE0ELNS1_3repE0EEENS1_30default_config_static_selectorELNS0_4arch9wavefront6targetE0EEEvS10_
	.globl	_ZN7rocprim17ROCPRIM_400000_NS6detail17trampoline_kernelINS0_14default_configENS1_21merge_config_selectorINS0_5tupleIJssEEENS0_10empty_typeEEEZNS1_10merge_implIS3_NS0_12zip_iteratorINS5_IJN6thrust23THRUST_200600_302600_NS6detail15normal_iteratorINSC_10device_ptrIKsEEEESI_EEEEESK_NSA_INS5_IJNSE_INSF_IsEEEESM_EEEEEPS7_SP_SP_NSC_11hip_rocprim7__merge17predicate_wrapperIssNSC_7greaterIsEEEEEE10hipError_tPvRmT0_T1_T2_T3_T4_T5_mmT6_P12ihipStream_tbEUlT_E0_NS1_11comp_targetILNS1_3genE0ELNS1_11target_archE4294967295ELNS1_3gpuE0ELNS1_3repE0EEENS1_30default_config_static_selectorELNS0_4arch9wavefront6targetE0EEEvS10_
	.p2align	8
	.type	_ZN7rocprim17ROCPRIM_400000_NS6detail17trampoline_kernelINS0_14default_configENS1_21merge_config_selectorINS0_5tupleIJssEEENS0_10empty_typeEEEZNS1_10merge_implIS3_NS0_12zip_iteratorINS5_IJN6thrust23THRUST_200600_302600_NS6detail15normal_iteratorINSC_10device_ptrIKsEEEESI_EEEEESK_NSA_INS5_IJNSE_INSF_IsEEEESM_EEEEEPS7_SP_SP_NSC_11hip_rocprim7__merge17predicate_wrapperIssNSC_7greaterIsEEEEEE10hipError_tPvRmT0_T1_T2_T3_T4_T5_mmT6_P12ihipStream_tbEUlT_E0_NS1_11comp_targetILNS1_3genE0ELNS1_11target_archE4294967295ELNS1_3gpuE0ELNS1_3repE0EEENS1_30default_config_static_selectorELNS0_4arch9wavefront6targetE0EEEvS10_,@function
_ZN7rocprim17ROCPRIM_400000_NS6detail17trampoline_kernelINS0_14default_configENS1_21merge_config_selectorINS0_5tupleIJssEEENS0_10empty_typeEEEZNS1_10merge_implIS3_NS0_12zip_iteratorINS5_IJN6thrust23THRUST_200600_302600_NS6detail15normal_iteratorINSC_10device_ptrIKsEEEESI_EEEEESK_NSA_INS5_IJNSE_INSF_IsEEEESM_EEEEEPS7_SP_SP_NSC_11hip_rocprim7__merge17predicate_wrapperIssNSC_7greaterIsEEEEEE10hipError_tPvRmT0_T1_T2_T3_T4_T5_mmT6_P12ihipStream_tbEUlT_E0_NS1_11comp_targetILNS1_3genE0ELNS1_11target_archE4294967295ELNS1_3gpuE0ELNS1_3repE0EEENS1_30default_config_static_selectorELNS0_4arch9wavefront6targetE0EEEvS10_: ; @_ZN7rocprim17ROCPRIM_400000_NS6detail17trampoline_kernelINS0_14default_configENS1_21merge_config_selectorINS0_5tupleIJssEEENS0_10empty_typeEEEZNS1_10merge_implIS3_NS0_12zip_iteratorINS5_IJN6thrust23THRUST_200600_302600_NS6detail15normal_iteratorINSC_10device_ptrIKsEEEESI_EEEEESK_NSA_INS5_IJNSE_INSF_IsEEEESM_EEEEEPS7_SP_SP_NSC_11hip_rocprim7__merge17predicate_wrapperIssNSC_7greaterIsEEEEEE10hipError_tPvRmT0_T1_T2_T3_T4_T5_mmT6_P12ihipStream_tbEUlT_E0_NS1_11comp_targetILNS1_3genE0ELNS1_11target_archE4294967295ELNS1_3gpuE0ELNS1_3repE0EEENS1_30default_config_static_selectorELNS0_4arch9wavefront6targetE0EEEvS10_
; %bb.0:
	.section	.rodata,"a",@progbits
	.p2align	6, 0x0
	.amdhsa_kernel _ZN7rocprim17ROCPRIM_400000_NS6detail17trampoline_kernelINS0_14default_configENS1_21merge_config_selectorINS0_5tupleIJssEEENS0_10empty_typeEEEZNS1_10merge_implIS3_NS0_12zip_iteratorINS5_IJN6thrust23THRUST_200600_302600_NS6detail15normal_iteratorINSC_10device_ptrIKsEEEESI_EEEEESK_NSA_INS5_IJNSE_INSF_IsEEEESM_EEEEEPS7_SP_SP_NSC_11hip_rocprim7__merge17predicate_wrapperIssNSC_7greaterIsEEEEEE10hipError_tPvRmT0_T1_T2_T3_T4_T5_mmT6_P12ihipStream_tbEUlT_E0_NS1_11comp_targetILNS1_3genE0ELNS1_11target_archE4294967295ELNS1_3gpuE0ELNS1_3repE0EEENS1_30default_config_static_selectorELNS0_4arch9wavefront6targetE0EEEvS10_
		.amdhsa_group_segment_fixed_size 0
		.amdhsa_private_segment_fixed_size 0
		.amdhsa_kernarg_size 112
		.amdhsa_user_sgpr_count 6
		.amdhsa_user_sgpr_private_segment_buffer 1
		.amdhsa_user_sgpr_dispatch_ptr 0
		.amdhsa_user_sgpr_queue_ptr 0
		.amdhsa_user_sgpr_kernarg_segment_ptr 1
		.amdhsa_user_sgpr_dispatch_id 0
		.amdhsa_user_sgpr_flat_scratch_init 0
		.amdhsa_user_sgpr_private_segment_size 0
		.amdhsa_wavefront_size32 1
		.amdhsa_uses_dynamic_stack 0
		.amdhsa_system_sgpr_private_segment_wavefront_offset 0
		.amdhsa_system_sgpr_workgroup_id_x 1
		.amdhsa_system_sgpr_workgroup_id_y 0
		.amdhsa_system_sgpr_workgroup_id_z 0
		.amdhsa_system_sgpr_workgroup_info 0
		.amdhsa_system_vgpr_workitem_id 0
		.amdhsa_next_free_vgpr 1
		.amdhsa_next_free_sgpr 1
		.amdhsa_reserve_vcc 0
		.amdhsa_reserve_flat_scratch 0
		.amdhsa_float_round_mode_32 0
		.amdhsa_float_round_mode_16_64 0
		.amdhsa_float_denorm_mode_32 3
		.amdhsa_float_denorm_mode_16_64 3
		.amdhsa_dx10_clamp 1
		.amdhsa_ieee_mode 1
		.amdhsa_fp16_overflow 0
		.amdhsa_workgroup_processor_mode 1
		.amdhsa_memory_ordered 1
		.amdhsa_forward_progress 1
		.amdhsa_shared_vgpr_count 0
		.amdhsa_exception_fp_ieee_invalid_op 0
		.amdhsa_exception_fp_denorm_src 0
		.amdhsa_exception_fp_ieee_div_zero 0
		.amdhsa_exception_fp_ieee_overflow 0
		.amdhsa_exception_fp_ieee_underflow 0
		.amdhsa_exception_fp_ieee_inexact 0
		.amdhsa_exception_int_div_zero 0
	.end_amdhsa_kernel
	.section	.text._ZN7rocprim17ROCPRIM_400000_NS6detail17trampoline_kernelINS0_14default_configENS1_21merge_config_selectorINS0_5tupleIJssEEENS0_10empty_typeEEEZNS1_10merge_implIS3_NS0_12zip_iteratorINS5_IJN6thrust23THRUST_200600_302600_NS6detail15normal_iteratorINSC_10device_ptrIKsEEEESI_EEEEESK_NSA_INS5_IJNSE_INSF_IsEEEESM_EEEEEPS7_SP_SP_NSC_11hip_rocprim7__merge17predicate_wrapperIssNSC_7greaterIsEEEEEE10hipError_tPvRmT0_T1_T2_T3_T4_T5_mmT6_P12ihipStream_tbEUlT_E0_NS1_11comp_targetILNS1_3genE0ELNS1_11target_archE4294967295ELNS1_3gpuE0ELNS1_3repE0EEENS1_30default_config_static_selectorELNS0_4arch9wavefront6targetE0EEEvS10_,"axG",@progbits,_ZN7rocprim17ROCPRIM_400000_NS6detail17trampoline_kernelINS0_14default_configENS1_21merge_config_selectorINS0_5tupleIJssEEENS0_10empty_typeEEEZNS1_10merge_implIS3_NS0_12zip_iteratorINS5_IJN6thrust23THRUST_200600_302600_NS6detail15normal_iteratorINSC_10device_ptrIKsEEEESI_EEEEESK_NSA_INS5_IJNSE_INSF_IsEEEESM_EEEEEPS7_SP_SP_NSC_11hip_rocprim7__merge17predicate_wrapperIssNSC_7greaterIsEEEEEE10hipError_tPvRmT0_T1_T2_T3_T4_T5_mmT6_P12ihipStream_tbEUlT_E0_NS1_11comp_targetILNS1_3genE0ELNS1_11target_archE4294967295ELNS1_3gpuE0ELNS1_3repE0EEENS1_30default_config_static_selectorELNS0_4arch9wavefront6targetE0EEEvS10_,comdat
.Lfunc_end452:
	.size	_ZN7rocprim17ROCPRIM_400000_NS6detail17trampoline_kernelINS0_14default_configENS1_21merge_config_selectorINS0_5tupleIJssEEENS0_10empty_typeEEEZNS1_10merge_implIS3_NS0_12zip_iteratorINS5_IJN6thrust23THRUST_200600_302600_NS6detail15normal_iteratorINSC_10device_ptrIKsEEEESI_EEEEESK_NSA_INS5_IJNSE_INSF_IsEEEESM_EEEEEPS7_SP_SP_NSC_11hip_rocprim7__merge17predicate_wrapperIssNSC_7greaterIsEEEEEE10hipError_tPvRmT0_T1_T2_T3_T4_T5_mmT6_P12ihipStream_tbEUlT_E0_NS1_11comp_targetILNS1_3genE0ELNS1_11target_archE4294967295ELNS1_3gpuE0ELNS1_3repE0EEENS1_30default_config_static_selectorELNS0_4arch9wavefront6targetE0EEEvS10_, .Lfunc_end452-_ZN7rocprim17ROCPRIM_400000_NS6detail17trampoline_kernelINS0_14default_configENS1_21merge_config_selectorINS0_5tupleIJssEEENS0_10empty_typeEEEZNS1_10merge_implIS3_NS0_12zip_iteratorINS5_IJN6thrust23THRUST_200600_302600_NS6detail15normal_iteratorINSC_10device_ptrIKsEEEESI_EEEEESK_NSA_INS5_IJNSE_INSF_IsEEEESM_EEEEEPS7_SP_SP_NSC_11hip_rocprim7__merge17predicate_wrapperIssNSC_7greaterIsEEEEEE10hipError_tPvRmT0_T1_T2_T3_T4_T5_mmT6_P12ihipStream_tbEUlT_E0_NS1_11comp_targetILNS1_3genE0ELNS1_11target_archE4294967295ELNS1_3gpuE0ELNS1_3repE0EEENS1_30default_config_static_selectorELNS0_4arch9wavefront6targetE0EEEvS10_
                                        ; -- End function
	.set _ZN7rocprim17ROCPRIM_400000_NS6detail17trampoline_kernelINS0_14default_configENS1_21merge_config_selectorINS0_5tupleIJssEEENS0_10empty_typeEEEZNS1_10merge_implIS3_NS0_12zip_iteratorINS5_IJN6thrust23THRUST_200600_302600_NS6detail15normal_iteratorINSC_10device_ptrIKsEEEESI_EEEEESK_NSA_INS5_IJNSE_INSF_IsEEEESM_EEEEEPS7_SP_SP_NSC_11hip_rocprim7__merge17predicate_wrapperIssNSC_7greaterIsEEEEEE10hipError_tPvRmT0_T1_T2_T3_T4_T5_mmT6_P12ihipStream_tbEUlT_E0_NS1_11comp_targetILNS1_3genE0ELNS1_11target_archE4294967295ELNS1_3gpuE0ELNS1_3repE0EEENS1_30default_config_static_selectorELNS0_4arch9wavefront6targetE0EEEvS10_.num_vgpr, 0
	.set _ZN7rocprim17ROCPRIM_400000_NS6detail17trampoline_kernelINS0_14default_configENS1_21merge_config_selectorINS0_5tupleIJssEEENS0_10empty_typeEEEZNS1_10merge_implIS3_NS0_12zip_iteratorINS5_IJN6thrust23THRUST_200600_302600_NS6detail15normal_iteratorINSC_10device_ptrIKsEEEESI_EEEEESK_NSA_INS5_IJNSE_INSF_IsEEEESM_EEEEEPS7_SP_SP_NSC_11hip_rocprim7__merge17predicate_wrapperIssNSC_7greaterIsEEEEEE10hipError_tPvRmT0_T1_T2_T3_T4_T5_mmT6_P12ihipStream_tbEUlT_E0_NS1_11comp_targetILNS1_3genE0ELNS1_11target_archE4294967295ELNS1_3gpuE0ELNS1_3repE0EEENS1_30default_config_static_selectorELNS0_4arch9wavefront6targetE0EEEvS10_.num_agpr, 0
	.set _ZN7rocprim17ROCPRIM_400000_NS6detail17trampoline_kernelINS0_14default_configENS1_21merge_config_selectorINS0_5tupleIJssEEENS0_10empty_typeEEEZNS1_10merge_implIS3_NS0_12zip_iteratorINS5_IJN6thrust23THRUST_200600_302600_NS6detail15normal_iteratorINSC_10device_ptrIKsEEEESI_EEEEESK_NSA_INS5_IJNSE_INSF_IsEEEESM_EEEEEPS7_SP_SP_NSC_11hip_rocprim7__merge17predicate_wrapperIssNSC_7greaterIsEEEEEE10hipError_tPvRmT0_T1_T2_T3_T4_T5_mmT6_P12ihipStream_tbEUlT_E0_NS1_11comp_targetILNS1_3genE0ELNS1_11target_archE4294967295ELNS1_3gpuE0ELNS1_3repE0EEENS1_30default_config_static_selectorELNS0_4arch9wavefront6targetE0EEEvS10_.numbered_sgpr, 0
	.set _ZN7rocprim17ROCPRIM_400000_NS6detail17trampoline_kernelINS0_14default_configENS1_21merge_config_selectorINS0_5tupleIJssEEENS0_10empty_typeEEEZNS1_10merge_implIS3_NS0_12zip_iteratorINS5_IJN6thrust23THRUST_200600_302600_NS6detail15normal_iteratorINSC_10device_ptrIKsEEEESI_EEEEESK_NSA_INS5_IJNSE_INSF_IsEEEESM_EEEEEPS7_SP_SP_NSC_11hip_rocprim7__merge17predicate_wrapperIssNSC_7greaterIsEEEEEE10hipError_tPvRmT0_T1_T2_T3_T4_T5_mmT6_P12ihipStream_tbEUlT_E0_NS1_11comp_targetILNS1_3genE0ELNS1_11target_archE4294967295ELNS1_3gpuE0ELNS1_3repE0EEENS1_30default_config_static_selectorELNS0_4arch9wavefront6targetE0EEEvS10_.num_named_barrier, 0
	.set _ZN7rocprim17ROCPRIM_400000_NS6detail17trampoline_kernelINS0_14default_configENS1_21merge_config_selectorINS0_5tupleIJssEEENS0_10empty_typeEEEZNS1_10merge_implIS3_NS0_12zip_iteratorINS5_IJN6thrust23THRUST_200600_302600_NS6detail15normal_iteratorINSC_10device_ptrIKsEEEESI_EEEEESK_NSA_INS5_IJNSE_INSF_IsEEEESM_EEEEEPS7_SP_SP_NSC_11hip_rocprim7__merge17predicate_wrapperIssNSC_7greaterIsEEEEEE10hipError_tPvRmT0_T1_T2_T3_T4_T5_mmT6_P12ihipStream_tbEUlT_E0_NS1_11comp_targetILNS1_3genE0ELNS1_11target_archE4294967295ELNS1_3gpuE0ELNS1_3repE0EEENS1_30default_config_static_selectorELNS0_4arch9wavefront6targetE0EEEvS10_.private_seg_size, 0
	.set _ZN7rocprim17ROCPRIM_400000_NS6detail17trampoline_kernelINS0_14default_configENS1_21merge_config_selectorINS0_5tupleIJssEEENS0_10empty_typeEEEZNS1_10merge_implIS3_NS0_12zip_iteratorINS5_IJN6thrust23THRUST_200600_302600_NS6detail15normal_iteratorINSC_10device_ptrIKsEEEESI_EEEEESK_NSA_INS5_IJNSE_INSF_IsEEEESM_EEEEEPS7_SP_SP_NSC_11hip_rocprim7__merge17predicate_wrapperIssNSC_7greaterIsEEEEEE10hipError_tPvRmT0_T1_T2_T3_T4_T5_mmT6_P12ihipStream_tbEUlT_E0_NS1_11comp_targetILNS1_3genE0ELNS1_11target_archE4294967295ELNS1_3gpuE0ELNS1_3repE0EEENS1_30default_config_static_selectorELNS0_4arch9wavefront6targetE0EEEvS10_.uses_vcc, 0
	.set _ZN7rocprim17ROCPRIM_400000_NS6detail17trampoline_kernelINS0_14default_configENS1_21merge_config_selectorINS0_5tupleIJssEEENS0_10empty_typeEEEZNS1_10merge_implIS3_NS0_12zip_iteratorINS5_IJN6thrust23THRUST_200600_302600_NS6detail15normal_iteratorINSC_10device_ptrIKsEEEESI_EEEEESK_NSA_INS5_IJNSE_INSF_IsEEEESM_EEEEEPS7_SP_SP_NSC_11hip_rocprim7__merge17predicate_wrapperIssNSC_7greaterIsEEEEEE10hipError_tPvRmT0_T1_T2_T3_T4_T5_mmT6_P12ihipStream_tbEUlT_E0_NS1_11comp_targetILNS1_3genE0ELNS1_11target_archE4294967295ELNS1_3gpuE0ELNS1_3repE0EEENS1_30default_config_static_selectorELNS0_4arch9wavefront6targetE0EEEvS10_.uses_flat_scratch, 0
	.set _ZN7rocprim17ROCPRIM_400000_NS6detail17trampoline_kernelINS0_14default_configENS1_21merge_config_selectorINS0_5tupleIJssEEENS0_10empty_typeEEEZNS1_10merge_implIS3_NS0_12zip_iteratorINS5_IJN6thrust23THRUST_200600_302600_NS6detail15normal_iteratorINSC_10device_ptrIKsEEEESI_EEEEESK_NSA_INS5_IJNSE_INSF_IsEEEESM_EEEEEPS7_SP_SP_NSC_11hip_rocprim7__merge17predicate_wrapperIssNSC_7greaterIsEEEEEE10hipError_tPvRmT0_T1_T2_T3_T4_T5_mmT6_P12ihipStream_tbEUlT_E0_NS1_11comp_targetILNS1_3genE0ELNS1_11target_archE4294967295ELNS1_3gpuE0ELNS1_3repE0EEENS1_30default_config_static_selectorELNS0_4arch9wavefront6targetE0EEEvS10_.has_dyn_sized_stack, 0
	.set _ZN7rocprim17ROCPRIM_400000_NS6detail17trampoline_kernelINS0_14default_configENS1_21merge_config_selectorINS0_5tupleIJssEEENS0_10empty_typeEEEZNS1_10merge_implIS3_NS0_12zip_iteratorINS5_IJN6thrust23THRUST_200600_302600_NS6detail15normal_iteratorINSC_10device_ptrIKsEEEESI_EEEEESK_NSA_INS5_IJNSE_INSF_IsEEEESM_EEEEEPS7_SP_SP_NSC_11hip_rocprim7__merge17predicate_wrapperIssNSC_7greaterIsEEEEEE10hipError_tPvRmT0_T1_T2_T3_T4_T5_mmT6_P12ihipStream_tbEUlT_E0_NS1_11comp_targetILNS1_3genE0ELNS1_11target_archE4294967295ELNS1_3gpuE0ELNS1_3repE0EEENS1_30default_config_static_selectorELNS0_4arch9wavefront6targetE0EEEvS10_.has_recursion, 0
	.set _ZN7rocprim17ROCPRIM_400000_NS6detail17trampoline_kernelINS0_14default_configENS1_21merge_config_selectorINS0_5tupleIJssEEENS0_10empty_typeEEEZNS1_10merge_implIS3_NS0_12zip_iteratorINS5_IJN6thrust23THRUST_200600_302600_NS6detail15normal_iteratorINSC_10device_ptrIKsEEEESI_EEEEESK_NSA_INS5_IJNSE_INSF_IsEEEESM_EEEEEPS7_SP_SP_NSC_11hip_rocprim7__merge17predicate_wrapperIssNSC_7greaterIsEEEEEE10hipError_tPvRmT0_T1_T2_T3_T4_T5_mmT6_P12ihipStream_tbEUlT_E0_NS1_11comp_targetILNS1_3genE0ELNS1_11target_archE4294967295ELNS1_3gpuE0ELNS1_3repE0EEENS1_30default_config_static_selectorELNS0_4arch9wavefront6targetE0EEEvS10_.has_indirect_call, 0
	.section	.AMDGPU.csdata,"",@progbits
; Kernel info:
; codeLenInByte = 0
; TotalNumSgprs: 0
; NumVgprs: 0
; ScratchSize: 0
; MemoryBound: 0
; FloatMode: 240
; IeeeMode: 1
; LDSByteSize: 0 bytes/workgroup (compile time only)
; SGPRBlocks: 0
; VGPRBlocks: 0
; NumSGPRsForWavesPerEU: 1
; NumVGPRsForWavesPerEU: 1
; Occupancy: 16
; WaveLimiterHint : 0
; COMPUTE_PGM_RSRC2:SCRATCH_EN: 0
; COMPUTE_PGM_RSRC2:USER_SGPR: 6
; COMPUTE_PGM_RSRC2:TRAP_HANDLER: 0
; COMPUTE_PGM_RSRC2:TGID_X_EN: 1
; COMPUTE_PGM_RSRC2:TGID_Y_EN: 0
; COMPUTE_PGM_RSRC2:TGID_Z_EN: 0
; COMPUTE_PGM_RSRC2:TIDIG_COMP_CNT: 0
	.section	.text._ZN7rocprim17ROCPRIM_400000_NS6detail17trampoline_kernelINS0_14default_configENS1_21merge_config_selectorINS0_5tupleIJssEEENS0_10empty_typeEEEZNS1_10merge_implIS3_NS0_12zip_iteratorINS5_IJN6thrust23THRUST_200600_302600_NS6detail15normal_iteratorINSC_10device_ptrIKsEEEESI_EEEEESK_NSA_INS5_IJNSE_INSF_IsEEEESM_EEEEEPS7_SP_SP_NSC_11hip_rocprim7__merge17predicate_wrapperIssNSC_7greaterIsEEEEEE10hipError_tPvRmT0_T1_T2_T3_T4_T5_mmT6_P12ihipStream_tbEUlT_E0_NS1_11comp_targetILNS1_3genE5ELNS1_11target_archE942ELNS1_3gpuE9ELNS1_3repE0EEENS1_30default_config_static_selectorELNS0_4arch9wavefront6targetE0EEEvS10_,"axG",@progbits,_ZN7rocprim17ROCPRIM_400000_NS6detail17trampoline_kernelINS0_14default_configENS1_21merge_config_selectorINS0_5tupleIJssEEENS0_10empty_typeEEEZNS1_10merge_implIS3_NS0_12zip_iteratorINS5_IJN6thrust23THRUST_200600_302600_NS6detail15normal_iteratorINSC_10device_ptrIKsEEEESI_EEEEESK_NSA_INS5_IJNSE_INSF_IsEEEESM_EEEEEPS7_SP_SP_NSC_11hip_rocprim7__merge17predicate_wrapperIssNSC_7greaterIsEEEEEE10hipError_tPvRmT0_T1_T2_T3_T4_T5_mmT6_P12ihipStream_tbEUlT_E0_NS1_11comp_targetILNS1_3genE5ELNS1_11target_archE942ELNS1_3gpuE9ELNS1_3repE0EEENS1_30default_config_static_selectorELNS0_4arch9wavefront6targetE0EEEvS10_,comdat
	.protected	_ZN7rocprim17ROCPRIM_400000_NS6detail17trampoline_kernelINS0_14default_configENS1_21merge_config_selectorINS0_5tupleIJssEEENS0_10empty_typeEEEZNS1_10merge_implIS3_NS0_12zip_iteratorINS5_IJN6thrust23THRUST_200600_302600_NS6detail15normal_iteratorINSC_10device_ptrIKsEEEESI_EEEEESK_NSA_INS5_IJNSE_INSF_IsEEEESM_EEEEEPS7_SP_SP_NSC_11hip_rocprim7__merge17predicate_wrapperIssNSC_7greaterIsEEEEEE10hipError_tPvRmT0_T1_T2_T3_T4_T5_mmT6_P12ihipStream_tbEUlT_E0_NS1_11comp_targetILNS1_3genE5ELNS1_11target_archE942ELNS1_3gpuE9ELNS1_3repE0EEENS1_30default_config_static_selectorELNS0_4arch9wavefront6targetE0EEEvS10_ ; -- Begin function _ZN7rocprim17ROCPRIM_400000_NS6detail17trampoline_kernelINS0_14default_configENS1_21merge_config_selectorINS0_5tupleIJssEEENS0_10empty_typeEEEZNS1_10merge_implIS3_NS0_12zip_iteratorINS5_IJN6thrust23THRUST_200600_302600_NS6detail15normal_iteratorINSC_10device_ptrIKsEEEESI_EEEEESK_NSA_INS5_IJNSE_INSF_IsEEEESM_EEEEEPS7_SP_SP_NSC_11hip_rocprim7__merge17predicate_wrapperIssNSC_7greaterIsEEEEEE10hipError_tPvRmT0_T1_T2_T3_T4_T5_mmT6_P12ihipStream_tbEUlT_E0_NS1_11comp_targetILNS1_3genE5ELNS1_11target_archE942ELNS1_3gpuE9ELNS1_3repE0EEENS1_30default_config_static_selectorELNS0_4arch9wavefront6targetE0EEEvS10_
	.globl	_ZN7rocprim17ROCPRIM_400000_NS6detail17trampoline_kernelINS0_14default_configENS1_21merge_config_selectorINS0_5tupleIJssEEENS0_10empty_typeEEEZNS1_10merge_implIS3_NS0_12zip_iteratorINS5_IJN6thrust23THRUST_200600_302600_NS6detail15normal_iteratorINSC_10device_ptrIKsEEEESI_EEEEESK_NSA_INS5_IJNSE_INSF_IsEEEESM_EEEEEPS7_SP_SP_NSC_11hip_rocprim7__merge17predicate_wrapperIssNSC_7greaterIsEEEEEE10hipError_tPvRmT0_T1_T2_T3_T4_T5_mmT6_P12ihipStream_tbEUlT_E0_NS1_11comp_targetILNS1_3genE5ELNS1_11target_archE942ELNS1_3gpuE9ELNS1_3repE0EEENS1_30default_config_static_selectorELNS0_4arch9wavefront6targetE0EEEvS10_
	.p2align	8
	.type	_ZN7rocprim17ROCPRIM_400000_NS6detail17trampoline_kernelINS0_14default_configENS1_21merge_config_selectorINS0_5tupleIJssEEENS0_10empty_typeEEEZNS1_10merge_implIS3_NS0_12zip_iteratorINS5_IJN6thrust23THRUST_200600_302600_NS6detail15normal_iteratorINSC_10device_ptrIKsEEEESI_EEEEESK_NSA_INS5_IJNSE_INSF_IsEEEESM_EEEEEPS7_SP_SP_NSC_11hip_rocprim7__merge17predicate_wrapperIssNSC_7greaterIsEEEEEE10hipError_tPvRmT0_T1_T2_T3_T4_T5_mmT6_P12ihipStream_tbEUlT_E0_NS1_11comp_targetILNS1_3genE5ELNS1_11target_archE942ELNS1_3gpuE9ELNS1_3repE0EEENS1_30default_config_static_selectorELNS0_4arch9wavefront6targetE0EEEvS10_,@function
_ZN7rocprim17ROCPRIM_400000_NS6detail17trampoline_kernelINS0_14default_configENS1_21merge_config_selectorINS0_5tupleIJssEEENS0_10empty_typeEEEZNS1_10merge_implIS3_NS0_12zip_iteratorINS5_IJN6thrust23THRUST_200600_302600_NS6detail15normal_iteratorINSC_10device_ptrIKsEEEESI_EEEEESK_NSA_INS5_IJNSE_INSF_IsEEEESM_EEEEEPS7_SP_SP_NSC_11hip_rocprim7__merge17predicate_wrapperIssNSC_7greaterIsEEEEEE10hipError_tPvRmT0_T1_T2_T3_T4_T5_mmT6_P12ihipStream_tbEUlT_E0_NS1_11comp_targetILNS1_3genE5ELNS1_11target_archE942ELNS1_3gpuE9ELNS1_3repE0EEENS1_30default_config_static_selectorELNS0_4arch9wavefront6targetE0EEEvS10_: ; @_ZN7rocprim17ROCPRIM_400000_NS6detail17trampoline_kernelINS0_14default_configENS1_21merge_config_selectorINS0_5tupleIJssEEENS0_10empty_typeEEEZNS1_10merge_implIS3_NS0_12zip_iteratorINS5_IJN6thrust23THRUST_200600_302600_NS6detail15normal_iteratorINSC_10device_ptrIKsEEEESI_EEEEESK_NSA_INS5_IJNSE_INSF_IsEEEESM_EEEEEPS7_SP_SP_NSC_11hip_rocprim7__merge17predicate_wrapperIssNSC_7greaterIsEEEEEE10hipError_tPvRmT0_T1_T2_T3_T4_T5_mmT6_P12ihipStream_tbEUlT_E0_NS1_11comp_targetILNS1_3genE5ELNS1_11target_archE942ELNS1_3gpuE9ELNS1_3repE0EEENS1_30default_config_static_selectorELNS0_4arch9wavefront6targetE0EEEvS10_
; %bb.0:
	.section	.rodata,"a",@progbits
	.p2align	6, 0x0
	.amdhsa_kernel _ZN7rocprim17ROCPRIM_400000_NS6detail17trampoline_kernelINS0_14default_configENS1_21merge_config_selectorINS0_5tupleIJssEEENS0_10empty_typeEEEZNS1_10merge_implIS3_NS0_12zip_iteratorINS5_IJN6thrust23THRUST_200600_302600_NS6detail15normal_iteratorINSC_10device_ptrIKsEEEESI_EEEEESK_NSA_INS5_IJNSE_INSF_IsEEEESM_EEEEEPS7_SP_SP_NSC_11hip_rocprim7__merge17predicate_wrapperIssNSC_7greaterIsEEEEEE10hipError_tPvRmT0_T1_T2_T3_T4_T5_mmT6_P12ihipStream_tbEUlT_E0_NS1_11comp_targetILNS1_3genE5ELNS1_11target_archE942ELNS1_3gpuE9ELNS1_3repE0EEENS1_30default_config_static_selectorELNS0_4arch9wavefront6targetE0EEEvS10_
		.amdhsa_group_segment_fixed_size 0
		.amdhsa_private_segment_fixed_size 0
		.amdhsa_kernarg_size 112
		.amdhsa_user_sgpr_count 6
		.amdhsa_user_sgpr_private_segment_buffer 1
		.amdhsa_user_sgpr_dispatch_ptr 0
		.amdhsa_user_sgpr_queue_ptr 0
		.amdhsa_user_sgpr_kernarg_segment_ptr 1
		.amdhsa_user_sgpr_dispatch_id 0
		.amdhsa_user_sgpr_flat_scratch_init 0
		.amdhsa_user_sgpr_private_segment_size 0
		.amdhsa_wavefront_size32 1
		.amdhsa_uses_dynamic_stack 0
		.amdhsa_system_sgpr_private_segment_wavefront_offset 0
		.amdhsa_system_sgpr_workgroup_id_x 1
		.amdhsa_system_sgpr_workgroup_id_y 0
		.amdhsa_system_sgpr_workgroup_id_z 0
		.amdhsa_system_sgpr_workgroup_info 0
		.amdhsa_system_vgpr_workitem_id 0
		.amdhsa_next_free_vgpr 1
		.amdhsa_next_free_sgpr 1
		.amdhsa_reserve_vcc 0
		.amdhsa_reserve_flat_scratch 0
		.amdhsa_float_round_mode_32 0
		.amdhsa_float_round_mode_16_64 0
		.amdhsa_float_denorm_mode_32 3
		.amdhsa_float_denorm_mode_16_64 3
		.amdhsa_dx10_clamp 1
		.amdhsa_ieee_mode 1
		.amdhsa_fp16_overflow 0
		.amdhsa_workgroup_processor_mode 1
		.amdhsa_memory_ordered 1
		.amdhsa_forward_progress 1
		.amdhsa_shared_vgpr_count 0
		.amdhsa_exception_fp_ieee_invalid_op 0
		.amdhsa_exception_fp_denorm_src 0
		.amdhsa_exception_fp_ieee_div_zero 0
		.amdhsa_exception_fp_ieee_overflow 0
		.amdhsa_exception_fp_ieee_underflow 0
		.amdhsa_exception_fp_ieee_inexact 0
		.amdhsa_exception_int_div_zero 0
	.end_amdhsa_kernel
	.section	.text._ZN7rocprim17ROCPRIM_400000_NS6detail17trampoline_kernelINS0_14default_configENS1_21merge_config_selectorINS0_5tupleIJssEEENS0_10empty_typeEEEZNS1_10merge_implIS3_NS0_12zip_iteratorINS5_IJN6thrust23THRUST_200600_302600_NS6detail15normal_iteratorINSC_10device_ptrIKsEEEESI_EEEEESK_NSA_INS5_IJNSE_INSF_IsEEEESM_EEEEEPS7_SP_SP_NSC_11hip_rocprim7__merge17predicate_wrapperIssNSC_7greaterIsEEEEEE10hipError_tPvRmT0_T1_T2_T3_T4_T5_mmT6_P12ihipStream_tbEUlT_E0_NS1_11comp_targetILNS1_3genE5ELNS1_11target_archE942ELNS1_3gpuE9ELNS1_3repE0EEENS1_30default_config_static_selectorELNS0_4arch9wavefront6targetE0EEEvS10_,"axG",@progbits,_ZN7rocprim17ROCPRIM_400000_NS6detail17trampoline_kernelINS0_14default_configENS1_21merge_config_selectorINS0_5tupleIJssEEENS0_10empty_typeEEEZNS1_10merge_implIS3_NS0_12zip_iteratorINS5_IJN6thrust23THRUST_200600_302600_NS6detail15normal_iteratorINSC_10device_ptrIKsEEEESI_EEEEESK_NSA_INS5_IJNSE_INSF_IsEEEESM_EEEEEPS7_SP_SP_NSC_11hip_rocprim7__merge17predicate_wrapperIssNSC_7greaterIsEEEEEE10hipError_tPvRmT0_T1_T2_T3_T4_T5_mmT6_P12ihipStream_tbEUlT_E0_NS1_11comp_targetILNS1_3genE5ELNS1_11target_archE942ELNS1_3gpuE9ELNS1_3repE0EEENS1_30default_config_static_selectorELNS0_4arch9wavefront6targetE0EEEvS10_,comdat
.Lfunc_end453:
	.size	_ZN7rocprim17ROCPRIM_400000_NS6detail17trampoline_kernelINS0_14default_configENS1_21merge_config_selectorINS0_5tupleIJssEEENS0_10empty_typeEEEZNS1_10merge_implIS3_NS0_12zip_iteratorINS5_IJN6thrust23THRUST_200600_302600_NS6detail15normal_iteratorINSC_10device_ptrIKsEEEESI_EEEEESK_NSA_INS5_IJNSE_INSF_IsEEEESM_EEEEEPS7_SP_SP_NSC_11hip_rocprim7__merge17predicate_wrapperIssNSC_7greaterIsEEEEEE10hipError_tPvRmT0_T1_T2_T3_T4_T5_mmT6_P12ihipStream_tbEUlT_E0_NS1_11comp_targetILNS1_3genE5ELNS1_11target_archE942ELNS1_3gpuE9ELNS1_3repE0EEENS1_30default_config_static_selectorELNS0_4arch9wavefront6targetE0EEEvS10_, .Lfunc_end453-_ZN7rocprim17ROCPRIM_400000_NS6detail17trampoline_kernelINS0_14default_configENS1_21merge_config_selectorINS0_5tupleIJssEEENS0_10empty_typeEEEZNS1_10merge_implIS3_NS0_12zip_iteratorINS5_IJN6thrust23THRUST_200600_302600_NS6detail15normal_iteratorINSC_10device_ptrIKsEEEESI_EEEEESK_NSA_INS5_IJNSE_INSF_IsEEEESM_EEEEEPS7_SP_SP_NSC_11hip_rocprim7__merge17predicate_wrapperIssNSC_7greaterIsEEEEEE10hipError_tPvRmT0_T1_T2_T3_T4_T5_mmT6_P12ihipStream_tbEUlT_E0_NS1_11comp_targetILNS1_3genE5ELNS1_11target_archE942ELNS1_3gpuE9ELNS1_3repE0EEENS1_30default_config_static_selectorELNS0_4arch9wavefront6targetE0EEEvS10_
                                        ; -- End function
	.set _ZN7rocprim17ROCPRIM_400000_NS6detail17trampoline_kernelINS0_14default_configENS1_21merge_config_selectorINS0_5tupleIJssEEENS0_10empty_typeEEEZNS1_10merge_implIS3_NS0_12zip_iteratorINS5_IJN6thrust23THRUST_200600_302600_NS6detail15normal_iteratorINSC_10device_ptrIKsEEEESI_EEEEESK_NSA_INS5_IJNSE_INSF_IsEEEESM_EEEEEPS7_SP_SP_NSC_11hip_rocprim7__merge17predicate_wrapperIssNSC_7greaterIsEEEEEE10hipError_tPvRmT0_T1_T2_T3_T4_T5_mmT6_P12ihipStream_tbEUlT_E0_NS1_11comp_targetILNS1_3genE5ELNS1_11target_archE942ELNS1_3gpuE9ELNS1_3repE0EEENS1_30default_config_static_selectorELNS0_4arch9wavefront6targetE0EEEvS10_.num_vgpr, 0
	.set _ZN7rocprim17ROCPRIM_400000_NS6detail17trampoline_kernelINS0_14default_configENS1_21merge_config_selectorINS0_5tupleIJssEEENS0_10empty_typeEEEZNS1_10merge_implIS3_NS0_12zip_iteratorINS5_IJN6thrust23THRUST_200600_302600_NS6detail15normal_iteratorINSC_10device_ptrIKsEEEESI_EEEEESK_NSA_INS5_IJNSE_INSF_IsEEEESM_EEEEEPS7_SP_SP_NSC_11hip_rocprim7__merge17predicate_wrapperIssNSC_7greaterIsEEEEEE10hipError_tPvRmT0_T1_T2_T3_T4_T5_mmT6_P12ihipStream_tbEUlT_E0_NS1_11comp_targetILNS1_3genE5ELNS1_11target_archE942ELNS1_3gpuE9ELNS1_3repE0EEENS1_30default_config_static_selectorELNS0_4arch9wavefront6targetE0EEEvS10_.num_agpr, 0
	.set _ZN7rocprim17ROCPRIM_400000_NS6detail17trampoline_kernelINS0_14default_configENS1_21merge_config_selectorINS0_5tupleIJssEEENS0_10empty_typeEEEZNS1_10merge_implIS3_NS0_12zip_iteratorINS5_IJN6thrust23THRUST_200600_302600_NS6detail15normal_iteratorINSC_10device_ptrIKsEEEESI_EEEEESK_NSA_INS5_IJNSE_INSF_IsEEEESM_EEEEEPS7_SP_SP_NSC_11hip_rocprim7__merge17predicate_wrapperIssNSC_7greaterIsEEEEEE10hipError_tPvRmT0_T1_T2_T3_T4_T5_mmT6_P12ihipStream_tbEUlT_E0_NS1_11comp_targetILNS1_3genE5ELNS1_11target_archE942ELNS1_3gpuE9ELNS1_3repE0EEENS1_30default_config_static_selectorELNS0_4arch9wavefront6targetE0EEEvS10_.numbered_sgpr, 0
	.set _ZN7rocprim17ROCPRIM_400000_NS6detail17trampoline_kernelINS0_14default_configENS1_21merge_config_selectorINS0_5tupleIJssEEENS0_10empty_typeEEEZNS1_10merge_implIS3_NS0_12zip_iteratorINS5_IJN6thrust23THRUST_200600_302600_NS6detail15normal_iteratorINSC_10device_ptrIKsEEEESI_EEEEESK_NSA_INS5_IJNSE_INSF_IsEEEESM_EEEEEPS7_SP_SP_NSC_11hip_rocprim7__merge17predicate_wrapperIssNSC_7greaterIsEEEEEE10hipError_tPvRmT0_T1_T2_T3_T4_T5_mmT6_P12ihipStream_tbEUlT_E0_NS1_11comp_targetILNS1_3genE5ELNS1_11target_archE942ELNS1_3gpuE9ELNS1_3repE0EEENS1_30default_config_static_selectorELNS0_4arch9wavefront6targetE0EEEvS10_.num_named_barrier, 0
	.set _ZN7rocprim17ROCPRIM_400000_NS6detail17trampoline_kernelINS0_14default_configENS1_21merge_config_selectorINS0_5tupleIJssEEENS0_10empty_typeEEEZNS1_10merge_implIS3_NS0_12zip_iteratorINS5_IJN6thrust23THRUST_200600_302600_NS6detail15normal_iteratorINSC_10device_ptrIKsEEEESI_EEEEESK_NSA_INS5_IJNSE_INSF_IsEEEESM_EEEEEPS7_SP_SP_NSC_11hip_rocprim7__merge17predicate_wrapperIssNSC_7greaterIsEEEEEE10hipError_tPvRmT0_T1_T2_T3_T4_T5_mmT6_P12ihipStream_tbEUlT_E0_NS1_11comp_targetILNS1_3genE5ELNS1_11target_archE942ELNS1_3gpuE9ELNS1_3repE0EEENS1_30default_config_static_selectorELNS0_4arch9wavefront6targetE0EEEvS10_.private_seg_size, 0
	.set _ZN7rocprim17ROCPRIM_400000_NS6detail17trampoline_kernelINS0_14default_configENS1_21merge_config_selectorINS0_5tupleIJssEEENS0_10empty_typeEEEZNS1_10merge_implIS3_NS0_12zip_iteratorINS5_IJN6thrust23THRUST_200600_302600_NS6detail15normal_iteratorINSC_10device_ptrIKsEEEESI_EEEEESK_NSA_INS5_IJNSE_INSF_IsEEEESM_EEEEEPS7_SP_SP_NSC_11hip_rocprim7__merge17predicate_wrapperIssNSC_7greaterIsEEEEEE10hipError_tPvRmT0_T1_T2_T3_T4_T5_mmT6_P12ihipStream_tbEUlT_E0_NS1_11comp_targetILNS1_3genE5ELNS1_11target_archE942ELNS1_3gpuE9ELNS1_3repE0EEENS1_30default_config_static_selectorELNS0_4arch9wavefront6targetE0EEEvS10_.uses_vcc, 0
	.set _ZN7rocprim17ROCPRIM_400000_NS6detail17trampoline_kernelINS0_14default_configENS1_21merge_config_selectorINS0_5tupleIJssEEENS0_10empty_typeEEEZNS1_10merge_implIS3_NS0_12zip_iteratorINS5_IJN6thrust23THRUST_200600_302600_NS6detail15normal_iteratorINSC_10device_ptrIKsEEEESI_EEEEESK_NSA_INS5_IJNSE_INSF_IsEEEESM_EEEEEPS7_SP_SP_NSC_11hip_rocprim7__merge17predicate_wrapperIssNSC_7greaterIsEEEEEE10hipError_tPvRmT0_T1_T2_T3_T4_T5_mmT6_P12ihipStream_tbEUlT_E0_NS1_11comp_targetILNS1_3genE5ELNS1_11target_archE942ELNS1_3gpuE9ELNS1_3repE0EEENS1_30default_config_static_selectorELNS0_4arch9wavefront6targetE0EEEvS10_.uses_flat_scratch, 0
	.set _ZN7rocprim17ROCPRIM_400000_NS6detail17trampoline_kernelINS0_14default_configENS1_21merge_config_selectorINS0_5tupleIJssEEENS0_10empty_typeEEEZNS1_10merge_implIS3_NS0_12zip_iteratorINS5_IJN6thrust23THRUST_200600_302600_NS6detail15normal_iteratorINSC_10device_ptrIKsEEEESI_EEEEESK_NSA_INS5_IJNSE_INSF_IsEEEESM_EEEEEPS7_SP_SP_NSC_11hip_rocprim7__merge17predicate_wrapperIssNSC_7greaterIsEEEEEE10hipError_tPvRmT0_T1_T2_T3_T4_T5_mmT6_P12ihipStream_tbEUlT_E0_NS1_11comp_targetILNS1_3genE5ELNS1_11target_archE942ELNS1_3gpuE9ELNS1_3repE0EEENS1_30default_config_static_selectorELNS0_4arch9wavefront6targetE0EEEvS10_.has_dyn_sized_stack, 0
	.set _ZN7rocprim17ROCPRIM_400000_NS6detail17trampoline_kernelINS0_14default_configENS1_21merge_config_selectorINS0_5tupleIJssEEENS0_10empty_typeEEEZNS1_10merge_implIS3_NS0_12zip_iteratorINS5_IJN6thrust23THRUST_200600_302600_NS6detail15normal_iteratorINSC_10device_ptrIKsEEEESI_EEEEESK_NSA_INS5_IJNSE_INSF_IsEEEESM_EEEEEPS7_SP_SP_NSC_11hip_rocprim7__merge17predicate_wrapperIssNSC_7greaterIsEEEEEE10hipError_tPvRmT0_T1_T2_T3_T4_T5_mmT6_P12ihipStream_tbEUlT_E0_NS1_11comp_targetILNS1_3genE5ELNS1_11target_archE942ELNS1_3gpuE9ELNS1_3repE0EEENS1_30default_config_static_selectorELNS0_4arch9wavefront6targetE0EEEvS10_.has_recursion, 0
	.set _ZN7rocprim17ROCPRIM_400000_NS6detail17trampoline_kernelINS0_14default_configENS1_21merge_config_selectorINS0_5tupleIJssEEENS0_10empty_typeEEEZNS1_10merge_implIS3_NS0_12zip_iteratorINS5_IJN6thrust23THRUST_200600_302600_NS6detail15normal_iteratorINSC_10device_ptrIKsEEEESI_EEEEESK_NSA_INS5_IJNSE_INSF_IsEEEESM_EEEEEPS7_SP_SP_NSC_11hip_rocprim7__merge17predicate_wrapperIssNSC_7greaterIsEEEEEE10hipError_tPvRmT0_T1_T2_T3_T4_T5_mmT6_P12ihipStream_tbEUlT_E0_NS1_11comp_targetILNS1_3genE5ELNS1_11target_archE942ELNS1_3gpuE9ELNS1_3repE0EEENS1_30default_config_static_selectorELNS0_4arch9wavefront6targetE0EEEvS10_.has_indirect_call, 0
	.section	.AMDGPU.csdata,"",@progbits
; Kernel info:
; codeLenInByte = 0
; TotalNumSgprs: 0
; NumVgprs: 0
; ScratchSize: 0
; MemoryBound: 0
; FloatMode: 240
; IeeeMode: 1
; LDSByteSize: 0 bytes/workgroup (compile time only)
; SGPRBlocks: 0
; VGPRBlocks: 0
; NumSGPRsForWavesPerEU: 1
; NumVGPRsForWavesPerEU: 1
; Occupancy: 16
; WaveLimiterHint : 0
; COMPUTE_PGM_RSRC2:SCRATCH_EN: 0
; COMPUTE_PGM_RSRC2:USER_SGPR: 6
; COMPUTE_PGM_RSRC2:TRAP_HANDLER: 0
; COMPUTE_PGM_RSRC2:TGID_X_EN: 1
; COMPUTE_PGM_RSRC2:TGID_Y_EN: 0
; COMPUTE_PGM_RSRC2:TGID_Z_EN: 0
; COMPUTE_PGM_RSRC2:TIDIG_COMP_CNT: 0
	.section	.text._ZN7rocprim17ROCPRIM_400000_NS6detail17trampoline_kernelINS0_14default_configENS1_21merge_config_selectorINS0_5tupleIJssEEENS0_10empty_typeEEEZNS1_10merge_implIS3_NS0_12zip_iteratorINS5_IJN6thrust23THRUST_200600_302600_NS6detail15normal_iteratorINSC_10device_ptrIKsEEEESI_EEEEESK_NSA_INS5_IJNSE_INSF_IsEEEESM_EEEEEPS7_SP_SP_NSC_11hip_rocprim7__merge17predicate_wrapperIssNSC_7greaterIsEEEEEE10hipError_tPvRmT0_T1_T2_T3_T4_T5_mmT6_P12ihipStream_tbEUlT_E0_NS1_11comp_targetILNS1_3genE4ELNS1_11target_archE910ELNS1_3gpuE8ELNS1_3repE0EEENS1_30default_config_static_selectorELNS0_4arch9wavefront6targetE0EEEvS10_,"axG",@progbits,_ZN7rocprim17ROCPRIM_400000_NS6detail17trampoline_kernelINS0_14default_configENS1_21merge_config_selectorINS0_5tupleIJssEEENS0_10empty_typeEEEZNS1_10merge_implIS3_NS0_12zip_iteratorINS5_IJN6thrust23THRUST_200600_302600_NS6detail15normal_iteratorINSC_10device_ptrIKsEEEESI_EEEEESK_NSA_INS5_IJNSE_INSF_IsEEEESM_EEEEEPS7_SP_SP_NSC_11hip_rocprim7__merge17predicate_wrapperIssNSC_7greaterIsEEEEEE10hipError_tPvRmT0_T1_T2_T3_T4_T5_mmT6_P12ihipStream_tbEUlT_E0_NS1_11comp_targetILNS1_3genE4ELNS1_11target_archE910ELNS1_3gpuE8ELNS1_3repE0EEENS1_30default_config_static_selectorELNS0_4arch9wavefront6targetE0EEEvS10_,comdat
	.protected	_ZN7rocprim17ROCPRIM_400000_NS6detail17trampoline_kernelINS0_14default_configENS1_21merge_config_selectorINS0_5tupleIJssEEENS0_10empty_typeEEEZNS1_10merge_implIS3_NS0_12zip_iteratorINS5_IJN6thrust23THRUST_200600_302600_NS6detail15normal_iteratorINSC_10device_ptrIKsEEEESI_EEEEESK_NSA_INS5_IJNSE_INSF_IsEEEESM_EEEEEPS7_SP_SP_NSC_11hip_rocprim7__merge17predicate_wrapperIssNSC_7greaterIsEEEEEE10hipError_tPvRmT0_T1_T2_T3_T4_T5_mmT6_P12ihipStream_tbEUlT_E0_NS1_11comp_targetILNS1_3genE4ELNS1_11target_archE910ELNS1_3gpuE8ELNS1_3repE0EEENS1_30default_config_static_selectorELNS0_4arch9wavefront6targetE0EEEvS10_ ; -- Begin function _ZN7rocprim17ROCPRIM_400000_NS6detail17trampoline_kernelINS0_14default_configENS1_21merge_config_selectorINS0_5tupleIJssEEENS0_10empty_typeEEEZNS1_10merge_implIS3_NS0_12zip_iteratorINS5_IJN6thrust23THRUST_200600_302600_NS6detail15normal_iteratorINSC_10device_ptrIKsEEEESI_EEEEESK_NSA_INS5_IJNSE_INSF_IsEEEESM_EEEEEPS7_SP_SP_NSC_11hip_rocprim7__merge17predicate_wrapperIssNSC_7greaterIsEEEEEE10hipError_tPvRmT0_T1_T2_T3_T4_T5_mmT6_P12ihipStream_tbEUlT_E0_NS1_11comp_targetILNS1_3genE4ELNS1_11target_archE910ELNS1_3gpuE8ELNS1_3repE0EEENS1_30default_config_static_selectorELNS0_4arch9wavefront6targetE0EEEvS10_
	.globl	_ZN7rocprim17ROCPRIM_400000_NS6detail17trampoline_kernelINS0_14default_configENS1_21merge_config_selectorINS0_5tupleIJssEEENS0_10empty_typeEEEZNS1_10merge_implIS3_NS0_12zip_iteratorINS5_IJN6thrust23THRUST_200600_302600_NS6detail15normal_iteratorINSC_10device_ptrIKsEEEESI_EEEEESK_NSA_INS5_IJNSE_INSF_IsEEEESM_EEEEEPS7_SP_SP_NSC_11hip_rocprim7__merge17predicate_wrapperIssNSC_7greaterIsEEEEEE10hipError_tPvRmT0_T1_T2_T3_T4_T5_mmT6_P12ihipStream_tbEUlT_E0_NS1_11comp_targetILNS1_3genE4ELNS1_11target_archE910ELNS1_3gpuE8ELNS1_3repE0EEENS1_30default_config_static_selectorELNS0_4arch9wavefront6targetE0EEEvS10_
	.p2align	8
	.type	_ZN7rocprim17ROCPRIM_400000_NS6detail17trampoline_kernelINS0_14default_configENS1_21merge_config_selectorINS0_5tupleIJssEEENS0_10empty_typeEEEZNS1_10merge_implIS3_NS0_12zip_iteratorINS5_IJN6thrust23THRUST_200600_302600_NS6detail15normal_iteratorINSC_10device_ptrIKsEEEESI_EEEEESK_NSA_INS5_IJNSE_INSF_IsEEEESM_EEEEEPS7_SP_SP_NSC_11hip_rocprim7__merge17predicate_wrapperIssNSC_7greaterIsEEEEEE10hipError_tPvRmT0_T1_T2_T3_T4_T5_mmT6_P12ihipStream_tbEUlT_E0_NS1_11comp_targetILNS1_3genE4ELNS1_11target_archE910ELNS1_3gpuE8ELNS1_3repE0EEENS1_30default_config_static_selectorELNS0_4arch9wavefront6targetE0EEEvS10_,@function
_ZN7rocprim17ROCPRIM_400000_NS6detail17trampoline_kernelINS0_14default_configENS1_21merge_config_selectorINS0_5tupleIJssEEENS0_10empty_typeEEEZNS1_10merge_implIS3_NS0_12zip_iteratorINS5_IJN6thrust23THRUST_200600_302600_NS6detail15normal_iteratorINSC_10device_ptrIKsEEEESI_EEEEESK_NSA_INS5_IJNSE_INSF_IsEEEESM_EEEEEPS7_SP_SP_NSC_11hip_rocprim7__merge17predicate_wrapperIssNSC_7greaterIsEEEEEE10hipError_tPvRmT0_T1_T2_T3_T4_T5_mmT6_P12ihipStream_tbEUlT_E0_NS1_11comp_targetILNS1_3genE4ELNS1_11target_archE910ELNS1_3gpuE8ELNS1_3repE0EEENS1_30default_config_static_selectorELNS0_4arch9wavefront6targetE0EEEvS10_: ; @_ZN7rocprim17ROCPRIM_400000_NS6detail17trampoline_kernelINS0_14default_configENS1_21merge_config_selectorINS0_5tupleIJssEEENS0_10empty_typeEEEZNS1_10merge_implIS3_NS0_12zip_iteratorINS5_IJN6thrust23THRUST_200600_302600_NS6detail15normal_iteratorINSC_10device_ptrIKsEEEESI_EEEEESK_NSA_INS5_IJNSE_INSF_IsEEEESM_EEEEEPS7_SP_SP_NSC_11hip_rocprim7__merge17predicate_wrapperIssNSC_7greaterIsEEEEEE10hipError_tPvRmT0_T1_T2_T3_T4_T5_mmT6_P12ihipStream_tbEUlT_E0_NS1_11comp_targetILNS1_3genE4ELNS1_11target_archE910ELNS1_3gpuE8ELNS1_3repE0EEENS1_30default_config_static_selectorELNS0_4arch9wavefront6targetE0EEEvS10_
; %bb.0:
	.section	.rodata,"a",@progbits
	.p2align	6, 0x0
	.amdhsa_kernel _ZN7rocprim17ROCPRIM_400000_NS6detail17trampoline_kernelINS0_14default_configENS1_21merge_config_selectorINS0_5tupleIJssEEENS0_10empty_typeEEEZNS1_10merge_implIS3_NS0_12zip_iteratorINS5_IJN6thrust23THRUST_200600_302600_NS6detail15normal_iteratorINSC_10device_ptrIKsEEEESI_EEEEESK_NSA_INS5_IJNSE_INSF_IsEEEESM_EEEEEPS7_SP_SP_NSC_11hip_rocprim7__merge17predicate_wrapperIssNSC_7greaterIsEEEEEE10hipError_tPvRmT0_T1_T2_T3_T4_T5_mmT6_P12ihipStream_tbEUlT_E0_NS1_11comp_targetILNS1_3genE4ELNS1_11target_archE910ELNS1_3gpuE8ELNS1_3repE0EEENS1_30default_config_static_selectorELNS0_4arch9wavefront6targetE0EEEvS10_
		.amdhsa_group_segment_fixed_size 0
		.amdhsa_private_segment_fixed_size 0
		.amdhsa_kernarg_size 112
		.amdhsa_user_sgpr_count 6
		.amdhsa_user_sgpr_private_segment_buffer 1
		.amdhsa_user_sgpr_dispatch_ptr 0
		.amdhsa_user_sgpr_queue_ptr 0
		.amdhsa_user_sgpr_kernarg_segment_ptr 1
		.amdhsa_user_sgpr_dispatch_id 0
		.amdhsa_user_sgpr_flat_scratch_init 0
		.amdhsa_user_sgpr_private_segment_size 0
		.amdhsa_wavefront_size32 1
		.amdhsa_uses_dynamic_stack 0
		.amdhsa_system_sgpr_private_segment_wavefront_offset 0
		.amdhsa_system_sgpr_workgroup_id_x 1
		.amdhsa_system_sgpr_workgroup_id_y 0
		.amdhsa_system_sgpr_workgroup_id_z 0
		.amdhsa_system_sgpr_workgroup_info 0
		.amdhsa_system_vgpr_workitem_id 0
		.amdhsa_next_free_vgpr 1
		.amdhsa_next_free_sgpr 1
		.amdhsa_reserve_vcc 0
		.amdhsa_reserve_flat_scratch 0
		.amdhsa_float_round_mode_32 0
		.amdhsa_float_round_mode_16_64 0
		.amdhsa_float_denorm_mode_32 3
		.amdhsa_float_denorm_mode_16_64 3
		.amdhsa_dx10_clamp 1
		.amdhsa_ieee_mode 1
		.amdhsa_fp16_overflow 0
		.amdhsa_workgroup_processor_mode 1
		.amdhsa_memory_ordered 1
		.amdhsa_forward_progress 1
		.amdhsa_shared_vgpr_count 0
		.amdhsa_exception_fp_ieee_invalid_op 0
		.amdhsa_exception_fp_denorm_src 0
		.amdhsa_exception_fp_ieee_div_zero 0
		.amdhsa_exception_fp_ieee_overflow 0
		.amdhsa_exception_fp_ieee_underflow 0
		.amdhsa_exception_fp_ieee_inexact 0
		.amdhsa_exception_int_div_zero 0
	.end_amdhsa_kernel
	.section	.text._ZN7rocprim17ROCPRIM_400000_NS6detail17trampoline_kernelINS0_14default_configENS1_21merge_config_selectorINS0_5tupleIJssEEENS0_10empty_typeEEEZNS1_10merge_implIS3_NS0_12zip_iteratorINS5_IJN6thrust23THRUST_200600_302600_NS6detail15normal_iteratorINSC_10device_ptrIKsEEEESI_EEEEESK_NSA_INS5_IJNSE_INSF_IsEEEESM_EEEEEPS7_SP_SP_NSC_11hip_rocprim7__merge17predicate_wrapperIssNSC_7greaterIsEEEEEE10hipError_tPvRmT0_T1_T2_T3_T4_T5_mmT6_P12ihipStream_tbEUlT_E0_NS1_11comp_targetILNS1_3genE4ELNS1_11target_archE910ELNS1_3gpuE8ELNS1_3repE0EEENS1_30default_config_static_selectorELNS0_4arch9wavefront6targetE0EEEvS10_,"axG",@progbits,_ZN7rocprim17ROCPRIM_400000_NS6detail17trampoline_kernelINS0_14default_configENS1_21merge_config_selectorINS0_5tupleIJssEEENS0_10empty_typeEEEZNS1_10merge_implIS3_NS0_12zip_iteratorINS5_IJN6thrust23THRUST_200600_302600_NS6detail15normal_iteratorINSC_10device_ptrIKsEEEESI_EEEEESK_NSA_INS5_IJNSE_INSF_IsEEEESM_EEEEEPS7_SP_SP_NSC_11hip_rocprim7__merge17predicate_wrapperIssNSC_7greaterIsEEEEEE10hipError_tPvRmT0_T1_T2_T3_T4_T5_mmT6_P12ihipStream_tbEUlT_E0_NS1_11comp_targetILNS1_3genE4ELNS1_11target_archE910ELNS1_3gpuE8ELNS1_3repE0EEENS1_30default_config_static_selectorELNS0_4arch9wavefront6targetE0EEEvS10_,comdat
.Lfunc_end454:
	.size	_ZN7rocprim17ROCPRIM_400000_NS6detail17trampoline_kernelINS0_14default_configENS1_21merge_config_selectorINS0_5tupleIJssEEENS0_10empty_typeEEEZNS1_10merge_implIS3_NS0_12zip_iteratorINS5_IJN6thrust23THRUST_200600_302600_NS6detail15normal_iteratorINSC_10device_ptrIKsEEEESI_EEEEESK_NSA_INS5_IJNSE_INSF_IsEEEESM_EEEEEPS7_SP_SP_NSC_11hip_rocprim7__merge17predicate_wrapperIssNSC_7greaterIsEEEEEE10hipError_tPvRmT0_T1_T2_T3_T4_T5_mmT6_P12ihipStream_tbEUlT_E0_NS1_11comp_targetILNS1_3genE4ELNS1_11target_archE910ELNS1_3gpuE8ELNS1_3repE0EEENS1_30default_config_static_selectorELNS0_4arch9wavefront6targetE0EEEvS10_, .Lfunc_end454-_ZN7rocprim17ROCPRIM_400000_NS6detail17trampoline_kernelINS0_14default_configENS1_21merge_config_selectorINS0_5tupleIJssEEENS0_10empty_typeEEEZNS1_10merge_implIS3_NS0_12zip_iteratorINS5_IJN6thrust23THRUST_200600_302600_NS6detail15normal_iteratorINSC_10device_ptrIKsEEEESI_EEEEESK_NSA_INS5_IJNSE_INSF_IsEEEESM_EEEEEPS7_SP_SP_NSC_11hip_rocprim7__merge17predicate_wrapperIssNSC_7greaterIsEEEEEE10hipError_tPvRmT0_T1_T2_T3_T4_T5_mmT6_P12ihipStream_tbEUlT_E0_NS1_11comp_targetILNS1_3genE4ELNS1_11target_archE910ELNS1_3gpuE8ELNS1_3repE0EEENS1_30default_config_static_selectorELNS0_4arch9wavefront6targetE0EEEvS10_
                                        ; -- End function
	.set _ZN7rocprim17ROCPRIM_400000_NS6detail17trampoline_kernelINS0_14default_configENS1_21merge_config_selectorINS0_5tupleIJssEEENS0_10empty_typeEEEZNS1_10merge_implIS3_NS0_12zip_iteratorINS5_IJN6thrust23THRUST_200600_302600_NS6detail15normal_iteratorINSC_10device_ptrIKsEEEESI_EEEEESK_NSA_INS5_IJNSE_INSF_IsEEEESM_EEEEEPS7_SP_SP_NSC_11hip_rocprim7__merge17predicate_wrapperIssNSC_7greaterIsEEEEEE10hipError_tPvRmT0_T1_T2_T3_T4_T5_mmT6_P12ihipStream_tbEUlT_E0_NS1_11comp_targetILNS1_3genE4ELNS1_11target_archE910ELNS1_3gpuE8ELNS1_3repE0EEENS1_30default_config_static_selectorELNS0_4arch9wavefront6targetE0EEEvS10_.num_vgpr, 0
	.set _ZN7rocprim17ROCPRIM_400000_NS6detail17trampoline_kernelINS0_14default_configENS1_21merge_config_selectorINS0_5tupleIJssEEENS0_10empty_typeEEEZNS1_10merge_implIS3_NS0_12zip_iteratorINS5_IJN6thrust23THRUST_200600_302600_NS6detail15normal_iteratorINSC_10device_ptrIKsEEEESI_EEEEESK_NSA_INS5_IJNSE_INSF_IsEEEESM_EEEEEPS7_SP_SP_NSC_11hip_rocprim7__merge17predicate_wrapperIssNSC_7greaterIsEEEEEE10hipError_tPvRmT0_T1_T2_T3_T4_T5_mmT6_P12ihipStream_tbEUlT_E0_NS1_11comp_targetILNS1_3genE4ELNS1_11target_archE910ELNS1_3gpuE8ELNS1_3repE0EEENS1_30default_config_static_selectorELNS0_4arch9wavefront6targetE0EEEvS10_.num_agpr, 0
	.set _ZN7rocprim17ROCPRIM_400000_NS6detail17trampoline_kernelINS0_14default_configENS1_21merge_config_selectorINS0_5tupleIJssEEENS0_10empty_typeEEEZNS1_10merge_implIS3_NS0_12zip_iteratorINS5_IJN6thrust23THRUST_200600_302600_NS6detail15normal_iteratorINSC_10device_ptrIKsEEEESI_EEEEESK_NSA_INS5_IJNSE_INSF_IsEEEESM_EEEEEPS7_SP_SP_NSC_11hip_rocprim7__merge17predicate_wrapperIssNSC_7greaterIsEEEEEE10hipError_tPvRmT0_T1_T2_T3_T4_T5_mmT6_P12ihipStream_tbEUlT_E0_NS1_11comp_targetILNS1_3genE4ELNS1_11target_archE910ELNS1_3gpuE8ELNS1_3repE0EEENS1_30default_config_static_selectorELNS0_4arch9wavefront6targetE0EEEvS10_.numbered_sgpr, 0
	.set _ZN7rocprim17ROCPRIM_400000_NS6detail17trampoline_kernelINS0_14default_configENS1_21merge_config_selectorINS0_5tupleIJssEEENS0_10empty_typeEEEZNS1_10merge_implIS3_NS0_12zip_iteratorINS5_IJN6thrust23THRUST_200600_302600_NS6detail15normal_iteratorINSC_10device_ptrIKsEEEESI_EEEEESK_NSA_INS5_IJNSE_INSF_IsEEEESM_EEEEEPS7_SP_SP_NSC_11hip_rocprim7__merge17predicate_wrapperIssNSC_7greaterIsEEEEEE10hipError_tPvRmT0_T1_T2_T3_T4_T5_mmT6_P12ihipStream_tbEUlT_E0_NS1_11comp_targetILNS1_3genE4ELNS1_11target_archE910ELNS1_3gpuE8ELNS1_3repE0EEENS1_30default_config_static_selectorELNS0_4arch9wavefront6targetE0EEEvS10_.num_named_barrier, 0
	.set _ZN7rocprim17ROCPRIM_400000_NS6detail17trampoline_kernelINS0_14default_configENS1_21merge_config_selectorINS0_5tupleIJssEEENS0_10empty_typeEEEZNS1_10merge_implIS3_NS0_12zip_iteratorINS5_IJN6thrust23THRUST_200600_302600_NS6detail15normal_iteratorINSC_10device_ptrIKsEEEESI_EEEEESK_NSA_INS5_IJNSE_INSF_IsEEEESM_EEEEEPS7_SP_SP_NSC_11hip_rocprim7__merge17predicate_wrapperIssNSC_7greaterIsEEEEEE10hipError_tPvRmT0_T1_T2_T3_T4_T5_mmT6_P12ihipStream_tbEUlT_E0_NS1_11comp_targetILNS1_3genE4ELNS1_11target_archE910ELNS1_3gpuE8ELNS1_3repE0EEENS1_30default_config_static_selectorELNS0_4arch9wavefront6targetE0EEEvS10_.private_seg_size, 0
	.set _ZN7rocprim17ROCPRIM_400000_NS6detail17trampoline_kernelINS0_14default_configENS1_21merge_config_selectorINS0_5tupleIJssEEENS0_10empty_typeEEEZNS1_10merge_implIS3_NS0_12zip_iteratorINS5_IJN6thrust23THRUST_200600_302600_NS6detail15normal_iteratorINSC_10device_ptrIKsEEEESI_EEEEESK_NSA_INS5_IJNSE_INSF_IsEEEESM_EEEEEPS7_SP_SP_NSC_11hip_rocprim7__merge17predicate_wrapperIssNSC_7greaterIsEEEEEE10hipError_tPvRmT0_T1_T2_T3_T4_T5_mmT6_P12ihipStream_tbEUlT_E0_NS1_11comp_targetILNS1_3genE4ELNS1_11target_archE910ELNS1_3gpuE8ELNS1_3repE0EEENS1_30default_config_static_selectorELNS0_4arch9wavefront6targetE0EEEvS10_.uses_vcc, 0
	.set _ZN7rocprim17ROCPRIM_400000_NS6detail17trampoline_kernelINS0_14default_configENS1_21merge_config_selectorINS0_5tupleIJssEEENS0_10empty_typeEEEZNS1_10merge_implIS3_NS0_12zip_iteratorINS5_IJN6thrust23THRUST_200600_302600_NS6detail15normal_iteratorINSC_10device_ptrIKsEEEESI_EEEEESK_NSA_INS5_IJNSE_INSF_IsEEEESM_EEEEEPS7_SP_SP_NSC_11hip_rocprim7__merge17predicate_wrapperIssNSC_7greaterIsEEEEEE10hipError_tPvRmT0_T1_T2_T3_T4_T5_mmT6_P12ihipStream_tbEUlT_E0_NS1_11comp_targetILNS1_3genE4ELNS1_11target_archE910ELNS1_3gpuE8ELNS1_3repE0EEENS1_30default_config_static_selectorELNS0_4arch9wavefront6targetE0EEEvS10_.uses_flat_scratch, 0
	.set _ZN7rocprim17ROCPRIM_400000_NS6detail17trampoline_kernelINS0_14default_configENS1_21merge_config_selectorINS0_5tupleIJssEEENS0_10empty_typeEEEZNS1_10merge_implIS3_NS0_12zip_iteratorINS5_IJN6thrust23THRUST_200600_302600_NS6detail15normal_iteratorINSC_10device_ptrIKsEEEESI_EEEEESK_NSA_INS5_IJNSE_INSF_IsEEEESM_EEEEEPS7_SP_SP_NSC_11hip_rocprim7__merge17predicate_wrapperIssNSC_7greaterIsEEEEEE10hipError_tPvRmT0_T1_T2_T3_T4_T5_mmT6_P12ihipStream_tbEUlT_E0_NS1_11comp_targetILNS1_3genE4ELNS1_11target_archE910ELNS1_3gpuE8ELNS1_3repE0EEENS1_30default_config_static_selectorELNS0_4arch9wavefront6targetE0EEEvS10_.has_dyn_sized_stack, 0
	.set _ZN7rocprim17ROCPRIM_400000_NS6detail17trampoline_kernelINS0_14default_configENS1_21merge_config_selectorINS0_5tupleIJssEEENS0_10empty_typeEEEZNS1_10merge_implIS3_NS0_12zip_iteratorINS5_IJN6thrust23THRUST_200600_302600_NS6detail15normal_iteratorINSC_10device_ptrIKsEEEESI_EEEEESK_NSA_INS5_IJNSE_INSF_IsEEEESM_EEEEEPS7_SP_SP_NSC_11hip_rocprim7__merge17predicate_wrapperIssNSC_7greaterIsEEEEEE10hipError_tPvRmT0_T1_T2_T3_T4_T5_mmT6_P12ihipStream_tbEUlT_E0_NS1_11comp_targetILNS1_3genE4ELNS1_11target_archE910ELNS1_3gpuE8ELNS1_3repE0EEENS1_30default_config_static_selectorELNS0_4arch9wavefront6targetE0EEEvS10_.has_recursion, 0
	.set _ZN7rocprim17ROCPRIM_400000_NS6detail17trampoline_kernelINS0_14default_configENS1_21merge_config_selectorINS0_5tupleIJssEEENS0_10empty_typeEEEZNS1_10merge_implIS3_NS0_12zip_iteratorINS5_IJN6thrust23THRUST_200600_302600_NS6detail15normal_iteratorINSC_10device_ptrIKsEEEESI_EEEEESK_NSA_INS5_IJNSE_INSF_IsEEEESM_EEEEEPS7_SP_SP_NSC_11hip_rocprim7__merge17predicate_wrapperIssNSC_7greaterIsEEEEEE10hipError_tPvRmT0_T1_T2_T3_T4_T5_mmT6_P12ihipStream_tbEUlT_E0_NS1_11comp_targetILNS1_3genE4ELNS1_11target_archE910ELNS1_3gpuE8ELNS1_3repE0EEENS1_30default_config_static_selectorELNS0_4arch9wavefront6targetE0EEEvS10_.has_indirect_call, 0
	.section	.AMDGPU.csdata,"",@progbits
; Kernel info:
; codeLenInByte = 0
; TotalNumSgprs: 0
; NumVgprs: 0
; ScratchSize: 0
; MemoryBound: 0
; FloatMode: 240
; IeeeMode: 1
; LDSByteSize: 0 bytes/workgroup (compile time only)
; SGPRBlocks: 0
; VGPRBlocks: 0
; NumSGPRsForWavesPerEU: 1
; NumVGPRsForWavesPerEU: 1
; Occupancy: 16
; WaveLimiterHint : 0
; COMPUTE_PGM_RSRC2:SCRATCH_EN: 0
; COMPUTE_PGM_RSRC2:USER_SGPR: 6
; COMPUTE_PGM_RSRC2:TRAP_HANDLER: 0
; COMPUTE_PGM_RSRC2:TGID_X_EN: 1
; COMPUTE_PGM_RSRC2:TGID_Y_EN: 0
; COMPUTE_PGM_RSRC2:TGID_Z_EN: 0
; COMPUTE_PGM_RSRC2:TIDIG_COMP_CNT: 0
	.section	.text._ZN7rocprim17ROCPRIM_400000_NS6detail17trampoline_kernelINS0_14default_configENS1_21merge_config_selectorINS0_5tupleIJssEEENS0_10empty_typeEEEZNS1_10merge_implIS3_NS0_12zip_iteratorINS5_IJN6thrust23THRUST_200600_302600_NS6detail15normal_iteratorINSC_10device_ptrIKsEEEESI_EEEEESK_NSA_INS5_IJNSE_INSF_IsEEEESM_EEEEEPS7_SP_SP_NSC_11hip_rocprim7__merge17predicate_wrapperIssNSC_7greaterIsEEEEEE10hipError_tPvRmT0_T1_T2_T3_T4_T5_mmT6_P12ihipStream_tbEUlT_E0_NS1_11comp_targetILNS1_3genE3ELNS1_11target_archE908ELNS1_3gpuE7ELNS1_3repE0EEENS1_30default_config_static_selectorELNS0_4arch9wavefront6targetE0EEEvS10_,"axG",@progbits,_ZN7rocprim17ROCPRIM_400000_NS6detail17trampoline_kernelINS0_14default_configENS1_21merge_config_selectorINS0_5tupleIJssEEENS0_10empty_typeEEEZNS1_10merge_implIS3_NS0_12zip_iteratorINS5_IJN6thrust23THRUST_200600_302600_NS6detail15normal_iteratorINSC_10device_ptrIKsEEEESI_EEEEESK_NSA_INS5_IJNSE_INSF_IsEEEESM_EEEEEPS7_SP_SP_NSC_11hip_rocprim7__merge17predicate_wrapperIssNSC_7greaterIsEEEEEE10hipError_tPvRmT0_T1_T2_T3_T4_T5_mmT6_P12ihipStream_tbEUlT_E0_NS1_11comp_targetILNS1_3genE3ELNS1_11target_archE908ELNS1_3gpuE7ELNS1_3repE0EEENS1_30default_config_static_selectorELNS0_4arch9wavefront6targetE0EEEvS10_,comdat
	.protected	_ZN7rocprim17ROCPRIM_400000_NS6detail17trampoline_kernelINS0_14default_configENS1_21merge_config_selectorINS0_5tupleIJssEEENS0_10empty_typeEEEZNS1_10merge_implIS3_NS0_12zip_iteratorINS5_IJN6thrust23THRUST_200600_302600_NS6detail15normal_iteratorINSC_10device_ptrIKsEEEESI_EEEEESK_NSA_INS5_IJNSE_INSF_IsEEEESM_EEEEEPS7_SP_SP_NSC_11hip_rocprim7__merge17predicate_wrapperIssNSC_7greaterIsEEEEEE10hipError_tPvRmT0_T1_T2_T3_T4_T5_mmT6_P12ihipStream_tbEUlT_E0_NS1_11comp_targetILNS1_3genE3ELNS1_11target_archE908ELNS1_3gpuE7ELNS1_3repE0EEENS1_30default_config_static_selectorELNS0_4arch9wavefront6targetE0EEEvS10_ ; -- Begin function _ZN7rocprim17ROCPRIM_400000_NS6detail17trampoline_kernelINS0_14default_configENS1_21merge_config_selectorINS0_5tupleIJssEEENS0_10empty_typeEEEZNS1_10merge_implIS3_NS0_12zip_iteratorINS5_IJN6thrust23THRUST_200600_302600_NS6detail15normal_iteratorINSC_10device_ptrIKsEEEESI_EEEEESK_NSA_INS5_IJNSE_INSF_IsEEEESM_EEEEEPS7_SP_SP_NSC_11hip_rocprim7__merge17predicate_wrapperIssNSC_7greaterIsEEEEEE10hipError_tPvRmT0_T1_T2_T3_T4_T5_mmT6_P12ihipStream_tbEUlT_E0_NS1_11comp_targetILNS1_3genE3ELNS1_11target_archE908ELNS1_3gpuE7ELNS1_3repE0EEENS1_30default_config_static_selectorELNS0_4arch9wavefront6targetE0EEEvS10_
	.globl	_ZN7rocprim17ROCPRIM_400000_NS6detail17trampoline_kernelINS0_14default_configENS1_21merge_config_selectorINS0_5tupleIJssEEENS0_10empty_typeEEEZNS1_10merge_implIS3_NS0_12zip_iteratorINS5_IJN6thrust23THRUST_200600_302600_NS6detail15normal_iteratorINSC_10device_ptrIKsEEEESI_EEEEESK_NSA_INS5_IJNSE_INSF_IsEEEESM_EEEEEPS7_SP_SP_NSC_11hip_rocprim7__merge17predicate_wrapperIssNSC_7greaterIsEEEEEE10hipError_tPvRmT0_T1_T2_T3_T4_T5_mmT6_P12ihipStream_tbEUlT_E0_NS1_11comp_targetILNS1_3genE3ELNS1_11target_archE908ELNS1_3gpuE7ELNS1_3repE0EEENS1_30default_config_static_selectorELNS0_4arch9wavefront6targetE0EEEvS10_
	.p2align	8
	.type	_ZN7rocprim17ROCPRIM_400000_NS6detail17trampoline_kernelINS0_14default_configENS1_21merge_config_selectorINS0_5tupleIJssEEENS0_10empty_typeEEEZNS1_10merge_implIS3_NS0_12zip_iteratorINS5_IJN6thrust23THRUST_200600_302600_NS6detail15normal_iteratorINSC_10device_ptrIKsEEEESI_EEEEESK_NSA_INS5_IJNSE_INSF_IsEEEESM_EEEEEPS7_SP_SP_NSC_11hip_rocprim7__merge17predicate_wrapperIssNSC_7greaterIsEEEEEE10hipError_tPvRmT0_T1_T2_T3_T4_T5_mmT6_P12ihipStream_tbEUlT_E0_NS1_11comp_targetILNS1_3genE3ELNS1_11target_archE908ELNS1_3gpuE7ELNS1_3repE0EEENS1_30default_config_static_selectorELNS0_4arch9wavefront6targetE0EEEvS10_,@function
_ZN7rocprim17ROCPRIM_400000_NS6detail17trampoline_kernelINS0_14default_configENS1_21merge_config_selectorINS0_5tupleIJssEEENS0_10empty_typeEEEZNS1_10merge_implIS3_NS0_12zip_iteratorINS5_IJN6thrust23THRUST_200600_302600_NS6detail15normal_iteratorINSC_10device_ptrIKsEEEESI_EEEEESK_NSA_INS5_IJNSE_INSF_IsEEEESM_EEEEEPS7_SP_SP_NSC_11hip_rocprim7__merge17predicate_wrapperIssNSC_7greaterIsEEEEEE10hipError_tPvRmT0_T1_T2_T3_T4_T5_mmT6_P12ihipStream_tbEUlT_E0_NS1_11comp_targetILNS1_3genE3ELNS1_11target_archE908ELNS1_3gpuE7ELNS1_3repE0EEENS1_30default_config_static_selectorELNS0_4arch9wavefront6targetE0EEEvS10_: ; @_ZN7rocprim17ROCPRIM_400000_NS6detail17trampoline_kernelINS0_14default_configENS1_21merge_config_selectorINS0_5tupleIJssEEENS0_10empty_typeEEEZNS1_10merge_implIS3_NS0_12zip_iteratorINS5_IJN6thrust23THRUST_200600_302600_NS6detail15normal_iteratorINSC_10device_ptrIKsEEEESI_EEEEESK_NSA_INS5_IJNSE_INSF_IsEEEESM_EEEEEPS7_SP_SP_NSC_11hip_rocprim7__merge17predicate_wrapperIssNSC_7greaterIsEEEEEE10hipError_tPvRmT0_T1_T2_T3_T4_T5_mmT6_P12ihipStream_tbEUlT_E0_NS1_11comp_targetILNS1_3genE3ELNS1_11target_archE908ELNS1_3gpuE7ELNS1_3repE0EEENS1_30default_config_static_selectorELNS0_4arch9wavefront6targetE0EEEvS10_
; %bb.0:
	.section	.rodata,"a",@progbits
	.p2align	6, 0x0
	.amdhsa_kernel _ZN7rocprim17ROCPRIM_400000_NS6detail17trampoline_kernelINS0_14default_configENS1_21merge_config_selectorINS0_5tupleIJssEEENS0_10empty_typeEEEZNS1_10merge_implIS3_NS0_12zip_iteratorINS5_IJN6thrust23THRUST_200600_302600_NS6detail15normal_iteratorINSC_10device_ptrIKsEEEESI_EEEEESK_NSA_INS5_IJNSE_INSF_IsEEEESM_EEEEEPS7_SP_SP_NSC_11hip_rocprim7__merge17predicate_wrapperIssNSC_7greaterIsEEEEEE10hipError_tPvRmT0_T1_T2_T3_T4_T5_mmT6_P12ihipStream_tbEUlT_E0_NS1_11comp_targetILNS1_3genE3ELNS1_11target_archE908ELNS1_3gpuE7ELNS1_3repE0EEENS1_30default_config_static_selectorELNS0_4arch9wavefront6targetE0EEEvS10_
		.amdhsa_group_segment_fixed_size 0
		.amdhsa_private_segment_fixed_size 0
		.amdhsa_kernarg_size 112
		.amdhsa_user_sgpr_count 6
		.amdhsa_user_sgpr_private_segment_buffer 1
		.amdhsa_user_sgpr_dispatch_ptr 0
		.amdhsa_user_sgpr_queue_ptr 0
		.amdhsa_user_sgpr_kernarg_segment_ptr 1
		.amdhsa_user_sgpr_dispatch_id 0
		.amdhsa_user_sgpr_flat_scratch_init 0
		.amdhsa_user_sgpr_private_segment_size 0
		.amdhsa_wavefront_size32 1
		.amdhsa_uses_dynamic_stack 0
		.amdhsa_system_sgpr_private_segment_wavefront_offset 0
		.amdhsa_system_sgpr_workgroup_id_x 1
		.amdhsa_system_sgpr_workgroup_id_y 0
		.amdhsa_system_sgpr_workgroup_id_z 0
		.amdhsa_system_sgpr_workgroup_info 0
		.amdhsa_system_vgpr_workitem_id 0
		.amdhsa_next_free_vgpr 1
		.amdhsa_next_free_sgpr 1
		.amdhsa_reserve_vcc 0
		.amdhsa_reserve_flat_scratch 0
		.amdhsa_float_round_mode_32 0
		.amdhsa_float_round_mode_16_64 0
		.amdhsa_float_denorm_mode_32 3
		.amdhsa_float_denorm_mode_16_64 3
		.amdhsa_dx10_clamp 1
		.amdhsa_ieee_mode 1
		.amdhsa_fp16_overflow 0
		.amdhsa_workgroup_processor_mode 1
		.amdhsa_memory_ordered 1
		.amdhsa_forward_progress 1
		.amdhsa_shared_vgpr_count 0
		.amdhsa_exception_fp_ieee_invalid_op 0
		.amdhsa_exception_fp_denorm_src 0
		.amdhsa_exception_fp_ieee_div_zero 0
		.amdhsa_exception_fp_ieee_overflow 0
		.amdhsa_exception_fp_ieee_underflow 0
		.amdhsa_exception_fp_ieee_inexact 0
		.amdhsa_exception_int_div_zero 0
	.end_amdhsa_kernel
	.section	.text._ZN7rocprim17ROCPRIM_400000_NS6detail17trampoline_kernelINS0_14default_configENS1_21merge_config_selectorINS0_5tupleIJssEEENS0_10empty_typeEEEZNS1_10merge_implIS3_NS0_12zip_iteratorINS5_IJN6thrust23THRUST_200600_302600_NS6detail15normal_iteratorINSC_10device_ptrIKsEEEESI_EEEEESK_NSA_INS5_IJNSE_INSF_IsEEEESM_EEEEEPS7_SP_SP_NSC_11hip_rocprim7__merge17predicate_wrapperIssNSC_7greaterIsEEEEEE10hipError_tPvRmT0_T1_T2_T3_T4_T5_mmT6_P12ihipStream_tbEUlT_E0_NS1_11comp_targetILNS1_3genE3ELNS1_11target_archE908ELNS1_3gpuE7ELNS1_3repE0EEENS1_30default_config_static_selectorELNS0_4arch9wavefront6targetE0EEEvS10_,"axG",@progbits,_ZN7rocprim17ROCPRIM_400000_NS6detail17trampoline_kernelINS0_14default_configENS1_21merge_config_selectorINS0_5tupleIJssEEENS0_10empty_typeEEEZNS1_10merge_implIS3_NS0_12zip_iteratorINS5_IJN6thrust23THRUST_200600_302600_NS6detail15normal_iteratorINSC_10device_ptrIKsEEEESI_EEEEESK_NSA_INS5_IJNSE_INSF_IsEEEESM_EEEEEPS7_SP_SP_NSC_11hip_rocprim7__merge17predicate_wrapperIssNSC_7greaterIsEEEEEE10hipError_tPvRmT0_T1_T2_T3_T4_T5_mmT6_P12ihipStream_tbEUlT_E0_NS1_11comp_targetILNS1_3genE3ELNS1_11target_archE908ELNS1_3gpuE7ELNS1_3repE0EEENS1_30default_config_static_selectorELNS0_4arch9wavefront6targetE0EEEvS10_,comdat
.Lfunc_end455:
	.size	_ZN7rocprim17ROCPRIM_400000_NS6detail17trampoline_kernelINS0_14default_configENS1_21merge_config_selectorINS0_5tupleIJssEEENS0_10empty_typeEEEZNS1_10merge_implIS3_NS0_12zip_iteratorINS5_IJN6thrust23THRUST_200600_302600_NS6detail15normal_iteratorINSC_10device_ptrIKsEEEESI_EEEEESK_NSA_INS5_IJNSE_INSF_IsEEEESM_EEEEEPS7_SP_SP_NSC_11hip_rocprim7__merge17predicate_wrapperIssNSC_7greaterIsEEEEEE10hipError_tPvRmT0_T1_T2_T3_T4_T5_mmT6_P12ihipStream_tbEUlT_E0_NS1_11comp_targetILNS1_3genE3ELNS1_11target_archE908ELNS1_3gpuE7ELNS1_3repE0EEENS1_30default_config_static_selectorELNS0_4arch9wavefront6targetE0EEEvS10_, .Lfunc_end455-_ZN7rocprim17ROCPRIM_400000_NS6detail17trampoline_kernelINS0_14default_configENS1_21merge_config_selectorINS0_5tupleIJssEEENS0_10empty_typeEEEZNS1_10merge_implIS3_NS0_12zip_iteratorINS5_IJN6thrust23THRUST_200600_302600_NS6detail15normal_iteratorINSC_10device_ptrIKsEEEESI_EEEEESK_NSA_INS5_IJNSE_INSF_IsEEEESM_EEEEEPS7_SP_SP_NSC_11hip_rocprim7__merge17predicate_wrapperIssNSC_7greaterIsEEEEEE10hipError_tPvRmT0_T1_T2_T3_T4_T5_mmT6_P12ihipStream_tbEUlT_E0_NS1_11comp_targetILNS1_3genE3ELNS1_11target_archE908ELNS1_3gpuE7ELNS1_3repE0EEENS1_30default_config_static_selectorELNS0_4arch9wavefront6targetE0EEEvS10_
                                        ; -- End function
	.set _ZN7rocprim17ROCPRIM_400000_NS6detail17trampoline_kernelINS0_14default_configENS1_21merge_config_selectorINS0_5tupleIJssEEENS0_10empty_typeEEEZNS1_10merge_implIS3_NS0_12zip_iteratorINS5_IJN6thrust23THRUST_200600_302600_NS6detail15normal_iteratorINSC_10device_ptrIKsEEEESI_EEEEESK_NSA_INS5_IJNSE_INSF_IsEEEESM_EEEEEPS7_SP_SP_NSC_11hip_rocprim7__merge17predicate_wrapperIssNSC_7greaterIsEEEEEE10hipError_tPvRmT0_T1_T2_T3_T4_T5_mmT6_P12ihipStream_tbEUlT_E0_NS1_11comp_targetILNS1_3genE3ELNS1_11target_archE908ELNS1_3gpuE7ELNS1_3repE0EEENS1_30default_config_static_selectorELNS0_4arch9wavefront6targetE0EEEvS10_.num_vgpr, 0
	.set _ZN7rocprim17ROCPRIM_400000_NS6detail17trampoline_kernelINS0_14default_configENS1_21merge_config_selectorINS0_5tupleIJssEEENS0_10empty_typeEEEZNS1_10merge_implIS3_NS0_12zip_iteratorINS5_IJN6thrust23THRUST_200600_302600_NS6detail15normal_iteratorINSC_10device_ptrIKsEEEESI_EEEEESK_NSA_INS5_IJNSE_INSF_IsEEEESM_EEEEEPS7_SP_SP_NSC_11hip_rocprim7__merge17predicate_wrapperIssNSC_7greaterIsEEEEEE10hipError_tPvRmT0_T1_T2_T3_T4_T5_mmT6_P12ihipStream_tbEUlT_E0_NS1_11comp_targetILNS1_3genE3ELNS1_11target_archE908ELNS1_3gpuE7ELNS1_3repE0EEENS1_30default_config_static_selectorELNS0_4arch9wavefront6targetE0EEEvS10_.num_agpr, 0
	.set _ZN7rocprim17ROCPRIM_400000_NS6detail17trampoline_kernelINS0_14default_configENS1_21merge_config_selectorINS0_5tupleIJssEEENS0_10empty_typeEEEZNS1_10merge_implIS3_NS0_12zip_iteratorINS5_IJN6thrust23THRUST_200600_302600_NS6detail15normal_iteratorINSC_10device_ptrIKsEEEESI_EEEEESK_NSA_INS5_IJNSE_INSF_IsEEEESM_EEEEEPS7_SP_SP_NSC_11hip_rocprim7__merge17predicate_wrapperIssNSC_7greaterIsEEEEEE10hipError_tPvRmT0_T1_T2_T3_T4_T5_mmT6_P12ihipStream_tbEUlT_E0_NS1_11comp_targetILNS1_3genE3ELNS1_11target_archE908ELNS1_3gpuE7ELNS1_3repE0EEENS1_30default_config_static_selectorELNS0_4arch9wavefront6targetE0EEEvS10_.numbered_sgpr, 0
	.set _ZN7rocprim17ROCPRIM_400000_NS6detail17trampoline_kernelINS0_14default_configENS1_21merge_config_selectorINS0_5tupleIJssEEENS0_10empty_typeEEEZNS1_10merge_implIS3_NS0_12zip_iteratorINS5_IJN6thrust23THRUST_200600_302600_NS6detail15normal_iteratorINSC_10device_ptrIKsEEEESI_EEEEESK_NSA_INS5_IJNSE_INSF_IsEEEESM_EEEEEPS7_SP_SP_NSC_11hip_rocprim7__merge17predicate_wrapperIssNSC_7greaterIsEEEEEE10hipError_tPvRmT0_T1_T2_T3_T4_T5_mmT6_P12ihipStream_tbEUlT_E0_NS1_11comp_targetILNS1_3genE3ELNS1_11target_archE908ELNS1_3gpuE7ELNS1_3repE0EEENS1_30default_config_static_selectorELNS0_4arch9wavefront6targetE0EEEvS10_.num_named_barrier, 0
	.set _ZN7rocprim17ROCPRIM_400000_NS6detail17trampoline_kernelINS0_14default_configENS1_21merge_config_selectorINS0_5tupleIJssEEENS0_10empty_typeEEEZNS1_10merge_implIS3_NS0_12zip_iteratorINS5_IJN6thrust23THRUST_200600_302600_NS6detail15normal_iteratorINSC_10device_ptrIKsEEEESI_EEEEESK_NSA_INS5_IJNSE_INSF_IsEEEESM_EEEEEPS7_SP_SP_NSC_11hip_rocprim7__merge17predicate_wrapperIssNSC_7greaterIsEEEEEE10hipError_tPvRmT0_T1_T2_T3_T4_T5_mmT6_P12ihipStream_tbEUlT_E0_NS1_11comp_targetILNS1_3genE3ELNS1_11target_archE908ELNS1_3gpuE7ELNS1_3repE0EEENS1_30default_config_static_selectorELNS0_4arch9wavefront6targetE0EEEvS10_.private_seg_size, 0
	.set _ZN7rocprim17ROCPRIM_400000_NS6detail17trampoline_kernelINS0_14default_configENS1_21merge_config_selectorINS0_5tupleIJssEEENS0_10empty_typeEEEZNS1_10merge_implIS3_NS0_12zip_iteratorINS5_IJN6thrust23THRUST_200600_302600_NS6detail15normal_iteratorINSC_10device_ptrIKsEEEESI_EEEEESK_NSA_INS5_IJNSE_INSF_IsEEEESM_EEEEEPS7_SP_SP_NSC_11hip_rocprim7__merge17predicate_wrapperIssNSC_7greaterIsEEEEEE10hipError_tPvRmT0_T1_T2_T3_T4_T5_mmT6_P12ihipStream_tbEUlT_E0_NS1_11comp_targetILNS1_3genE3ELNS1_11target_archE908ELNS1_3gpuE7ELNS1_3repE0EEENS1_30default_config_static_selectorELNS0_4arch9wavefront6targetE0EEEvS10_.uses_vcc, 0
	.set _ZN7rocprim17ROCPRIM_400000_NS6detail17trampoline_kernelINS0_14default_configENS1_21merge_config_selectorINS0_5tupleIJssEEENS0_10empty_typeEEEZNS1_10merge_implIS3_NS0_12zip_iteratorINS5_IJN6thrust23THRUST_200600_302600_NS6detail15normal_iteratorINSC_10device_ptrIKsEEEESI_EEEEESK_NSA_INS5_IJNSE_INSF_IsEEEESM_EEEEEPS7_SP_SP_NSC_11hip_rocprim7__merge17predicate_wrapperIssNSC_7greaterIsEEEEEE10hipError_tPvRmT0_T1_T2_T3_T4_T5_mmT6_P12ihipStream_tbEUlT_E0_NS1_11comp_targetILNS1_3genE3ELNS1_11target_archE908ELNS1_3gpuE7ELNS1_3repE0EEENS1_30default_config_static_selectorELNS0_4arch9wavefront6targetE0EEEvS10_.uses_flat_scratch, 0
	.set _ZN7rocprim17ROCPRIM_400000_NS6detail17trampoline_kernelINS0_14default_configENS1_21merge_config_selectorINS0_5tupleIJssEEENS0_10empty_typeEEEZNS1_10merge_implIS3_NS0_12zip_iteratorINS5_IJN6thrust23THRUST_200600_302600_NS6detail15normal_iteratorINSC_10device_ptrIKsEEEESI_EEEEESK_NSA_INS5_IJNSE_INSF_IsEEEESM_EEEEEPS7_SP_SP_NSC_11hip_rocprim7__merge17predicate_wrapperIssNSC_7greaterIsEEEEEE10hipError_tPvRmT0_T1_T2_T3_T4_T5_mmT6_P12ihipStream_tbEUlT_E0_NS1_11comp_targetILNS1_3genE3ELNS1_11target_archE908ELNS1_3gpuE7ELNS1_3repE0EEENS1_30default_config_static_selectorELNS0_4arch9wavefront6targetE0EEEvS10_.has_dyn_sized_stack, 0
	.set _ZN7rocprim17ROCPRIM_400000_NS6detail17trampoline_kernelINS0_14default_configENS1_21merge_config_selectorINS0_5tupleIJssEEENS0_10empty_typeEEEZNS1_10merge_implIS3_NS0_12zip_iteratorINS5_IJN6thrust23THRUST_200600_302600_NS6detail15normal_iteratorINSC_10device_ptrIKsEEEESI_EEEEESK_NSA_INS5_IJNSE_INSF_IsEEEESM_EEEEEPS7_SP_SP_NSC_11hip_rocprim7__merge17predicate_wrapperIssNSC_7greaterIsEEEEEE10hipError_tPvRmT0_T1_T2_T3_T4_T5_mmT6_P12ihipStream_tbEUlT_E0_NS1_11comp_targetILNS1_3genE3ELNS1_11target_archE908ELNS1_3gpuE7ELNS1_3repE0EEENS1_30default_config_static_selectorELNS0_4arch9wavefront6targetE0EEEvS10_.has_recursion, 0
	.set _ZN7rocprim17ROCPRIM_400000_NS6detail17trampoline_kernelINS0_14default_configENS1_21merge_config_selectorINS0_5tupleIJssEEENS0_10empty_typeEEEZNS1_10merge_implIS3_NS0_12zip_iteratorINS5_IJN6thrust23THRUST_200600_302600_NS6detail15normal_iteratorINSC_10device_ptrIKsEEEESI_EEEEESK_NSA_INS5_IJNSE_INSF_IsEEEESM_EEEEEPS7_SP_SP_NSC_11hip_rocprim7__merge17predicate_wrapperIssNSC_7greaterIsEEEEEE10hipError_tPvRmT0_T1_T2_T3_T4_T5_mmT6_P12ihipStream_tbEUlT_E0_NS1_11comp_targetILNS1_3genE3ELNS1_11target_archE908ELNS1_3gpuE7ELNS1_3repE0EEENS1_30default_config_static_selectorELNS0_4arch9wavefront6targetE0EEEvS10_.has_indirect_call, 0
	.section	.AMDGPU.csdata,"",@progbits
; Kernel info:
; codeLenInByte = 0
; TotalNumSgprs: 0
; NumVgprs: 0
; ScratchSize: 0
; MemoryBound: 0
; FloatMode: 240
; IeeeMode: 1
; LDSByteSize: 0 bytes/workgroup (compile time only)
; SGPRBlocks: 0
; VGPRBlocks: 0
; NumSGPRsForWavesPerEU: 1
; NumVGPRsForWavesPerEU: 1
; Occupancy: 16
; WaveLimiterHint : 0
; COMPUTE_PGM_RSRC2:SCRATCH_EN: 0
; COMPUTE_PGM_RSRC2:USER_SGPR: 6
; COMPUTE_PGM_RSRC2:TRAP_HANDLER: 0
; COMPUTE_PGM_RSRC2:TGID_X_EN: 1
; COMPUTE_PGM_RSRC2:TGID_Y_EN: 0
; COMPUTE_PGM_RSRC2:TGID_Z_EN: 0
; COMPUTE_PGM_RSRC2:TIDIG_COMP_CNT: 0
	.section	.text._ZN7rocprim17ROCPRIM_400000_NS6detail17trampoline_kernelINS0_14default_configENS1_21merge_config_selectorINS0_5tupleIJssEEENS0_10empty_typeEEEZNS1_10merge_implIS3_NS0_12zip_iteratorINS5_IJN6thrust23THRUST_200600_302600_NS6detail15normal_iteratorINSC_10device_ptrIKsEEEESI_EEEEESK_NSA_INS5_IJNSE_INSF_IsEEEESM_EEEEEPS7_SP_SP_NSC_11hip_rocprim7__merge17predicate_wrapperIssNSC_7greaterIsEEEEEE10hipError_tPvRmT0_T1_T2_T3_T4_T5_mmT6_P12ihipStream_tbEUlT_E0_NS1_11comp_targetILNS1_3genE2ELNS1_11target_archE906ELNS1_3gpuE6ELNS1_3repE0EEENS1_30default_config_static_selectorELNS0_4arch9wavefront6targetE0EEEvS10_,"axG",@progbits,_ZN7rocprim17ROCPRIM_400000_NS6detail17trampoline_kernelINS0_14default_configENS1_21merge_config_selectorINS0_5tupleIJssEEENS0_10empty_typeEEEZNS1_10merge_implIS3_NS0_12zip_iteratorINS5_IJN6thrust23THRUST_200600_302600_NS6detail15normal_iteratorINSC_10device_ptrIKsEEEESI_EEEEESK_NSA_INS5_IJNSE_INSF_IsEEEESM_EEEEEPS7_SP_SP_NSC_11hip_rocprim7__merge17predicate_wrapperIssNSC_7greaterIsEEEEEE10hipError_tPvRmT0_T1_T2_T3_T4_T5_mmT6_P12ihipStream_tbEUlT_E0_NS1_11comp_targetILNS1_3genE2ELNS1_11target_archE906ELNS1_3gpuE6ELNS1_3repE0EEENS1_30default_config_static_selectorELNS0_4arch9wavefront6targetE0EEEvS10_,comdat
	.protected	_ZN7rocprim17ROCPRIM_400000_NS6detail17trampoline_kernelINS0_14default_configENS1_21merge_config_selectorINS0_5tupleIJssEEENS0_10empty_typeEEEZNS1_10merge_implIS3_NS0_12zip_iteratorINS5_IJN6thrust23THRUST_200600_302600_NS6detail15normal_iteratorINSC_10device_ptrIKsEEEESI_EEEEESK_NSA_INS5_IJNSE_INSF_IsEEEESM_EEEEEPS7_SP_SP_NSC_11hip_rocprim7__merge17predicate_wrapperIssNSC_7greaterIsEEEEEE10hipError_tPvRmT0_T1_T2_T3_T4_T5_mmT6_P12ihipStream_tbEUlT_E0_NS1_11comp_targetILNS1_3genE2ELNS1_11target_archE906ELNS1_3gpuE6ELNS1_3repE0EEENS1_30default_config_static_selectorELNS0_4arch9wavefront6targetE0EEEvS10_ ; -- Begin function _ZN7rocprim17ROCPRIM_400000_NS6detail17trampoline_kernelINS0_14default_configENS1_21merge_config_selectorINS0_5tupleIJssEEENS0_10empty_typeEEEZNS1_10merge_implIS3_NS0_12zip_iteratorINS5_IJN6thrust23THRUST_200600_302600_NS6detail15normal_iteratorINSC_10device_ptrIKsEEEESI_EEEEESK_NSA_INS5_IJNSE_INSF_IsEEEESM_EEEEEPS7_SP_SP_NSC_11hip_rocprim7__merge17predicate_wrapperIssNSC_7greaterIsEEEEEE10hipError_tPvRmT0_T1_T2_T3_T4_T5_mmT6_P12ihipStream_tbEUlT_E0_NS1_11comp_targetILNS1_3genE2ELNS1_11target_archE906ELNS1_3gpuE6ELNS1_3repE0EEENS1_30default_config_static_selectorELNS0_4arch9wavefront6targetE0EEEvS10_
	.globl	_ZN7rocprim17ROCPRIM_400000_NS6detail17trampoline_kernelINS0_14default_configENS1_21merge_config_selectorINS0_5tupleIJssEEENS0_10empty_typeEEEZNS1_10merge_implIS3_NS0_12zip_iteratorINS5_IJN6thrust23THRUST_200600_302600_NS6detail15normal_iteratorINSC_10device_ptrIKsEEEESI_EEEEESK_NSA_INS5_IJNSE_INSF_IsEEEESM_EEEEEPS7_SP_SP_NSC_11hip_rocprim7__merge17predicate_wrapperIssNSC_7greaterIsEEEEEE10hipError_tPvRmT0_T1_T2_T3_T4_T5_mmT6_P12ihipStream_tbEUlT_E0_NS1_11comp_targetILNS1_3genE2ELNS1_11target_archE906ELNS1_3gpuE6ELNS1_3repE0EEENS1_30default_config_static_selectorELNS0_4arch9wavefront6targetE0EEEvS10_
	.p2align	8
	.type	_ZN7rocprim17ROCPRIM_400000_NS6detail17trampoline_kernelINS0_14default_configENS1_21merge_config_selectorINS0_5tupleIJssEEENS0_10empty_typeEEEZNS1_10merge_implIS3_NS0_12zip_iteratorINS5_IJN6thrust23THRUST_200600_302600_NS6detail15normal_iteratorINSC_10device_ptrIKsEEEESI_EEEEESK_NSA_INS5_IJNSE_INSF_IsEEEESM_EEEEEPS7_SP_SP_NSC_11hip_rocprim7__merge17predicate_wrapperIssNSC_7greaterIsEEEEEE10hipError_tPvRmT0_T1_T2_T3_T4_T5_mmT6_P12ihipStream_tbEUlT_E0_NS1_11comp_targetILNS1_3genE2ELNS1_11target_archE906ELNS1_3gpuE6ELNS1_3repE0EEENS1_30default_config_static_selectorELNS0_4arch9wavefront6targetE0EEEvS10_,@function
_ZN7rocprim17ROCPRIM_400000_NS6detail17trampoline_kernelINS0_14default_configENS1_21merge_config_selectorINS0_5tupleIJssEEENS0_10empty_typeEEEZNS1_10merge_implIS3_NS0_12zip_iteratorINS5_IJN6thrust23THRUST_200600_302600_NS6detail15normal_iteratorINSC_10device_ptrIKsEEEESI_EEEEESK_NSA_INS5_IJNSE_INSF_IsEEEESM_EEEEEPS7_SP_SP_NSC_11hip_rocprim7__merge17predicate_wrapperIssNSC_7greaterIsEEEEEE10hipError_tPvRmT0_T1_T2_T3_T4_T5_mmT6_P12ihipStream_tbEUlT_E0_NS1_11comp_targetILNS1_3genE2ELNS1_11target_archE906ELNS1_3gpuE6ELNS1_3repE0EEENS1_30default_config_static_selectorELNS0_4arch9wavefront6targetE0EEEvS10_: ; @_ZN7rocprim17ROCPRIM_400000_NS6detail17trampoline_kernelINS0_14default_configENS1_21merge_config_selectorINS0_5tupleIJssEEENS0_10empty_typeEEEZNS1_10merge_implIS3_NS0_12zip_iteratorINS5_IJN6thrust23THRUST_200600_302600_NS6detail15normal_iteratorINSC_10device_ptrIKsEEEESI_EEEEESK_NSA_INS5_IJNSE_INSF_IsEEEESM_EEEEEPS7_SP_SP_NSC_11hip_rocprim7__merge17predicate_wrapperIssNSC_7greaterIsEEEEEE10hipError_tPvRmT0_T1_T2_T3_T4_T5_mmT6_P12ihipStream_tbEUlT_E0_NS1_11comp_targetILNS1_3genE2ELNS1_11target_archE906ELNS1_3gpuE6ELNS1_3repE0EEENS1_30default_config_static_selectorELNS0_4arch9wavefront6targetE0EEEvS10_
; %bb.0:
	.section	.rodata,"a",@progbits
	.p2align	6, 0x0
	.amdhsa_kernel _ZN7rocprim17ROCPRIM_400000_NS6detail17trampoline_kernelINS0_14default_configENS1_21merge_config_selectorINS0_5tupleIJssEEENS0_10empty_typeEEEZNS1_10merge_implIS3_NS0_12zip_iteratorINS5_IJN6thrust23THRUST_200600_302600_NS6detail15normal_iteratorINSC_10device_ptrIKsEEEESI_EEEEESK_NSA_INS5_IJNSE_INSF_IsEEEESM_EEEEEPS7_SP_SP_NSC_11hip_rocprim7__merge17predicate_wrapperIssNSC_7greaterIsEEEEEE10hipError_tPvRmT0_T1_T2_T3_T4_T5_mmT6_P12ihipStream_tbEUlT_E0_NS1_11comp_targetILNS1_3genE2ELNS1_11target_archE906ELNS1_3gpuE6ELNS1_3repE0EEENS1_30default_config_static_selectorELNS0_4arch9wavefront6targetE0EEEvS10_
		.amdhsa_group_segment_fixed_size 0
		.amdhsa_private_segment_fixed_size 0
		.amdhsa_kernarg_size 112
		.amdhsa_user_sgpr_count 6
		.amdhsa_user_sgpr_private_segment_buffer 1
		.amdhsa_user_sgpr_dispatch_ptr 0
		.amdhsa_user_sgpr_queue_ptr 0
		.amdhsa_user_sgpr_kernarg_segment_ptr 1
		.amdhsa_user_sgpr_dispatch_id 0
		.amdhsa_user_sgpr_flat_scratch_init 0
		.amdhsa_user_sgpr_private_segment_size 0
		.amdhsa_wavefront_size32 1
		.amdhsa_uses_dynamic_stack 0
		.amdhsa_system_sgpr_private_segment_wavefront_offset 0
		.amdhsa_system_sgpr_workgroup_id_x 1
		.amdhsa_system_sgpr_workgroup_id_y 0
		.amdhsa_system_sgpr_workgroup_id_z 0
		.amdhsa_system_sgpr_workgroup_info 0
		.amdhsa_system_vgpr_workitem_id 0
		.amdhsa_next_free_vgpr 1
		.amdhsa_next_free_sgpr 1
		.amdhsa_reserve_vcc 0
		.amdhsa_reserve_flat_scratch 0
		.amdhsa_float_round_mode_32 0
		.amdhsa_float_round_mode_16_64 0
		.amdhsa_float_denorm_mode_32 3
		.amdhsa_float_denorm_mode_16_64 3
		.amdhsa_dx10_clamp 1
		.amdhsa_ieee_mode 1
		.amdhsa_fp16_overflow 0
		.amdhsa_workgroup_processor_mode 1
		.amdhsa_memory_ordered 1
		.amdhsa_forward_progress 1
		.amdhsa_shared_vgpr_count 0
		.amdhsa_exception_fp_ieee_invalid_op 0
		.amdhsa_exception_fp_denorm_src 0
		.amdhsa_exception_fp_ieee_div_zero 0
		.amdhsa_exception_fp_ieee_overflow 0
		.amdhsa_exception_fp_ieee_underflow 0
		.amdhsa_exception_fp_ieee_inexact 0
		.amdhsa_exception_int_div_zero 0
	.end_amdhsa_kernel
	.section	.text._ZN7rocprim17ROCPRIM_400000_NS6detail17trampoline_kernelINS0_14default_configENS1_21merge_config_selectorINS0_5tupleIJssEEENS0_10empty_typeEEEZNS1_10merge_implIS3_NS0_12zip_iteratorINS5_IJN6thrust23THRUST_200600_302600_NS6detail15normal_iteratorINSC_10device_ptrIKsEEEESI_EEEEESK_NSA_INS5_IJNSE_INSF_IsEEEESM_EEEEEPS7_SP_SP_NSC_11hip_rocprim7__merge17predicate_wrapperIssNSC_7greaterIsEEEEEE10hipError_tPvRmT0_T1_T2_T3_T4_T5_mmT6_P12ihipStream_tbEUlT_E0_NS1_11comp_targetILNS1_3genE2ELNS1_11target_archE906ELNS1_3gpuE6ELNS1_3repE0EEENS1_30default_config_static_selectorELNS0_4arch9wavefront6targetE0EEEvS10_,"axG",@progbits,_ZN7rocprim17ROCPRIM_400000_NS6detail17trampoline_kernelINS0_14default_configENS1_21merge_config_selectorINS0_5tupleIJssEEENS0_10empty_typeEEEZNS1_10merge_implIS3_NS0_12zip_iteratorINS5_IJN6thrust23THRUST_200600_302600_NS6detail15normal_iteratorINSC_10device_ptrIKsEEEESI_EEEEESK_NSA_INS5_IJNSE_INSF_IsEEEESM_EEEEEPS7_SP_SP_NSC_11hip_rocprim7__merge17predicate_wrapperIssNSC_7greaterIsEEEEEE10hipError_tPvRmT0_T1_T2_T3_T4_T5_mmT6_P12ihipStream_tbEUlT_E0_NS1_11comp_targetILNS1_3genE2ELNS1_11target_archE906ELNS1_3gpuE6ELNS1_3repE0EEENS1_30default_config_static_selectorELNS0_4arch9wavefront6targetE0EEEvS10_,comdat
.Lfunc_end456:
	.size	_ZN7rocprim17ROCPRIM_400000_NS6detail17trampoline_kernelINS0_14default_configENS1_21merge_config_selectorINS0_5tupleIJssEEENS0_10empty_typeEEEZNS1_10merge_implIS3_NS0_12zip_iteratorINS5_IJN6thrust23THRUST_200600_302600_NS6detail15normal_iteratorINSC_10device_ptrIKsEEEESI_EEEEESK_NSA_INS5_IJNSE_INSF_IsEEEESM_EEEEEPS7_SP_SP_NSC_11hip_rocprim7__merge17predicate_wrapperIssNSC_7greaterIsEEEEEE10hipError_tPvRmT0_T1_T2_T3_T4_T5_mmT6_P12ihipStream_tbEUlT_E0_NS1_11comp_targetILNS1_3genE2ELNS1_11target_archE906ELNS1_3gpuE6ELNS1_3repE0EEENS1_30default_config_static_selectorELNS0_4arch9wavefront6targetE0EEEvS10_, .Lfunc_end456-_ZN7rocprim17ROCPRIM_400000_NS6detail17trampoline_kernelINS0_14default_configENS1_21merge_config_selectorINS0_5tupleIJssEEENS0_10empty_typeEEEZNS1_10merge_implIS3_NS0_12zip_iteratorINS5_IJN6thrust23THRUST_200600_302600_NS6detail15normal_iteratorINSC_10device_ptrIKsEEEESI_EEEEESK_NSA_INS5_IJNSE_INSF_IsEEEESM_EEEEEPS7_SP_SP_NSC_11hip_rocprim7__merge17predicate_wrapperIssNSC_7greaterIsEEEEEE10hipError_tPvRmT0_T1_T2_T3_T4_T5_mmT6_P12ihipStream_tbEUlT_E0_NS1_11comp_targetILNS1_3genE2ELNS1_11target_archE906ELNS1_3gpuE6ELNS1_3repE0EEENS1_30default_config_static_selectorELNS0_4arch9wavefront6targetE0EEEvS10_
                                        ; -- End function
	.set _ZN7rocprim17ROCPRIM_400000_NS6detail17trampoline_kernelINS0_14default_configENS1_21merge_config_selectorINS0_5tupleIJssEEENS0_10empty_typeEEEZNS1_10merge_implIS3_NS0_12zip_iteratorINS5_IJN6thrust23THRUST_200600_302600_NS6detail15normal_iteratorINSC_10device_ptrIKsEEEESI_EEEEESK_NSA_INS5_IJNSE_INSF_IsEEEESM_EEEEEPS7_SP_SP_NSC_11hip_rocprim7__merge17predicate_wrapperIssNSC_7greaterIsEEEEEE10hipError_tPvRmT0_T1_T2_T3_T4_T5_mmT6_P12ihipStream_tbEUlT_E0_NS1_11comp_targetILNS1_3genE2ELNS1_11target_archE906ELNS1_3gpuE6ELNS1_3repE0EEENS1_30default_config_static_selectorELNS0_4arch9wavefront6targetE0EEEvS10_.num_vgpr, 0
	.set _ZN7rocprim17ROCPRIM_400000_NS6detail17trampoline_kernelINS0_14default_configENS1_21merge_config_selectorINS0_5tupleIJssEEENS0_10empty_typeEEEZNS1_10merge_implIS3_NS0_12zip_iteratorINS5_IJN6thrust23THRUST_200600_302600_NS6detail15normal_iteratorINSC_10device_ptrIKsEEEESI_EEEEESK_NSA_INS5_IJNSE_INSF_IsEEEESM_EEEEEPS7_SP_SP_NSC_11hip_rocprim7__merge17predicate_wrapperIssNSC_7greaterIsEEEEEE10hipError_tPvRmT0_T1_T2_T3_T4_T5_mmT6_P12ihipStream_tbEUlT_E0_NS1_11comp_targetILNS1_3genE2ELNS1_11target_archE906ELNS1_3gpuE6ELNS1_3repE0EEENS1_30default_config_static_selectorELNS0_4arch9wavefront6targetE0EEEvS10_.num_agpr, 0
	.set _ZN7rocprim17ROCPRIM_400000_NS6detail17trampoline_kernelINS0_14default_configENS1_21merge_config_selectorINS0_5tupleIJssEEENS0_10empty_typeEEEZNS1_10merge_implIS3_NS0_12zip_iteratorINS5_IJN6thrust23THRUST_200600_302600_NS6detail15normal_iteratorINSC_10device_ptrIKsEEEESI_EEEEESK_NSA_INS5_IJNSE_INSF_IsEEEESM_EEEEEPS7_SP_SP_NSC_11hip_rocprim7__merge17predicate_wrapperIssNSC_7greaterIsEEEEEE10hipError_tPvRmT0_T1_T2_T3_T4_T5_mmT6_P12ihipStream_tbEUlT_E0_NS1_11comp_targetILNS1_3genE2ELNS1_11target_archE906ELNS1_3gpuE6ELNS1_3repE0EEENS1_30default_config_static_selectorELNS0_4arch9wavefront6targetE0EEEvS10_.numbered_sgpr, 0
	.set _ZN7rocprim17ROCPRIM_400000_NS6detail17trampoline_kernelINS0_14default_configENS1_21merge_config_selectorINS0_5tupleIJssEEENS0_10empty_typeEEEZNS1_10merge_implIS3_NS0_12zip_iteratorINS5_IJN6thrust23THRUST_200600_302600_NS6detail15normal_iteratorINSC_10device_ptrIKsEEEESI_EEEEESK_NSA_INS5_IJNSE_INSF_IsEEEESM_EEEEEPS7_SP_SP_NSC_11hip_rocprim7__merge17predicate_wrapperIssNSC_7greaterIsEEEEEE10hipError_tPvRmT0_T1_T2_T3_T4_T5_mmT6_P12ihipStream_tbEUlT_E0_NS1_11comp_targetILNS1_3genE2ELNS1_11target_archE906ELNS1_3gpuE6ELNS1_3repE0EEENS1_30default_config_static_selectorELNS0_4arch9wavefront6targetE0EEEvS10_.num_named_barrier, 0
	.set _ZN7rocprim17ROCPRIM_400000_NS6detail17trampoline_kernelINS0_14default_configENS1_21merge_config_selectorINS0_5tupleIJssEEENS0_10empty_typeEEEZNS1_10merge_implIS3_NS0_12zip_iteratorINS5_IJN6thrust23THRUST_200600_302600_NS6detail15normal_iteratorINSC_10device_ptrIKsEEEESI_EEEEESK_NSA_INS5_IJNSE_INSF_IsEEEESM_EEEEEPS7_SP_SP_NSC_11hip_rocprim7__merge17predicate_wrapperIssNSC_7greaterIsEEEEEE10hipError_tPvRmT0_T1_T2_T3_T4_T5_mmT6_P12ihipStream_tbEUlT_E0_NS1_11comp_targetILNS1_3genE2ELNS1_11target_archE906ELNS1_3gpuE6ELNS1_3repE0EEENS1_30default_config_static_selectorELNS0_4arch9wavefront6targetE0EEEvS10_.private_seg_size, 0
	.set _ZN7rocprim17ROCPRIM_400000_NS6detail17trampoline_kernelINS0_14default_configENS1_21merge_config_selectorINS0_5tupleIJssEEENS0_10empty_typeEEEZNS1_10merge_implIS3_NS0_12zip_iteratorINS5_IJN6thrust23THRUST_200600_302600_NS6detail15normal_iteratorINSC_10device_ptrIKsEEEESI_EEEEESK_NSA_INS5_IJNSE_INSF_IsEEEESM_EEEEEPS7_SP_SP_NSC_11hip_rocprim7__merge17predicate_wrapperIssNSC_7greaterIsEEEEEE10hipError_tPvRmT0_T1_T2_T3_T4_T5_mmT6_P12ihipStream_tbEUlT_E0_NS1_11comp_targetILNS1_3genE2ELNS1_11target_archE906ELNS1_3gpuE6ELNS1_3repE0EEENS1_30default_config_static_selectorELNS0_4arch9wavefront6targetE0EEEvS10_.uses_vcc, 0
	.set _ZN7rocprim17ROCPRIM_400000_NS6detail17trampoline_kernelINS0_14default_configENS1_21merge_config_selectorINS0_5tupleIJssEEENS0_10empty_typeEEEZNS1_10merge_implIS3_NS0_12zip_iteratorINS5_IJN6thrust23THRUST_200600_302600_NS6detail15normal_iteratorINSC_10device_ptrIKsEEEESI_EEEEESK_NSA_INS5_IJNSE_INSF_IsEEEESM_EEEEEPS7_SP_SP_NSC_11hip_rocprim7__merge17predicate_wrapperIssNSC_7greaterIsEEEEEE10hipError_tPvRmT0_T1_T2_T3_T4_T5_mmT6_P12ihipStream_tbEUlT_E0_NS1_11comp_targetILNS1_3genE2ELNS1_11target_archE906ELNS1_3gpuE6ELNS1_3repE0EEENS1_30default_config_static_selectorELNS0_4arch9wavefront6targetE0EEEvS10_.uses_flat_scratch, 0
	.set _ZN7rocprim17ROCPRIM_400000_NS6detail17trampoline_kernelINS0_14default_configENS1_21merge_config_selectorINS0_5tupleIJssEEENS0_10empty_typeEEEZNS1_10merge_implIS3_NS0_12zip_iteratorINS5_IJN6thrust23THRUST_200600_302600_NS6detail15normal_iteratorINSC_10device_ptrIKsEEEESI_EEEEESK_NSA_INS5_IJNSE_INSF_IsEEEESM_EEEEEPS7_SP_SP_NSC_11hip_rocprim7__merge17predicate_wrapperIssNSC_7greaterIsEEEEEE10hipError_tPvRmT0_T1_T2_T3_T4_T5_mmT6_P12ihipStream_tbEUlT_E0_NS1_11comp_targetILNS1_3genE2ELNS1_11target_archE906ELNS1_3gpuE6ELNS1_3repE0EEENS1_30default_config_static_selectorELNS0_4arch9wavefront6targetE0EEEvS10_.has_dyn_sized_stack, 0
	.set _ZN7rocprim17ROCPRIM_400000_NS6detail17trampoline_kernelINS0_14default_configENS1_21merge_config_selectorINS0_5tupleIJssEEENS0_10empty_typeEEEZNS1_10merge_implIS3_NS0_12zip_iteratorINS5_IJN6thrust23THRUST_200600_302600_NS6detail15normal_iteratorINSC_10device_ptrIKsEEEESI_EEEEESK_NSA_INS5_IJNSE_INSF_IsEEEESM_EEEEEPS7_SP_SP_NSC_11hip_rocprim7__merge17predicate_wrapperIssNSC_7greaterIsEEEEEE10hipError_tPvRmT0_T1_T2_T3_T4_T5_mmT6_P12ihipStream_tbEUlT_E0_NS1_11comp_targetILNS1_3genE2ELNS1_11target_archE906ELNS1_3gpuE6ELNS1_3repE0EEENS1_30default_config_static_selectorELNS0_4arch9wavefront6targetE0EEEvS10_.has_recursion, 0
	.set _ZN7rocprim17ROCPRIM_400000_NS6detail17trampoline_kernelINS0_14default_configENS1_21merge_config_selectorINS0_5tupleIJssEEENS0_10empty_typeEEEZNS1_10merge_implIS3_NS0_12zip_iteratorINS5_IJN6thrust23THRUST_200600_302600_NS6detail15normal_iteratorINSC_10device_ptrIKsEEEESI_EEEEESK_NSA_INS5_IJNSE_INSF_IsEEEESM_EEEEEPS7_SP_SP_NSC_11hip_rocprim7__merge17predicate_wrapperIssNSC_7greaterIsEEEEEE10hipError_tPvRmT0_T1_T2_T3_T4_T5_mmT6_P12ihipStream_tbEUlT_E0_NS1_11comp_targetILNS1_3genE2ELNS1_11target_archE906ELNS1_3gpuE6ELNS1_3repE0EEENS1_30default_config_static_selectorELNS0_4arch9wavefront6targetE0EEEvS10_.has_indirect_call, 0
	.section	.AMDGPU.csdata,"",@progbits
; Kernel info:
; codeLenInByte = 0
; TotalNumSgprs: 0
; NumVgprs: 0
; ScratchSize: 0
; MemoryBound: 0
; FloatMode: 240
; IeeeMode: 1
; LDSByteSize: 0 bytes/workgroup (compile time only)
; SGPRBlocks: 0
; VGPRBlocks: 0
; NumSGPRsForWavesPerEU: 1
; NumVGPRsForWavesPerEU: 1
; Occupancy: 16
; WaveLimiterHint : 0
; COMPUTE_PGM_RSRC2:SCRATCH_EN: 0
; COMPUTE_PGM_RSRC2:USER_SGPR: 6
; COMPUTE_PGM_RSRC2:TRAP_HANDLER: 0
; COMPUTE_PGM_RSRC2:TGID_X_EN: 1
; COMPUTE_PGM_RSRC2:TGID_Y_EN: 0
; COMPUTE_PGM_RSRC2:TGID_Z_EN: 0
; COMPUTE_PGM_RSRC2:TIDIG_COMP_CNT: 0
	.section	.text._ZN7rocprim17ROCPRIM_400000_NS6detail17trampoline_kernelINS0_14default_configENS1_21merge_config_selectorINS0_5tupleIJssEEENS0_10empty_typeEEEZNS1_10merge_implIS3_NS0_12zip_iteratorINS5_IJN6thrust23THRUST_200600_302600_NS6detail15normal_iteratorINSC_10device_ptrIKsEEEESI_EEEEESK_NSA_INS5_IJNSE_INSF_IsEEEESM_EEEEEPS7_SP_SP_NSC_11hip_rocprim7__merge17predicate_wrapperIssNSC_7greaterIsEEEEEE10hipError_tPvRmT0_T1_T2_T3_T4_T5_mmT6_P12ihipStream_tbEUlT_E0_NS1_11comp_targetILNS1_3genE10ELNS1_11target_archE1201ELNS1_3gpuE5ELNS1_3repE0EEENS1_30default_config_static_selectorELNS0_4arch9wavefront6targetE0EEEvS10_,"axG",@progbits,_ZN7rocprim17ROCPRIM_400000_NS6detail17trampoline_kernelINS0_14default_configENS1_21merge_config_selectorINS0_5tupleIJssEEENS0_10empty_typeEEEZNS1_10merge_implIS3_NS0_12zip_iteratorINS5_IJN6thrust23THRUST_200600_302600_NS6detail15normal_iteratorINSC_10device_ptrIKsEEEESI_EEEEESK_NSA_INS5_IJNSE_INSF_IsEEEESM_EEEEEPS7_SP_SP_NSC_11hip_rocprim7__merge17predicate_wrapperIssNSC_7greaterIsEEEEEE10hipError_tPvRmT0_T1_T2_T3_T4_T5_mmT6_P12ihipStream_tbEUlT_E0_NS1_11comp_targetILNS1_3genE10ELNS1_11target_archE1201ELNS1_3gpuE5ELNS1_3repE0EEENS1_30default_config_static_selectorELNS0_4arch9wavefront6targetE0EEEvS10_,comdat
	.protected	_ZN7rocprim17ROCPRIM_400000_NS6detail17trampoline_kernelINS0_14default_configENS1_21merge_config_selectorINS0_5tupleIJssEEENS0_10empty_typeEEEZNS1_10merge_implIS3_NS0_12zip_iteratorINS5_IJN6thrust23THRUST_200600_302600_NS6detail15normal_iteratorINSC_10device_ptrIKsEEEESI_EEEEESK_NSA_INS5_IJNSE_INSF_IsEEEESM_EEEEEPS7_SP_SP_NSC_11hip_rocprim7__merge17predicate_wrapperIssNSC_7greaterIsEEEEEE10hipError_tPvRmT0_T1_T2_T3_T4_T5_mmT6_P12ihipStream_tbEUlT_E0_NS1_11comp_targetILNS1_3genE10ELNS1_11target_archE1201ELNS1_3gpuE5ELNS1_3repE0EEENS1_30default_config_static_selectorELNS0_4arch9wavefront6targetE0EEEvS10_ ; -- Begin function _ZN7rocprim17ROCPRIM_400000_NS6detail17trampoline_kernelINS0_14default_configENS1_21merge_config_selectorINS0_5tupleIJssEEENS0_10empty_typeEEEZNS1_10merge_implIS3_NS0_12zip_iteratorINS5_IJN6thrust23THRUST_200600_302600_NS6detail15normal_iteratorINSC_10device_ptrIKsEEEESI_EEEEESK_NSA_INS5_IJNSE_INSF_IsEEEESM_EEEEEPS7_SP_SP_NSC_11hip_rocprim7__merge17predicate_wrapperIssNSC_7greaterIsEEEEEE10hipError_tPvRmT0_T1_T2_T3_T4_T5_mmT6_P12ihipStream_tbEUlT_E0_NS1_11comp_targetILNS1_3genE10ELNS1_11target_archE1201ELNS1_3gpuE5ELNS1_3repE0EEENS1_30default_config_static_selectorELNS0_4arch9wavefront6targetE0EEEvS10_
	.globl	_ZN7rocprim17ROCPRIM_400000_NS6detail17trampoline_kernelINS0_14default_configENS1_21merge_config_selectorINS0_5tupleIJssEEENS0_10empty_typeEEEZNS1_10merge_implIS3_NS0_12zip_iteratorINS5_IJN6thrust23THRUST_200600_302600_NS6detail15normal_iteratorINSC_10device_ptrIKsEEEESI_EEEEESK_NSA_INS5_IJNSE_INSF_IsEEEESM_EEEEEPS7_SP_SP_NSC_11hip_rocprim7__merge17predicate_wrapperIssNSC_7greaterIsEEEEEE10hipError_tPvRmT0_T1_T2_T3_T4_T5_mmT6_P12ihipStream_tbEUlT_E0_NS1_11comp_targetILNS1_3genE10ELNS1_11target_archE1201ELNS1_3gpuE5ELNS1_3repE0EEENS1_30default_config_static_selectorELNS0_4arch9wavefront6targetE0EEEvS10_
	.p2align	8
	.type	_ZN7rocprim17ROCPRIM_400000_NS6detail17trampoline_kernelINS0_14default_configENS1_21merge_config_selectorINS0_5tupleIJssEEENS0_10empty_typeEEEZNS1_10merge_implIS3_NS0_12zip_iteratorINS5_IJN6thrust23THRUST_200600_302600_NS6detail15normal_iteratorINSC_10device_ptrIKsEEEESI_EEEEESK_NSA_INS5_IJNSE_INSF_IsEEEESM_EEEEEPS7_SP_SP_NSC_11hip_rocprim7__merge17predicate_wrapperIssNSC_7greaterIsEEEEEE10hipError_tPvRmT0_T1_T2_T3_T4_T5_mmT6_P12ihipStream_tbEUlT_E0_NS1_11comp_targetILNS1_3genE10ELNS1_11target_archE1201ELNS1_3gpuE5ELNS1_3repE0EEENS1_30default_config_static_selectorELNS0_4arch9wavefront6targetE0EEEvS10_,@function
_ZN7rocprim17ROCPRIM_400000_NS6detail17trampoline_kernelINS0_14default_configENS1_21merge_config_selectorINS0_5tupleIJssEEENS0_10empty_typeEEEZNS1_10merge_implIS3_NS0_12zip_iteratorINS5_IJN6thrust23THRUST_200600_302600_NS6detail15normal_iteratorINSC_10device_ptrIKsEEEESI_EEEEESK_NSA_INS5_IJNSE_INSF_IsEEEESM_EEEEEPS7_SP_SP_NSC_11hip_rocprim7__merge17predicate_wrapperIssNSC_7greaterIsEEEEEE10hipError_tPvRmT0_T1_T2_T3_T4_T5_mmT6_P12ihipStream_tbEUlT_E0_NS1_11comp_targetILNS1_3genE10ELNS1_11target_archE1201ELNS1_3gpuE5ELNS1_3repE0EEENS1_30default_config_static_selectorELNS0_4arch9wavefront6targetE0EEEvS10_: ; @_ZN7rocprim17ROCPRIM_400000_NS6detail17trampoline_kernelINS0_14default_configENS1_21merge_config_selectorINS0_5tupleIJssEEENS0_10empty_typeEEEZNS1_10merge_implIS3_NS0_12zip_iteratorINS5_IJN6thrust23THRUST_200600_302600_NS6detail15normal_iteratorINSC_10device_ptrIKsEEEESI_EEEEESK_NSA_INS5_IJNSE_INSF_IsEEEESM_EEEEEPS7_SP_SP_NSC_11hip_rocprim7__merge17predicate_wrapperIssNSC_7greaterIsEEEEEE10hipError_tPvRmT0_T1_T2_T3_T4_T5_mmT6_P12ihipStream_tbEUlT_E0_NS1_11comp_targetILNS1_3genE10ELNS1_11target_archE1201ELNS1_3gpuE5ELNS1_3repE0EEENS1_30default_config_static_selectorELNS0_4arch9wavefront6targetE0EEEvS10_
; %bb.0:
	.section	.rodata,"a",@progbits
	.p2align	6, 0x0
	.amdhsa_kernel _ZN7rocprim17ROCPRIM_400000_NS6detail17trampoline_kernelINS0_14default_configENS1_21merge_config_selectorINS0_5tupleIJssEEENS0_10empty_typeEEEZNS1_10merge_implIS3_NS0_12zip_iteratorINS5_IJN6thrust23THRUST_200600_302600_NS6detail15normal_iteratorINSC_10device_ptrIKsEEEESI_EEEEESK_NSA_INS5_IJNSE_INSF_IsEEEESM_EEEEEPS7_SP_SP_NSC_11hip_rocprim7__merge17predicate_wrapperIssNSC_7greaterIsEEEEEE10hipError_tPvRmT0_T1_T2_T3_T4_T5_mmT6_P12ihipStream_tbEUlT_E0_NS1_11comp_targetILNS1_3genE10ELNS1_11target_archE1201ELNS1_3gpuE5ELNS1_3repE0EEENS1_30default_config_static_selectorELNS0_4arch9wavefront6targetE0EEEvS10_
		.amdhsa_group_segment_fixed_size 0
		.amdhsa_private_segment_fixed_size 0
		.amdhsa_kernarg_size 112
		.amdhsa_user_sgpr_count 6
		.amdhsa_user_sgpr_private_segment_buffer 1
		.amdhsa_user_sgpr_dispatch_ptr 0
		.amdhsa_user_sgpr_queue_ptr 0
		.amdhsa_user_sgpr_kernarg_segment_ptr 1
		.amdhsa_user_sgpr_dispatch_id 0
		.amdhsa_user_sgpr_flat_scratch_init 0
		.amdhsa_user_sgpr_private_segment_size 0
		.amdhsa_wavefront_size32 1
		.amdhsa_uses_dynamic_stack 0
		.amdhsa_system_sgpr_private_segment_wavefront_offset 0
		.amdhsa_system_sgpr_workgroup_id_x 1
		.amdhsa_system_sgpr_workgroup_id_y 0
		.amdhsa_system_sgpr_workgroup_id_z 0
		.amdhsa_system_sgpr_workgroup_info 0
		.amdhsa_system_vgpr_workitem_id 0
		.amdhsa_next_free_vgpr 1
		.amdhsa_next_free_sgpr 1
		.amdhsa_reserve_vcc 0
		.amdhsa_reserve_flat_scratch 0
		.amdhsa_float_round_mode_32 0
		.amdhsa_float_round_mode_16_64 0
		.amdhsa_float_denorm_mode_32 3
		.amdhsa_float_denorm_mode_16_64 3
		.amdhsa_dx10_clamp 1
		.amdhsa_ieee_mode 1
		.amdhsa_fp16_overflow 0
		.amdhsa_workgroup_processor_mode 1
		.amdhsa_memory_ordered 1
		.amdhsa_forward_progress 1
		.amdhsa_shared_vgpr_count 0
		.amdhsa_exception_fp_ieee_invalid_op 0
		.amdhsa_exception_fp_denorm_src 0
		.amdhsa_exception_fp_ieee_div_zero 0
		.amdhsa_exception_fp_ieee_overflow 0
		.amdhsa_exception_fp_ieee_underflow 0
		.amdhsa_exception_fp_ieee_inexact 0
		.amdhsa_exception_int_div_zero 0
	.end_amdhsa_kernel
	.section	.text._ZN7rocprim17ROCPRIM_400000_NS6detail17trampoline_kernelINS0_14default_configENS1_21merge_config_selectorINS0_5tupleIJssEEENS0_10empty_typeEEEZNS1_10merge_implIS3_NS0_12zip_iteratorINS5_IJN6thrust23THRUST_200600_302600_NS6detail15normal_iteratorINSC_10device_ptrIKsEEEESI_EEEEESK_NSA_INS5_IJNSE_INSF_IsEEEESM_EEEEEPS7_SP_SP_NSC_11hip_rocprim7__merge17predicate_wrapperIssNSC_7greaterIsEEEEEE10hipError_tPvRmT0_T1_T2_T3_T4_T5_mmT6_P12ihipStream_tbEUlT_E0_NS1_11comp_targetILNS1_3genE10ELNS1_11target_archE1201ELNS1_3gpuE5ELNS1_3repE0EEENS1_30default_config_static_selectorELNS0_4arch9wavefront6targetE0EEEvS10_,"axG",@progbits,_ZN7rocprim17ROCPRIM_400000_NS6detail17trampoline_kernelINS0_14default_configENS1_21merge_config_selectorINS0_5tupleIJssEEENS0_10empty_typeEEEZNS1_10merge_implIS3_NS0_12zip_iteratorINS5_IJN6thrust23THRUST_200600_302600_NS6detail15normal_iteratorINSC_10device_ptrIKsEEEESI_EEEEESK_NSA_INS5_IJNSE_INSF_IsEEEESM_EEEEEPS7_SP_SP_NSC_11hip_rocprim7__merge17predicate_wrapperIssNSC_7greaterIsEEEEEE10hipError_tPvRmT0_T1_T2_T3_T4_T5_mmT6_P12ihipStream_tbEUlT_E0_NS1_11comp_targetILNS1_3genE10ELNS1_11target_archE1201ELNS1_3gpuE5ELNS1_3repE0EEENS1_30default_config_static_selectorELNS0_4arch9wavefront6targetE0EEEvS10_,comdat
.Lfunc_end457:
	.size	_ZN7rocprim17ROCPRIM_400000_NS6detail17trampoline_kernelINS0_14default_configENS1_21merge_config_selectorINS0_5tupleIJssEEENS0_10empty_typeEEEZNS1_10merge_implIS3_NS0_12zip_iteratorINS5_IJN6thrust23THRUST_200600_302600_NS6detail15normal_iteratorINSC_10device_ptrIKsEEEESI_EEEEESK_NSA_INS5_IJNSE_INSF_IsEEEESM_EEEEEPS7_SP_SP_NSC_11hip_rocprim7__merge17predicate_wrapperIssNSC_7greaterIsEEEEEE10hipError_tPvRmT0_T1_T2_T3_T4_T5_mmT6_P12ihipStream_tbEUlT_E0_NS1_11comp_targetILNS1_3genE10ELNS1_11target_archE1201ELNS1_3gpuE5ELNS1_3repE0EEENS1_30default_config_static_selectorELNS0_4arch9wavefront6targetE0EEEvS10_, .Lfunc_end457-_ZN7rocprim17ROCPRIM_400000_NS6detail17trampoline_kernelINS0_14default_configENS1_21merge_config_selectorINS0_5tupleIJssEEENS0_10empty_typeEEEZNS1_10merge_implIS3_NS0_12zip_iteratorINS5_IJN6thrust23THRUST_200600_302600_NS6detail15normal_iteratorINSC_10device_ptrIKsEEEESI_EEEEESK_NSA_INS5_IJNSE_INSF_IsEEEESM_EEEEEPS7_SP_SP_NSC_11hip_rocprim7__merge17predicate_wrapperIssNSC_7greaterIsEEEEEE10hipError_tPvRmT0_T1_T2_T3_T4_T5_mmT6_P12ihipStream_tbEUlT_E0_NS1_11comp_targetILNS1_3genE10ELNS1_11target_archE1201ELNS1_3gpuE5ELNS1_3repE0EEENS1_30default_config_static_selectorELNS0_4arch9wavefront6targetE0EEEvS10_
                                        ; -- End function
	.set _ZN7rocprim17ROCPRIM_400000_NS6detail17trampoline_kernelINS0_14default_configENS1_21merge_config_selectorINS0_5tupleIJssEEENS0_10empty_typeEEEZNS1_10merge_implIS3_NS0_12zip_iteratorINS5_IJN6thrust23THRUST_200600_302600_NS6detail15normal_iteratorINSC_10device_ptrIKsEEEESI_EEEEESK_NSA_INS5_IJNSE_INSF_IsEEEESM_EEEEEPS7_SP_SP_NSC_11hip_rocprim7__merge17predicate_wrapperIssNSC_7greaterIsEEEEEE10hipError_tPvRmT0_T1_T2_T3_T4_T5_mmT6_P12ihipStream_tbEUlT_E0_NS1_11comp_targetILNS1_3genE10ELNS1_11target_archE1201ELNS1_3gpuE5ELNS1_3repE0EEENS1_30default_config_static_selectorELNS0_4arch9wavefront6targetE0EEEvS10_.num_vgpr, 0
	.set _ZN7rocprim17ROCPRIM_400000_NS6detail17trampoline_kernelINS0_14default_configENS1_21merge_config_selectorINS0_5tupleIJssEEENS0_10empty_typeEEEZNS1_10merge_implIS3_NS0_12zip_iteratorINS5_IJN6thrust23THRUST_200600_302600_NS6detail15normal_iteratorINSC_10device_ptrIKsEEEESI_EEEEESK_NSA_INS5_IJNSE_INSF_IsEEEESM_EEEEEPS7_SP_SP_NSC_11hip_rocprim7__merge17predicate_wrapperIssNSC_7greaterIsEEEEEE10hipError_tPvRmT0_T1_T2_T3_T4_T5_mmT6_P12ihipStream_tbEUlT_E0_NS1_11comp_targetILNS1_3genE10ELNS1_11target_archE1201ELNS1_3gpuE5ELNS1_3repE0EEENS1_30default_config_static_selectorELNS0_4arch9wavefront6targetE0EEEvS10_.num_agpr, 0
	.set _ZN7rocprim17ROCPRIM_400000_NS6detail17trampoline_kernelINS0_14default_configENS1_21merge_config_selectorINS0_5tupleIJssEEENS0_10empty_typeEEEZNS1_10merge_implIS3_NS0_12zip_iteratorINS5_IJN6thrust23THRUST_200600_302600_NS6detail15normal_iteratorINSC_10device_ptrIKsEEEESI_EEEEESK_NSA_INS5_IJNSE_INSF_IsEEEESM_EEEEEPS7_SP_SP_NSC_11hip_rocprim7__merge17predicate_wrapperIssNSC_7greaterIsEEEEEE10hipError_tPvRmT0_T1_T2_T3_T4_T5_mmT6_P12ihipStream_tbEUlT_E0_NS1_11comp_targetILNS1_3genE10ELNS1_11target_archE1201ELNS1_3gpuE5ELNS1_3repE0EEENS1_30default_config_static_selectorELNS0_4arch9wavefront6targetE0EEEvS10_.numbered_sgpr, 0
	.set _ZN7rocprim17ROCPRIM_400000_NS6detail17trampoline_kernelINS0_14default_configENS1_21merge_config_selectorINS0_5tupleIJssEEENS0_10empty_typeEEEZNS1_10merge_implIS3_NS0_12zip_iteratorINS5_IJN6thrust23THRUST_200600_302600_NS6detail15normal_iteratorINSC_10device_ptrIKsEEEESI_EEEEESK_NSA_INS5_IJNSE_INSF_IsEEEESM_EEEEEPS7_SP_SP_NSC_11hip_rocprim7__merge17predicate_wrapperIssNSC_7greaterIsEEEEEE10hipError_tPvRmT0_T1_T2_T3_T4_T5_mmT6_P12ihipStream_tbEUlT_E0_NS1_11comp_targetILNS1_3genE10ELNS1_11target_archE1201ELNS1_3gpuE5ELNS1_3repE0EEENS1_30default_config_static_selectorELNS0_4arch9wavefront6targetE0EEEvS10_.num_named_barrier, 0
	.set _ZN7rocprim17ROCPRIM_400000_NS6detail17trampoline_kernelINS0_14default_configENS1_21merge_config_selectorINS0_5tupleIJssEEENS0_10empty_typeEEEZNS1_10merge_implIS3_NS0_12zip_iteratorINS5_IJN6thrust23THRUST_200600_302600_NS6detail15normal_iteratorINSC_10device_ptrIKsEEEESI_EEEEESK_NSA_INS5_IJNSE_INSF_IsEEEESM_EEEEEPS7_SP_SP_NSC_11hip_rocprim7__merge17predicate_wrapperIssNSC_7greaterIsEEEEEE10hipError_tPvRmT0_T1_T2_T3_T4_T5_mmT6_P12ihipStream_tbEUlT_E0_NS1_11comp_targetILNS1_3genE10ELNS1_11target_archE1201ELNS1_3gpuE5ELNS1_3repE0EEENS1_30default_config_static_selectorELNS0_4arch9wavefront6targetE0EEEvS10_.private_seg_size, 0
	.set _ZN7rocprim17ROCPRIM_400000_NS6detail17trampoline_kernelINS0_14default_configENS1_21merge_config_selectorINS0_5tupleIJssEEENS0_10empty_typeEEEZNS1_10merge_implIS3_NS0_12zip_iteratorINS5_IJN6thrust23THRUST_200600_302600_NS6detail15normal_iteratorINSC_10device_ptrIKsEEEESI_EEEEESK_NSA_INS5_IJNSE_INSF_IsEEEESM_EEEEEPS7_SP_SP_NSC_11hip_rocprim7__merge17predicate_wrapperIssNSC_7greaterIsEEEEEE10hipError_tPvRmT0_T1_T2_T3_T4_T5_mmT6_P12ihipStream_tbEUlT_E0_NS1_11comp_targetILNS1_3genE10ELNS1_11target_archE1201ELNS1_3gpuE5ELNS1_3repE0EEENS1_30default_config_static_selectorELNS0_4arch9wavefront6targetE0EEEvS10_.uses_vcc, 0
	.set _ZN7rocprim17ROCPRIM_400000_NS6detail17trampoline_kernelINS0_14default_configENS1_21merge_config_selectorINS0_5tupleIJssEEENS0_10empty_typeEEEZNS1_10merge_implIS3_NS0_12zip_iteratorINS5_IJN6thrust23THRUST_200600_302600_NS6detail15normal_iteratorINSC_10device_ptrIKsEEEESI_EEEEESK_NSA_INS5_IJNSE_INSF_IsEEEESM_EEEEEPS7_SP_SP_NSC_11hip_rocprim7__merge17predicate_wrapperIssNSC_7greaterIsEEEEEE10hipError_tPvRmT0_T1_T2_T3_T4_T5_mmT6_P12ihipStream_tbEUlT_E0_NS1_11comp_targetILNS1_3genE10ELNS1_11target_archE1201ELNS1_3gpuE5ELNS1_3repE0EEENS1_30default_config_static_selectorELNS0_4arch9wavefront6targetE0EEEvS10_.uses_flat_scratch, 0
	.set _ZN7rocprim17ROCPRIM_400000_NS6detail17trampoline_kernelINS0_14default_configENS1_21merge_config_selectorINS0_5tupleIJssEEENS0_10empty_typeEEEZNS1_10merge_implIS3_NS0_12zip_iteratorINS5_IJN6thrust23THRUST_200600_302600_NS6detail15normal_iteratorINSC_10device_ptrIKsEEEESI_EEEEESK_NSA_INS5_IJNSE_INSF_IsEEEESM_EEEEEPS7_SP_SP_NSC_11hip_rocprim7__merge17predicate_wrapperIssNSC_7greaterIsEEEEEE10hipError_tPvRmT0_T1_T2_T3_T4_T5_mmT6_P12ihipStream_tbEUlT_E0_NS1_11comp_targetILNS1_3genE10ELNS1_11target_archE1201ELNS1_3gpuE5ELNS1_3repE0EEENS1_30default_config_static_selectorELNS0_4arch9wavefront6targetE0EEEvS10_.has_dyn_sized_stack, 0
	.set _ZN7rocprim17ROCPRIM_400000_NS6detail17trampoline_kernelINS0_14default_configENS1_21merge_config_selectorINS0_5tupleIJssEEENS0_10empty_typeEEEZNS1_10merge_implIS3_NS0_12zip_iteratorINS5_IJN6thrust23THRUST_200600_302600_NS6detail15normal_iteratorINSC_10device_ptrIKsEEEESI_EEEEESK_NSA_INS5_IJNSE_INSF_IsEEEESM_EEEEEPS7_SP_SP_NSC_11hip_rocprim7__merge17predicate_wrapperIssNSC_7greaterIsEEEEEE10hipError_tPvRmT0_T1_T2_T3_T4_T5_mmT6_P12ihipStream_tbEUlT_E0_NS1_11comp_targetILNS1_3genE10ELNS1_11target_archE1201ELNS1_3gpuE5ELNS1_3repE0EEENS1_30default_config_static_selectorELNS0_4arch9wavefront6targetE0EEEvS10_.has_recursion, 0
	.set _ZN7rocprim17ROCPRIM_400000_NS6detail17trampoline_kernelINS0_14default_configENS1_21merge_config_selectorINS0_5tupleIJssEEENS0_10empty_typeEEEZNS1_10merge_implIS3_NS0_12zip_iteratorINS5_IJN6thrust23THRUST_200600_302600_NS6detail15normal_iteratorINSC_10device_ptrIKsEEEESI_EEEEESK_NSA_INS5_IJNSE_INSF_IsEEEESM_EEEEEPS7_SP_SP_NSC_11hip_rocprim7__merge17predicate_wrapperIssNSC_7greaterIsEEEEEE10hipError_tPvRmT0_T1_T2_T3_T4_T5_mmT6_P12ihipStream_tbEUlT_E0_NS1_11comp_targetILNS1_3genE10ELNS1_11target_archE1201ELNS1_3gpuE5ELNS1_3repE0EEENS1_30default_config_static_selectorELNS0_4arch9wavefront6targetE0EEEvS10_.has_indirect_call, 0
	.section	.AMDGPU.csdata,"",@progbits
; Kernel info:
; codeLenInByte = 0
; TotalNumSgprs: 0
; NumVgprs: 0
; ScratchSize: 0
; MemoryBound: 0
; FloatMode: 240
; IeeeMode: 1
; LDSByteSize: 0 bytes/workgroup (compile time only)
; SGPRBlocks: 0
; VGPRBlocks: 0
; NumSGPRsForWavesPerEU: 1
; NumVGPRsForWavesPerEU: 1
; Occupancy: 16
; WaveLimiterHint : 0
; COMPUTE_PGM_RSRC2:SCRATCH_EN: 0
; COMPUTE_PGM_RSRC2:USER_SGPR: 6
; COMPUTE_PGM_RSRC2:TRAP_HANDLER: 0
; COMPUTE_PGM_RSRC2:TGID_X_EN: 1
; COMPUTE_PGM_RSRC2:TGID_Y_EN: 0
; COMPUTE_PGM_RSRC2:TGID_Z_EN: 0
; COMPUTE_PGM_RSRC2:TIDIG_COMP_CNT: 0
	.section	.text._ZN7rocprim17ROCPRIM_400000_NS6detail17trampoline_kernelINS0_14default_configENS1_21merge_config_selectorINS0_5tupleIJssEEENS0_10empty_typeEEEZNS1_10merge_implIS3_NS0_12zip_iteratorINS5_IJN6thrust23THRUST_200600_302600_NS6detail15normal_iteratorINSC_10device_ptrIKsEEEESI_EEEEESK_NSA_INS5_IJNSE_INSF_IsEEEESM_EEEEEPS7_SP_SP_NSC_11hip_rocprim7__merge17predicate_wrapperIssNSC_7greaterIsEEEEEE10hipError_tPvRmT0_T1_T2_T3_T4_T5_mmT6_P12ihipStream_tbEUlT_E0_NS1_11comp_targetILNS1_3genE10ELNS1_11target_archE1200ELNS1_3gpuE4ELNS1_3repE0EEENS1_30default_config_static_selectorELNS0_4arch9wavefront6targetE0EEEvS10_,"axG",@progbits,_ZN7rocprim17ROCPRIM_400000_NS6detail17trampoline_kernelINS0_14default_configENS1_21merge_config_selectorINS0_5tupleIJssEEENS0_10empty_typeEEEZNS1_10merge_implIS3_NS0_12zip_iteratorINS5_IJN6thrust23THRUST_200600_302600_NS6detail15normal_iteratorINSC_10device_ptrIKsEEEESI_EEEEESK_NSA_INS5_IJNSE_INSF_IsEEEESM_EEEEEPS7_SP_SP_NSC_11hip_rocprim7__merge17predicate_wrapperIssNSC_7greaterIsEEEEEE10hipError_tPvRmT0_T1_T2_T3_T4_T5_mmT6_P12ihipStream_tbEUlT_E0_NS1_11comp_targetILNS1_3genE10ELNS1_11target_archE1200ELNS1_3gpuE4ELNS1_3repE0EEENS1_30default_config_static_selectorELNS0_4arch9wavefront6targetE0EEEvS10_,comdat
	.protected	_ZN7rocprim17ROCPRIM_400000_NS6detail17trampoline_kernelINS0_14default_configENS1_21merge_config_selectorINS0_5tupleIJssEEENS0_10empty_typeEEEZNS1_10merge_implIS3_NS0_12zip_iteratorINS5_IJN6thrust23THRUST_200600_302600_NS6detail15normal_iteratorINSC_10device_ptrIKsEEEESI_EEEEESK_NSA_INS5_IJNSE_INSF_IsEEEESM_EEEEEPS7_SP_SP_NSC_11hip_rocprim7__merge17predicate_wrapperIssNSC_7greaterIsEEEEEE10hipError_tPvRmT0_T1_T2_T3_T4_T5_mmT6_P12ihipStream_tbEUlT_E0_NS1_11comp_targetILNS1_3genE10ELNS1_11target_archE1200ELNS1_3gpuE4ELNS1_3repE0EEENS1_30default_config_static_selectorELNS0_4arch9wavefront6targetE0EEEvS10_ ; -- Begin function _ZN7rocprim17ROCPRIM_400000_NS6detail17trampoline_kernelINS0_14default_configENS1_21merge_config_selectorINS0_5tupleIJssEEENS0_10empty_typeEEEZNS1_10merge_implIS3_NS0_12zip_iteratorINS5_IJN6thrust23THRUST_200600_302600_NS6detail15normal_iteratorINSC_10device_ptrIKsEEEESI_EEEEESK_NSA_INS5_IJNSE_INSF_IsEEEESM_EEEEEPS7_SP_SP_NSC_11hip_rocprim7__merge17predicate_wrapperIssNSC_7greaterIsEEEEEE10hipError_tPvRmT0_T1_T2_T3_T4_T5_mmT6_P12ihipStream_tbEUlT_E0_NS1_11comp_targetILNS1_3genE10ELNS1_11target_archE1200ELNS1_3gpuE4ELNS1_3repE0EEENS1_30default_config_static_selectorELNS0_4arch9wavefront6targetE0EEEvS10_
	.globl	_ZN7rocprim17ROCPRIM_400000_NS6detail17trampoline_kernelINS0_14default_configENS1_21merge_config_selectorINS0_5tupleIJssEEENS0_10empty_typeEEEZNS1_10merge_implIS3_NS0_12zip_iteratorINS5_IJN6thrust23THRUST_200600_302600_NS6detail15normal_iteratorINSC_10device_ptrIKsEEEESI_EEEEESK_NSA_INS5_IJNSE_INSF_IsEEEESM_EEEEEPS7_SP_SP_NSC_11hip_rocprim7__merge17predicate_wrapperIssNSC_7greaterIsEEEEEE10hipError_tPvRmT0_T1_T2_T3_T4_T5_mmT6_P12ihipStream_tbEUlT_E0_NS1_11comp_targetILNS1_3genE10ELNS1_11target_archE1200ELNS1_3gpuE4ELNS1_3repE0EEENS1_30default_config_static_selectorELNS0_4arch9wavefront6targetE0EEEvS10_
	.p2align	8
	.type	_ZN7rocprim17ROCPRIM_400000_NS6detail17trampoline_kernelINS0_14default_configENS1_21merge_config_selectorINS0_5tupleIJssEEENS0_10empty_typeEEEZNS1_10merge_implIS3_NS0_12zip_iteratorINS5_IJN6thrust23THRUST_200600_302600_NS6detail15normal_iteratorINSC_10device_ptrIKsEEEESI_EEEEESK_NSA_INS5_IJNSE_INSF_IsEEEESM_EEEEEPS7_SP_SP_NSC_11hip_rocprim7__merge17predicate_wrapperIssNSC_7greaterIsEEEEEE10hipError_tPvRmT0_T1_T2_T3_T4_T5_mmT6_P12ihipStream_tbEUlT_E0_NS1_11comp_targetILNS1_3genE10ELNS1_11target_archE1200ELNS1_3gpuE4ELNS1_3repE0EEENS1_30default_config_static_selectorELNS0_4arch9wavefront6targetE0EEEvS10_,@function
_ZN7rocprim17ROCPRIM_400000_NS6detail17trampoline_kernelINS0_14default_configENS1_21merge_config_selectorINS0_5tupleIJssEEENS0_10empty_typeEEEZNS1_10merge_implIS3_NS0_12zip_iteratorINS5_IJN6thrust23THRUST_200600_302600_NS6detail15normal_iteratorINSC_10device_ptrIKsEEEESI_EEEEESK_NSA_INS5_IJNSE_INSF_IsEEEESM_EEEEEPS7_SP_SP_NSC_11hip_rocprim7__merge17predicate_wrapperIssNSC_7greaterIsEEEEEE10hipError_tPvRmT0_T1_T2_T3_T4_T5_mmT6_P12ihipStream_tbEUlT_E0_NS1_11comp_targetILNS1_3genE10ELNS1_11target_archE1200ELNS1_3gpuE4ELNS1_3repE0EEENS1_30default_config_static_selectorELNS0_4arch9wavefront6targetE0EEEvS10_: ; @_ZN7rocprim17ROCPRIM_400000_NS6detail17trampoline_kernelINS0_14default_configENS1_21merge_config_selectorINS0_5tupleIJssEEENS0_10empty_typeEEEZNS1_10merge_implIS3_NS0_12zip_iteratorINS5_IJN6thrust23THRUST_200600_302600_NS6detail15normal_iteratorINSC_10device_ptrIKsEEEESI_EEEEESK_NSA_INS5_IJNSE_INSF_IsEEEESM_EEEEEPS7_SP_SP_NSC_11hip_rocprim7__merge17predicate_wrapperIssNSC_7greaterIsEEEEEE10hipError_tPvRmT0_T1_T2_T3_T4_T5_mmT6_P12ihipStream_tbEUlT_E0_NS1_11comp_targetILNS1_3genE10ELNS1_11target_archE1200ELNS1_3gpuE4ELNS1_3repE0EEENS1_30default_config_static_selectorELNS0_4arch9wavefront6targetE0EEEvS10_
; %bb.0:
	.section	.rodata,"a",@progbits
	.p2align	6, 0x0
	.amdhsa_kernel _ZN7rocprim17ROCPRIM_400000_NS6detail17trampoline_kernelINS0_14default_configENS1_21merge_config_selectorINS0_5tupleIJssEEENS0_10empty_typeEEEZNS1_10merge_implIS3_NS0_12zip_iteratorINS5_IJN6thrust23THRUST_200600_302600_NS6detail15normal_iteratorINSC_10device_ptrIKsEEEESI_EEEEESK_NSA_INS5_IJNSE_INSF_IsEEEESM_EEEEEPS7_SP_SP_NSC_11hip_rocprim7__merge17predicate_wrapperIssNSC_7greaterIsEEEEEE10hipError_tPvRmT0_T1_T2_T3_T4_T5_mmT6_P12ihipStream_tbEUlT_E0_NS1_11comp_targetILNS1_3genE10ELNS1_11target_archE1200ELNS1_3gpuE4ELNS1_3repE0EEENS1_30default_config_static_selectorELNS0_4arch9wavefront6targetE0EEEvS10_
		.amdhsa_group_segment_fixed_size 0
		.amdhsa_private_segment_fixed_size 0
		.amdhsa_kernarg_size 112
		.amdhsa_user_sgpr_count 6
		.amdhsa_user_sgpr_private_segment_buffer 1
		.amdhsa_user_sgpr_dispatch_ptr 0
		.amdhsa_user_sgpr_queue_ptr 0
		.amdhsa_user_sgpr_kernarg_segment_ptr 1
		.amdhsa_user_sgpr_dispatch_id 0
		.amdhsa_user_sgpr_flat_scratch_init 0
		.amdhsa_user_sgpr_private_segment_size 0
		.amdhsa_wavefront_size32 1
		.amdhsa_uses_dynamic_stack 0
		.amdhsa_system_sgpr_private_segment_wavefront_offset 0
		.amdhsa_system_sgpr_workgroup_id_x 1
		.amdhsa_system_sgpr_workgroup_id_y 0
		.amdhsa_system_sgpr_workgroup_id_z 0
		.amdhsa_system_sgpr_workgroup_info 0
		.amdhsa_system_vgpr_workitem_id 0
		.amdhsa_next_free_vgpr 1
		.amdhsa_next_free_sgpr 1
		.amdhsa_reserve_vcc 0
		.amdhsa_reserve_flat_scratch 0
		.amdhsa_float_round_mode_32 0
		.amdhsa_float_round_mode_16_64 0
		.amdhsa_float_denorm_mode_32 3
		.amdhsa_float_denorm_mode_16_64 3
		.amdhsa_dx10_clamp 1
		.amdhsa_ieee_mode 1
		.amdhsa_fp16_overflow 0
		.amdhsa_workgroup_processor_mode 1
		.amdhsa_memory_ordered 1
		.amdhsa_forward_progress 1
		.amdhsa_shared_vgpr_count 0
		.amdhsa_exception_fp_ieee_invalid_op 0
		.amdhsa_exception_fp_denorm_src 0
		.amdhsa_exception_fp_ieee_div_zero 0
		.amdhsa_exception_fp_ieee_overflow 0
		.amdhsa_exception_fp_ieee_underflow 0
		.amdhsa_exception_fp_ieee_inexact 0
		.amdhsa_exception_int_div_zero 0
	.end_amdhsa_kernel
	.section	.text._ZN7rocprim17ROCPRIM_400000_NS6detail17trampoline_kernelINS0_14default_configENS1_21merge_config_selectorINS0_5tupleIJssEEENS0_10empty_typeEEEZNS1_10merge_implIS3_NS0_12zip_iteratorINS5_IJN6thrust23THRUST_200600_302600_NS6detail15normal_iteratorINSC_10device_ptrIKsEEEESI_EEEEESK_NSA_INS5_IJNSE_INSF_IsEEEESM_EEEEEPS7_SP_SP_NSC_11hip_rocprim7__merge17predicate_wrapperIssNSC_7greaterIsEEEEEE10hipError_tPvRmT0_T1_T2_T3_T4_T5_mmT6_P12ihipStream_tbEUlT_E0_NS1_11comp_targetILNS1_3genE10ELNS1_11target_archE1200ELNS1_3gpuE4ELNS1_3repE0EEENS1_30default_config_static_selectorELNS0_4arch9wavefront6targetE0EEEvS10_,"axG",@progbits,_ZN7rocprim17ROCPRIM_400000_NS6detail17trampoline_kernelINS0_14default_configENS1_21merge_config_selectorINS0_5tupleIJssEEENS0_10empty_typeEEEZNS1_10merge_implIS3_NS0_12zip_iteratorINS5_IJN6thrust23THRUST_200600_302600_NS6detail15normal_iteratorINSC_10device_ptrIKsEEEESI_EEEEESK_NSA_INS5_IJNSE_INSF_IsEEEESM_EEEEEPS7_SP_SP_NSC_11hip_rocprim7__merge17predicate_wrapperIssNSC_7greaterIsEEEEEE10hipError_tPvRmT0_T1_T2_T3_T4_T5_mmT6_P12ihipStream_tbEUlT_E0_NS1_11comp_targetILNS1_3genE10ELNS1_11target_archE1200ELNS1_3gpuE4ELNS1_3repE0EEENS1_30default_config_static_selectorELNS0_4arch9wavefront6targetE0EEEvS10_,comdat
.Lfunc_end458:
	.size	_ZN7rocprim17ROCPRIM_400000_NS6detail17trampoline_kernelINS0_14default_configENS1_21merge_config_selectorINS0_5tupleIJssEEENS0_10empty_typeEEEZNS1_10merge_implIS3_NS0_12zip_iteratorINS5_IJN6thrust23THRUST_200600_302600_NS6detail15normal_iteratorINSC_10device_ptrIKsEEEESI_EEEEESK_NSA_INS5_IJNSE_INSF_IsEEEESM_EEEEEPS7_SP_SP_NSC_11hip_rocprim7__merge17predicate_wrapperIssNSC_7greaterIsEEEEEE10hipError_tPvRmT0_T1_T2_T3_T4_T5_mmT6_P12ihipStream_tbEUlT_E0_NS1_11comp_targetILNS1_3genE10ELNS1_11target_archE1200ELNS1_3gpuE4ELNS1_3repE0EEENS1_30default_config_static_selectorELNS0_4arch9wavefront6targetE0EEEvS10_, .Lfunc_end458-_ZN7rocprim17ROCPRIM_400000_NS6detail17trampoline_kernelINS0_14default_configENS1_21merge_config_selectorINS0_5tupleIJssEEENS0_10empty_typeEEEZNS1_10merge_implIS3_NS0_12zip_iteratorINS5_IJN6thrust23THRUST_200600_302600_NS6detail15normal_iteratorINSC_10device_ptrIKsEEEESI_EEEEESK_NSA_INS5_IJNSE_INSF_IsEEEESM_EEEEEPS7_SP_SP_NSC_11hip_rocprim7__merge17predicate_wrapperIssNSC_7greaterIsEEEEEE10hipError_tPvRmT0_T1_T2_T3_T4_T5_mmT6_P12ihipStream_tbEUlT_E0_NS1_11comp_targetILNS1_3genE10ELNS1_11target_archE1200ELNS1_3gpuE4ELNS1_3repE0EEENS1_30default_config_static_selectorELNS0_4arch9wavefront6targetE0EEEvS10_
                                        ; -- End function
	.set _ZN7rocprim17ROCPRIM_400000_NS6detail17trampoline_kernelINS0_14default_configENS1_21merge_config_selectorINS0_5tupleIJssEEENS0_10empty_typeEEEZNS1_10merge_implIS3_NS0_12zip_iteratorINS5_IJN6thrust23THRUST_200600_302600_NS6detail15normal_iteratorINSC_10device_ptrIKsEEEESI_EEEEESK_NSA_INS5_IJNSE_INSF_IsEEEESM_EEEEEPS7_SP_SP_NSC_11hip_rocprim7__merge17predicate_wrapperIssNSC_7greaterIsEEEEEE10hipError_tPvRmT0_T1_T2_T3_T4_T5_mmT6_P12ihipStream_tbEUlT_E0_NS1_11comp_targetILNS1_3genE10ELNS1_11target_archE1200ELNS1_3gpuE4ELNS1_3repE0EEENS1_30default_config_static_selectorELNS0_4arch9wavefront6targetE0EEEvS10_.num_vgpr, 0
	.set _ZN7rocprim17ROCPRIM_400000_NS6detail17trampoline_kernelINS0_14default_configENS1_21merge_config_selectorINS0_5tupleIJssEEENS0_10empty_typeEEEZNS1_10merge_implIS3_NS0_12zip_iteratorINS5_IJN6thrust23THRUST_200600_302600_NS6detail15normal_iteratorINSC_10device_ptrIKsEEEESI_EEEEESK_NSA_INS5_IJNSE_INSF_IsEEEESM_EEEEEPS7_SP_SP_NSC_11hip_rocprim7__merge17predicate_wrapperIssNSC_7greaterIsEEEEEE10hipError_tPvRmT0_T1_T2_T3_T4_T5_mmT6_P12ihipStream_tbEUlT_E0_NS1_11comp_targetILNS1_3genE10ELNS1_11target_archE1200ELNS1_3gpuE4ELNS1_3repE0EEENS1_30default_config_static_selectorELNS0_4arch9wavefront6targetE0EEEvS10_.num_agpr, 0
	.set _ZN7rocprim17ROCPRIM_400000_NS6detail17trampoline_kernelINS0_14default_configENS1_21merge_config_selectorINS0_5tupleIJssEEENS0_10empty_typeEEEZNS1_10merge_implIS3_NS0_12zip_iteratorINS5_IJN6thrust23THRUST_200600_302600_NS6detail15normal_iteratorINSC_10device_ptrIKsEEEESI_EEEEESK_NSA_INS5_IJNSE_INSF_IsEEEESM_EEEEEPS7_SP_SP_NSC_11hip_rocprim7__merge17predicate_wrapperIssNSC_7greaterIsEEEEEE10hipError_tPvRmT0_T1_T2_T3_T4_T5_mmT6_P12ihipStream_tbEUlT_E0_NS1_11comp_targetILNS1_3genE10ELNS1_11target_archE1200ELNS1_3gpuE4ELNS1_3repE0EEENS1_30default_config_static_selectorELNS0_4arch9wavefront6targetE0EEEvS10_.numbered_sgpr, 0
	.set _ZN7rocprim17ROCPRIM_400000_NS6detail17trampoline_kernelINS0_14default_configENS1_21merge_config_selectorINS0_5tupleIJssEEENS0_10empty_typeEEEZNS1_10merge_implIS3_NS0_12zip_iteratorINS5_IJN6thrust23THRUST_200600_302600_NS6detail15normal_iteratorINSC_10device_ptrIKsEEEESI_EEEEESK_NSA_INS5_IJNSE_INSF_IsEEEESM_EEEEEPS7_SP_SP_NSC_11hip_rocprim7__merge17predicate_wrapperIssNSC_7greaterIsEEEEEE10hipError_tPvRmT0_T1_T2_T3_T4_T5_mmT6_P12ihipStream_tbEUlT_E0_NS1_11comp_targetILNS1_3genE10ELNS1_11target_archE1200ELNS1_3gpuE4ELNS1_3repE0EEENS1_30default_config_static_selectorELNS0_4arch9wavefront6targetE0EEEvS10_.num_named_barrier, 0
	.set _ZN7rocprim17ROCPRIM_400000_NS6detail17trampoline_kernelINS0_14default_configENS1_21merge_config_selectorINS0_5tupleIJssEEENS0_10empty_typeEEEZNS1_10merge_implIS3_NS0_12zip_iteratorINS5_IJN6thrust23THRUST_200600_302600_NS6detail15normal_iteratorINSC_10device_ptrIKsEEEESI_EEEEESK_NSA_INS5_IJNSE_INSF_IsEEEESM_EEEEEPS7_SP_SP_NSC_11hip_rocprim7__merge17predicate_wrapperIssNSC_7greaterIsEEEEEE10hipError_tPvRmT0_T1_T2_T3_T4_T5_mmT6_P12ihipStream_tbEUlT_E0_NS1_11comp_targetILNS1_3genE10ELNS1_11target_archE1200ELNS1_3gpuE4ELNS1_3repE0EEENS1_30default_config_static_selectorELNS0_4arch9wavefront6targetE0EEEvS10_.private_seg_size, 0
	.set _ZN7rocprim17ROCPRIM_400000_NS6detail17trampoline_kernelINS0_14default_configENS1_21merge_config_selectorINS0_5tupleIJssEEENS0_10empty_typeEEEZNS1_10merge_implIS3_NS0_12zip_iteratorINS5_IJN6thrust23THRUST_200600_302600_NS6detail15normal_iteratorINSC_10device_ptrIKsEEEESI_EEEEESK_NSA_INS5_IJNSE_INSF_IsEEEESM_EEEEEPS7_SP_SP_NSC_11hip_rocprim7__merge17predicate_wrapperIssNSC_7greaterIsEEEEEE10hipError_tPvRmT0_T1_T2_T3_T4_T5_mmT6_P12ihipStream_tbEUlT_E0_NS1_11comp_targetILNS1_3genE10ELNS1_11target_archE1200ELNS1_3gpuE4ELNS1_3repE0EEENS1_30default_config_static_selectorELNS0_4arch9wavefront6targetE0EEEvS10_.uses_vcc, 0
	.set _ZN7rocprim17ROCPRIM_400000_NS6detail17trampoline_kernelINS0_14default_configENS1_21merge_config_selectorINS0_5tupleIJssEEENS0_10empty_typeEEEZNS1_10merge_implIS3_NS0_12zip_iteratorINS5_IJN6thrust23THRUST_200600_302600_NS6detail15normal_iteratorINSC_10device_ptrIKsEEEESI_EEEEESK_NSA_INS5_IJNSE_INSF_IsEEEESM_EEEEEPS7_SP_SP_NSC_11hip_rocprim7__merge17predicate_wrapperIssNSC_7greaterIsEEEEEE10hipError_tPvRmT0_T1_T2_T3_T4_T5_mmT6_P12ihipStream_tbEUlT_E0_NS1_11comp_targetILNS1_3genE10ELNS1_11target_archE1200ELNS1_3gpuE4ELNS1_3repE0EEENS1_30default_config_static_selectorELNS0_4arch9wavefront6targetE0EEEvS10_.uses_flat_scratch, 0
	.set _ZN7rocprim17ROCPRIM_400000_NS6detail17trampoline_kernelINS0_14default_configENS1_21merge_config_selectorINS0_5tupleIJssEEENS0_10empty_typeEEEZNS1_10merge_implIS3_NS0_12zip_iteratorINS5_IJN6thrust23THRUST_200600_302600_NS6detail15normal_iteratorINSC_10device_ptrIKsEEEESI_EEEEESK_NSA_INS5_IJNSE_INSF_IsEEEESM_EEEEEPS7_SP_SP_NSC_11hip_rocprim7__merge17predicate_wrapperIssNSC_7greaterIsEEEEEE10hipError_tPvRmT0_T1_T2_T3_T4_T5_mmT6_P12ihipStream_tbEUlT_E0_NS1_11comp_targetILNS1_3genE10ELNS1_11target_archE1200ELNS1_3gpuE4ELNS1_3repE0EEENS1_30default_config_static_selectorELNS0_4arch9wavefront6targetE0EEEvS10_.has_dyn_sized_stack, 0
	.set _ZN7rocprim17ROCPRIM_400000_NS6detail17trampoline_kernelINS0_14default_configENS1_21merge_config_selectorINS0_5tupleIJssEEENS0_10empty_typeEEEZNS1_10merge_implIS3_NS0_12zip_iteratorINS5_IJN6thrust23THRUST_200600_302600_NS6detail15normal_iteratorINSC_10device_ptrIKsEEEESI_EEEEESK_NSA_INS5_IJNSE_INSF_IsEEEESM_EEEEEPS7_SP_SP_NSC_11hip_rocprim7__merge17predicate_wrapperIssNSC_7greaterIsEEEEEE10hipError_tPvRmT0_T1_T2_T3_T4_T5_mmT6_P12ihipStream_tbEUlT_E0_NS1_11comp_targetILNS1_3genE10ELNS1_11target_archE1200ELNS1_3gpuE4ELNS1_3repE0EEENS1_30default_config_static_selectorELNS0_4arch9wavefront6targetE0EEEvS10_.has_recursion, 0
	.set _ZN7rocprim17ROCPRIM_400000_NS6detail17trampoline_kernelINS0_14default_configENS1_21merge_config_selectorINS0_5tupleIJssEEENS0_10empty_typeEEEZNS1_10merge_implIS3_NS0_12zip_iteratorINS5_IJN6thrust23THRUST_200600_302600_NS6detail15normal_iteratorINSC_10device_ptrIKsEEEESI_EEEEESK_NSA_INS5_IJNSE_INSF_IsEEEESM_EEEEEPS7_SP_SP_NSC_11hip_rocprim7__merge17predicate_wrapperIssNSC_7greaterIsEEEEEE10hipError_tPvRmT0_T1_T2_T3_T4_T5_mmT6_P12ihipStream_tbEUlT_E0_NS1_11comp_targetILNS1_3genE10ELNS1_11target_archE1200ELNS1_3gpuE4ELNS1_3repE0EEENS1_30default_config_static_selectorELNS0_4arch9wavefront6targetE0EEEvS10_.has_indirect_call, 0
	.section	.AMDGPU.csdata,"",@progbits
; Kernel info:
; codeLenInByte = 0
; TotalNumSgprs: 0
; NumVgprs: 0
; ScratchSize: 0
; MemoryBound: 0
; FloatMode: 240
; IeeeMode: 1
; LDSByteSize: 0 bytes/workgroup (compile time only)
; SGPRBlocks: 0
; VGPRBlocks: 0
; NumSGPRsForWavesPerEU: 1
; NumVGPRsForWavesPerEU: 1
; Occupancy: 16
; WaveLimiterHint : 0
; COMPUTE_PGM_RSRC2:SCRATCH_EN: 0
; COMPUTE_PGM_RSRC2:USER_SGPR: 6
; COMPUTE_PGM_RSRC2:TRAP_HANDLER: 0
; COMPUTE_PGM_RSRC2:TGID_X_EN: 1
; COMPUTE_PGM_RSRC2:TGID_Y_EN: 0
; COMPUTE_PGM_RSRC2:TGID_Z_EN: 0
; COMPUTE_PGM_RSRC2:TIDIG_COMP_CNT: 0
	.section	.text._ZN7rocprim17ROCPRIM_400000_NS6detail17trampoline_kernelINS0_14default_configENS1_21merge_config_selectorINS0_5tupleIJssEEENS0_10empty_typeEEEZNS1_10merge_implIS3_NS0_12zip_iteratorINS5_IJN6thrust23THRUST_200600_302600_NS6detail15normal_iteratorINSC_10device_ptrIKsEEEESI_EEEEESK_NSA_INS5_IJNSE_INSF_IsEEEESM_EEEEEPS7_SP_SP_NSC_11hip_rocprim7__merge17predicate_wrapperIssNSC_7greaterIsEEEEEE10hipError_tPvRmT0_T1_T2_T3_T4_T5_mmT6_P12ihipStream_tbEUlT_E0_NS1_11comp_targetILNS1_3genE9ELNS1_11target_archE1100ELNS1_3gpuE3ELNS1_3repE0EEENS1_30default_config_static_selectorELNS0_4arch9wavefront6targetE0EEEvS10_,"axG",@progbits,_ZN7rocprim17ROCPRIM_400000_NS6detail17trampoline_kernelINS0_14default_configENS1_21merge_config_selectorINS0_5tupleIJssEEENS0_10empty_typeEEEZNS1_10merge_implIS3_NS0_12zip_iteratorINS5_IJN6thrust23THRUST_200600_302600_NS6detail15normal_iteratorINSC_10device_ptrIKsEEEESI_EEEEESK_NSA_INS5_IJNSE_INSF_IsEEEESM_EEEEEPS7_SP_SP_NSC_11hip_rocprim7__merge17predicate_wrapperIssNSC_7greaterIsEEEEEE10hipError_tPvRmT0_T1_T2_T3_T4_T5_mmT6_P12ihipStream_tbEUlT_E0_NS1_11comp_targetILNS1_3genE9ELNS1_11target_archE1100ELNS1_3gpuE3ELNS1_3repE0EEENS1_30default_config_static_selectorELNS0_4arch9wavefront6targetE0EEEvS10_,comdat
	.protected	_ZN7rocprim17ROCPRIM_400000_NS6detail17trampoline_kernelINS0_14default_configENS1_21merge_config_selectorINS0_5tupleIJssEEENS0_10empty_typeEEEZNS1_10merge_implIS3_NS0_12zip_iteratorINS5_IJN6thrust23THRUST_200600_302600_NS6detail15normal_iteratorINSC_10device_ptrIKsEEEESI_EEEEESK_NSA_INS5_IJNSE_INSF_IsEEEESM_EEEEEPS7_SP_SP_NSC_11hip_rocprim7__merge17predicate_wrapperIssNSC_7greaterIsEEEEEE10hipError_tPvRmT0_T1_T2_T3_T4_T5_mmT6_P12ihipStream_tbEUlT_E0_NS1_11comp_targetILNS1_3genE9ELNS1_11target_archE1100ELNS1_3gpuE3ELNS1_3repE0EEENS1_30default_config_static_selectorELNS0_4arch9wavefront6targetE0EEEvS10_ ; -- Begin function _ZN7rocprim17ROCPRIM_400000_NS6detail17trampoline_kernelINS0_14default_configENS1_21merge_config_selectorINS0_5tupleIJssEEENS0_10empty_typeEEEZNS1_10merge_implIS3_NS0_12zip_iteratorINS5_IJN6thrust23THRUST_200600_302600_NS6detail15normal_iteratorINSC_10device_ptrIKsEEEESI_EEEEESK_NSA_INS5_IJNSE_INSF_IsEEEESM_EEEEEPS7_SP_SP_NSC_11hip_rocprim7__merge17predicate_wrapperIssNSC_7greaterIsEEEEEE10hipError_tPvRmT0_T1_T2_T3_T4_T5_mmT6_P12ihipStream_tbEUlT_E0_NS1_11comp_targetILNS1_3genE9ELNS1_11target_archE1100ELNS1_3gpuE3ELNS1_3repE0EEENS1_30default_config_static_selectorELNS0_4arch9wavefront6targetE0EEEvS10_
	.globl	_ZN7rocprim17ROCPRIM_400000_NS6detail17trampoline_kernelINS0_14default_configENS1_21merge_config_selectorINS0_5tupleIJssEEENS0_10empty_typeEEEZNS1_10merge_implIS3_NS0_12zip_iteratorINS5_IJN6thrust23THRUST_200600_302600_NS6detail15normal_iteratorINSC_10device_ptrIKsEEEESI_EEEEESK_NSA_INS5_IJNSE_INSF_IsEEEESM_EEEEEPS7_SP_SP_NSC_11hip_rocprim7__merge17predicate_wrapperIssNSC_7greaterIsEEEEEE10hipError_tPvRmT0_T1_T2_T3_T4_T5_mmT6_P12ihipStream_tbEUlT_E0_NS1_11comp_targetILNS1_3genE9ELNS1_11target_archE1100ELNS1_3gpuE3ELNS1_3repE0EEENS1_30default_config_static_selectorELNS0_4arch9wavefront6targetE0EEEvS10_
	.p2align	8
	.type	_ZN7rocprim17ROCPRIM_400000_NS6detail17trampoline_kernelINS0_14default_configENS1_21merge_config_selectorINS0_5tupleIJssEEENS0_10empty_typeEEEZNS1_10merge_implIS3_NS0_12zip_iteratorINS5_IJN6thrust23THRUST_200600_302600_NS6detail15normal_iteratorINSC_10device_ptrIKsEEEESI_EEEEESK_NSA_INS5_IJNSE_INSF_IsEEEESM_EEEEEPS7_SP_SP_NSC_11hip_rocprim7__merge17predicate_wrapperIssNSC_7greaterIsEEEEEE10hipError_tPvRmT0_T1_T2_T3_T4_T5_mmT6_P12ihipStream_tbEUlT_E0_NS1_11comp_targetILNS1_3genE9ELNS1_11target_archE1100ELNS1_3gpuE3ELNS1_3repE0EEENS1_30default_config_static_selectorELNS0_4arch9wavefront6targetE0EEEvS10_,@function
_ZN7rocprim17ROCPRIM_400000_NS6detail17trampoline_kernelINS0_14default_configENS1_21merge_config_selectorINS0_5tupleIJssEEENS0_10empty_typeEEEZNS1_10merge_implIS3_NS0_12zip_iteratorINS5_IJN6thrust23THRUST_200600_302600_NS6detail15normal_iteratorINSC_10device_ptrIKsEEEESI_EEEEESK_NSA_INS5_IJNSE_INSF_IsEEEESM_EEEEEPS7_SP_SP_NSC_11hip_rocprim7__merge17predicate_wrapperIssNSC_7greaterIsEEEEEE10hipError_tPvRmT0_T1_T2_T3_T4_T5_mmT6_P12ihipStream_tbEUlT_E0_NS1_11comp_targetILNS1_3genE9ELNS1_11target_archE1100ELNS1_3gpuE3ELNS1_3repE0EEENS1_30default_config_static_selectorELNS0_4arch9wavefront6targetE0EEEvS10_: ; @_ZN7rocprim17ROCPRIM_400000_NS6detail17trampoline_kernelINS0_14default_configENS1_21merge_config_selectorINS0_5tupleIJssEEENS0_10empty_typeEEEZNS1_10merge_implIS3_NS0_12zip_iteratorINS5_IJN6thrust23THRUST_200600_302600_NS6detail15normal_iteratorINSC_10device_ptrIKsEEEESI_EEEEESK_NSA_INS5_IJNSE_INSF_IsEEEESM_EEEEEPS7_SP_SP_NSC_11hip_rocprim7__merge17predicate_wrapperIssNSC_7greaterIsEEEEEE10hipError_tPvRmT0_T1_T2_T3_T4_T5_mmT6_P12ihipStream_tbEUlT_E0_NS1_11comp_targetILNS1_3genE9ELNS1_11target_archE1100ELNS1_3gpuE3ELNS1_3repE0EEENS1_30default_config_static_selectorELNS0_4arch9wavefront6targetE0EEEvS10_
; %bb.0:
	.section	.rodata,"a",@progbits
	.p2align	6, 0x0
	.amdhsa_kernel _ZN7rocprim17ROCPRIM_400000_NS6detail17trampoline_kernelINS0_14default_configENS1_21merge_config_selectorINS0_5tupleIJssEEENS0_10empty_typeEEEZNS1_10merge_implIS3_NS0_12zip_iteratorINS5_IJN6thrust23THRUST_200600_302600_NS6detail15normal_iteratorINSC_10device_ptrIKsEEEESI_EEEEESK_NSA_INS5_IJNSE_INSF_IsEEEESM_EEEEEPS7_SP_SP_NSC_11hip_rocprim7__merge17predicate_wrapperIssNSC_7greaterIsEEEEEE10hipError_tPvRmT0_T1_T2_T3_T4_T5_mmT6_P12ihipStream_tbEUlT_E0_NS1_11comp_targetILNS1_3genE9ELNS1_11target_archE1100ELNS1_3gpuE3ELNS1_3repE0EEENS1_30default_config_static_selectorELNS0_4arch9wavefront6targetE0EEEvS10_
		.amdhsa_group_segment_fixed_size 0
		.amdhsa_private_segment_fixed_size 0
		.amdhsa_kernarg_size 112
		.amdhsa_user_sgpr_count 6
		.amdhsa_user_sgpr_private_segment_buffer 1
		.amdhsa_user_sgpr_dispatch_ptr 0
		.amdhsa_user_sgpr_queue_ptr 0
		.amdhsa_user_sgpr_kernarg_segment_ptr 1
		.amdhsa_user_sgpr_dispatch_id 0
		.amdhsa_user_sgpr_flat_scratch_init 0
		.amdhsa_user_sgpr_private_segment_size 0
		.amdhsa_wavefront_size32 1
		.amdhsa_uses_dynamic_stack 0
		.amdhsa_system_sgpr_private_segment_wavefront_offset 0
		.amdhsa_system_sgpr_workgroup_id_x 1
		.amdhsa_system_sgpr_workgroup_id_y 0
		.amdhsa_system_sgpr_workgroup_id_z 0
		.amdhsa_system_sgpr_workgroup_info 0
		.amdhsa_system_vgpr_workitem_id 0
		.amdhsa_next_free_vgpr 1
		.amdhsa_next_free_sgpr 1
		.amdhsa_reserve_vcc 0
		.amdhsa_reserve_flat_scratch 0
		.amdhsa_float_round_mode_32 0
		.amdhsa_float_round_mode_16_64 0
		.amdhsa_float_denorm_mode_32 3
		.amdhsa_float_denorm_mode_16_64 3
		.amdhsa_dx10_clamp 1
		.amdhsa_ieee_mode 1
		.amdhsa_fp16_overflow 0
		.amdhsa_workgroup_processor_mode 1
		.amdhsa_memory_ordered 1
		.amdhsa_forward_progress 1
		.amdhsa_shared_vgpr_count 0
		.amdhsa_exception_fp_ieee_invalid_op 0
		.amdhsa_exception_fp_denorm_src 0
		.amdhsa_exception_fp_ieee_div_zero 0
		.amdhsa_exception_fp_ieee_overflow 0
		.amdhsa_exception_fp_ieee_underflow 0
		.amdhsa_exception_fp_ieee_inexact 0
		.amdhsa_exception_int_div_zero 0
	.end_amdhsa_kernel
	.section	.text._ZN7rocprim17ROCPRIM_400000_NS6detail17trampoline_kernelINS0_14default_configENS1_21merge_config_selectorINS0_5tupleIJssEEENS0_10empty_typeEEEZNS1_10merge_implIS3_NS0_12zip_iteratorINS5_IJN6thrust23THRUST_200600_302600_NS6detail15normal_iteratorINSC_10device_ptrIKsEEEESI_EEEEESK_NSA_INS5_IJNSE_INSF_IsEEEESM_EEEEEPS7_SP_SP_NSC_11hip_rocprim7__merge17predicate_wrapperIssNSC_7greaterIsEEEEEE10hipError_tPvRmT0_T1_T2_T3_T4_T5_mmT6_P12ihipStream_tbEUlT_E0_NS1_11comp_targetILNS1_3genE9ELNS1_11target_archE1100ELNS1_3gpuE3ELNS1_3repE0EEENS1_30default_config_static_selectorELNS0_4arch9wavefront6targetE0EEEvS10_,"axG",@progbits,_ZN7rocprim17ROCPRIM_400000_NS6detail17trampoline_kernelINS0_14default_configENS1_21merge_config_selectorINS0_5tupleIJssEEENS0_10empty_typeEEEZNS1_10merge_implIS3_NS0_12zip_iteratorINS5_IJN6thrust23THRUST_200600_302600_NS6detail15normal_iteratorINSC_10device_ptrIKsEEEESI_EEEEESK_NSA_INS5_IJNSE_INSF_IsEEEESM_EEEEEPS7_SP_SP_NSC_11hip_rocprim7__merge17predicate_wrapperIssNSC_7greaterIsEEEEEE10hipError_tPvRmT0_T1_T2_T3_T4_T5_mmT6_P12ihipStream_tbEUlT_E0_NS1_11comp_targetILNS1_3genE9ELNS1_11target_archE1100ELNS1_3gpuE3ELNS1_3repE0EEENS1_30default_config_static_selectorELNS0_4arch9wavefront6targetE0EEEvS10_,comdat
.Lfunc_end459:
	.size	_ZN7rocprim17ROCPRIM_400000_NS6detail17trampoline_kernelINS0_14default_configENS1_21merge_config_selectorINS0_5tupleIJssEEENS0_10empty_typeEEEZNS1_10merge_implIS3_NS0_12zip_iteratorINS5_IJN6thrust23THRUST_200600_302600_NS6detail15normal_iteratorINSC_10device_ptrIKsEEEESI_EEEEESK_NSA_INS5_IJNSE_INSF_IsEEEESM_EEEEEPS7_SP_SP_NSC_11hip_rocprim7__merge17predicate_wrapperIssNSC_7greaterIsEEEEEE10hipError_tPvRmT0_T1_T2_T3_T4_T5_mmT6_P12ihipStream_tbEUlT_E0_NS1_11comp_targetILNS1_3genE9ELNS1_11target_archE1100ELNS1_3gpuE3ELNS1_3repE0EEENS1_30default_config_static_selectorELNS0_4arch9wavefront6targetE0EEEvS10_, .Lfunc_end459-_ZN7rocprim17ROCPRIM_400000_NS6detail17trampoline_kernelINS0_14default_configENS1_21merge_config_selectorINS0_5tupleIJssEEENS0_10empty_typeEEEZNS1_10merge_implIS3_NS0_12zip_iteratorINS5_IJN6thrust23THRUST_200600_302600_NS6detail15normal_iteratorINSC_10device_ptrIKsEEEESI_EEEEESK_NSA_INS5_IJNSE_INSF_IsEEEESM_EEEEEPS7_SP_SP_NSC_11hip_rocprim7__merge17predicate_wrapperIssNSC_7greaterIsEEEEEE10hipError_tPvRmT0_T1_T2_T3_T4_T5_mmT6_P12ihipStream_tbEUlT_E0_NS1_11comp_targetILNS1_3genE9ELNS1_11target_archE1100ELNS1_3gpuE3ELNS1_3repE0EEENS1_30default_config_static_selectorELNS0_4arch9wavefront6targetE0EEEvS10_
                                        ; -- End function
	.set _ZN7rocprim17ROCPRIM_400000_NS6detail17trampoline_kernelINS0_14default_configENS1_21merge_config_selectorINS0_5tupleIJssEEENS0_10empty_typeEEEZNS1_10merge_implIS3_NS0_12zip_iteratorINS5_IJN6thrust23THRUST_200600_302600_NS6detail15normal_iteratorINSC_10device_ptrIKsEEEESI_EEEEESK_NSA_INS5_IJNSE_INSF_IsEEEESM_EEEEEPS7_SP_SP_NSC_11hip_rocprim7__merge17predicate_wrapperIssNSC_7greaterIsEEEEEE10hipError_tPvRmT0_T1_T2_T3_T4_T5_mmT6_P12ihipStream_tbEUlT_E0_NS1_11comp_targetILNS1_3genE9ELNS1_11target_archE1100ELNS1_3gpuE3ELNS1_3repE0EEENS1_30default_config_static_selectorELNS0_4arch9wavefront6targetE0EEEvS10_.num_vgpr, 0
	.set _ZN7rocprim17ROCPRIM_400000_NS6detail17trampoline_kernelINS0_14default_configENS1_21merge_config_selectorINS0_5tupleIJssEEENS0_10empty_typeEEEZNS1_10merge_implIS3_NS0_12zip_iteratorINS5_IJN6thrust23THRUST_200600_302600_NS6detail15normal_iteratorINSC_10device_ptrIKsEEEESI_EEEEESK_NSA_INS5_IJNSE_INSF_IsEEEESM_EEEEEPS7_SP_SP_NSC_11hip_rocprim7__merge17predicate_wrapperIssNSC_7greaterIsEEEEEE10hipError_tPvRmT0_T1_T2_T3_T4_T5_mmT6_P12ihipStream_tbEUlT_E0_NS1_11comp_targetILNS1_3genE9ELNS1_11target_archE1100ELNS1_3gpuE3ELNS1_3repE0EEENS1_30default_config_static_selectorELNS0_4arch9wavefront6targetE0EEEvS10_.num_agpr, 0
	.set _ZN7rocprim17ROCPRIM_400000_NS6detail17trampoline_kernelINS0_14default_configENS1_21merge_config_selectorINS0_5tupleIJssEEENS0_10empty_typeEEEZNS1_10merge_implIS3_NS0_12zip_iteratorINS5_IJN6thrust23THRUST_200600_302600_NS6detail15normal_iteratorINSC_10device_ptrIKsEEEESI_EEEEESK_NSA_INS5_IJNSE_INSF_IsEEEESM_EEEEEPS7_SP_SP_NSC_11hip_rocprim7__merge17predicate_wrapperIssNSC_7greaterIsEEEEEE10hipError_tPvRmT0_T1_T2_T3_T4_T5_mmT6_P12ihipStream_tbEUlT_E0_NS1_11comp_targetILNS1_3genE9ELNS1_11target_archE1100ELNS1_3gpuE3ELNS1_3repE0EEENS1_30default_config_static_selectorELNS0_4arch9wavefront6targetE0EEEvS10_.numbered_sgpr, 0
	.set _ZN7rocprim17ROCPRIM_400000_NS6detail17trampoline_kernelINS0_14default_configENS1_21merge_config_selectorINS0_5tupleIJssEEENS0_10empty_typeEEEZNS1_10merge_implIS3_NS0_12zip_iteratorINS5_IJN6thrust23THRUST_200600_302600_NS6detail15normal_iteratorINSC_10device_ptrIKsEEEESI_EEEEESK_NSA_INS5_IJNSE_INSF_IsEEEESM_EEEEEPS7_SP_SP_NSC_11hip_rocprim7__merge17predicate_wrapperIssNSC_7greaterIsEEEEEE10hipError_tPvRmT0_T1_T2_T3_T4_T5_mmT6_P12ihipStream_tbEUlT_E0_NS1_11comp_targetILNS1_3genE9ELNS1_11target_archE1100ELNS1_3gpuE3ELNS1_3repE0EEENS1_30default_config_static_selectorELNS0_4arch9wavefront6targetE0EEEvS10_.num_named_barrier, 0
	.set _ZN7rocprim17ROCPRIM_400000_NS6detail17trampoline_kernelINS0_14default_configENS1_21merge_config_selectorINS0_5tupleIJssEEENS0_10empty_typeEEEZNS1_10merge_implIS3_NS0_12zip_iteratorINS5_IJN6thrust23THRUST_200600_302600_NS6detail15normal_iteratorINSC_10device_ptrIKsEEEESI_EEEEESK_NSA_INS5_IJNSE_INSF_IsEEEESM_EEEEEPS7_SP_SP_NSC_11hip_rocprim7__merge17predicate_wrapperIssNSC_7greaterIsEEEEEE10hipError_tPvRmT0_T1_T2_T3_T4_T5_mmT6_P12ihipStream_tbEUlT_E0_NS1_11comp_targetILNS1_3genE9ELNS1_11target_archE1100ELNS1_3gpuE3ELNS1_3repE0EEENS1_30default_config_static_selectorELNS0_4arch9wavefront6targetE0EEEvS10_.private_seg_size, 0
	.set _ZN7rocprim17ROCPRIM_400000_NS6detail17trampoline_kernelINS0_14default_configENS1_21merge_config_selectorINS0_5tupleIJssEEENS0_10empty_typeEEEZNS1_10merge_implIS3_NS0_12zip_iteratorINS5_IJN6thrust23THRUST_200600_302600_NS6detail15normal_iteratorINSC_10device_ptrIKsEEEESI_EEEEESK_NSA_INS5_IJNSE_INSF_IsEEEESM_EEEEEPS7_SP_SP_NSC_11hip_rocprim7__merge17predicate_wrapperIssNSC_7greaterIsEEEEEE10hipError_tPvRmT0_T1_T2_T3_T4_T5_mmT6_P12ihipStream_tbEUlT_E0_NS1_11comp_targetILNS1_3genE9ELNS1_11target_archE1100ELNS1_3gpuE3ELNS1_3repE0EEENS1_30default_config_static_selectorELNS0_4arch9wavefront6targetE0EEEvS10_.uses_vcc, 0
	.set _ZN7rocprim17ROCPRIM_400000_NS6detail17trampoline_kernelINS0_14default_configENS1_21merge_config_selectorINS0_5tupleIJssEEENS0_10empty_typeEEEZNS1_10merge_implIS3_NS0_12zip_iteratorINS5_IJN6thrust23THRUST_200600_302600_NS6detail15normal_iteratorINSC_10device_ptrIKsEEEESI_EEEEESK_NSA_INS5_IJNSE_INSF_IsEEEESM_EEEEEPS7_SP_SP_NSC_11hip_rocprim7__merge17predicate_wrapperIssNSC_7greaterIsEEEEEE10hipError_tPvRmT0_T1_T2_T3_T4_T5_mmT6_P12ihipStream_tbEUlT_E0_NS1_11comp_targetILNS1_3genE9ELNS1_11target_archE1100ELNS1_3gpuE3ELNS1_3repE0EEENS1_30default_config_static_selectorELNS0_4arch9wavefront6targetE0EEEvS10_.uses_flat_scratch, 0
	.set _ZN7rocprim17ROCPRIM_400000_NS6detail17trampoline_kernelINS0_14default_configENS1_21merge_config_selectorINS0_5tupleIJssEEENS0_10empty_typeEEEZNS1_10merge_implIS3_NS0_12zip_iteratorINS5_IJN6thrust23THRUST_200600_302600_NS6detail15normal_iteratorINSC_10device_ptrIKsEEEESI_EEEEESK_NSA_INS5_IJNSE_INSF_IsEEEESM_EEEEEPS7_SP_SP_NSC_11hip_rocprim7__merge17predicate_wrapperIssNSC_7greaterIsEEEEEE10hipError_tPvRmT0_T1_T2_T3_T4_T5_mmT6_P12ihipStream_tbEUlT_E0_NS1_11comp_targetILNS1_3genE9ELNS1_11target_archE1100ELNS1_3gpuE3ELNS1_3repE0EEENS1_30default_config_static_selectorELNS0_4arch9wavefront6targetE0EEEvS10_.has_dyn_sized_stack, 0
	.set _ZN7rocprim17ROCPRIM_400000_NS6detail17trampoline_kernelINS0_14default_configENS1_21merge_config_selectorINS0_5tupleIJssEEENS0_10empty_typeEEEZNS1_10merge_implIS3_NS0_12zip_iteratorINS5_IJN6thrust23THRUST_200600_302600_NS6detail15normal_iteratorINSC_10device_ptrIKsEEEESI_EEEEESK_NSA_INS5_IJNSE_INSF_IsEEEESM_EEEEEPS7_SP_SP_NSC_11hip_rocprim7__merge17predicate_wrapperIssNSC_7greaterIsEEEEEE10hipError_tPvRmT0_T1_T2_T3_T4_T5_mmT6_P12ihipStream_tbEUlT_E0_NS1_11comp_targetILNS1_3genE9ELNS1_11target_archE1100ELNS1_3gpuE3ELNS1_3repE0EEENS1_30default_config_static_selectorELNS0_4arch9wavefront6targetE0EEEvS10_.has_recursion, 0
	.set _ZN7rocprim17ROCPRIM_400000_NS6detail17trampoline_kernelINS0_14default_configENS1_21merge_config_selectorINS0_5tupleIJssEEENS0_10empty_typeEEEZNS1_10merge_implIS3_NS0_12zip_iteratorINS5_IJN6thrust23THRUST_200600_302600_NS6detail15normal_iteratorINSC_10device_ptrIKsEEEESI_EEEEESK_NSA_INS5_IJNSE_INSF_IsEEEESM_EEEEEPS7_SP_SP_NSC_11hip_rocprim7__merge17predicate_wrapperIssNSC_7greaterIsEEEEEE10hipError_tPvRmT0_T1_T2_T3_T4_T5_mmT6_P12ihipStream_tbEUlT_E0_NS1_11comp_targetILNS1_3genE9ELNS1_11target_archE1100ELNS1_3gpuE3ELNS1_3repE0EEENS1_30default_config_static_selectorELNS0_4arch9wavefront6targetE0EEEvS10_.has_indirect_call, 0
	.section	.AMDGPU.csdata,"",@progbits
; Kernel info:
; codeLenInByte = 0
; TotalNumSgprs: 0
; NumVgprs: 0
; ScratchSize: 0
; MemoryBound: 0
; FloatMode: 240
; IeeeMode: 1
; LDSByteSize: 0 bytes/workgroup (compile time only)
; SGPRBlocks: 0
; VGPRBlocks: 0
; NumSGPRsForWavesPerEU: 1
; NumVGPRsForWavesPerEU: 1
; Occupancy: 16
; WaveLimiterHint : 0
; COMPUTE_PGM_RSRC2:SCRATCH_EN: 0
; COMPUTE_PGM_RSRC2:USER_SGPR: 6
; COMPUTE_PGM_RSRC2:TRAP_HANDLER: 0
; COMPUTE_PGM_RSRC2:TGID_X_EN: 1
; COMPUTE_PGM_RSRC2:TGID_Y_EN: 0
; COMPUTE_PGM_RSRC2:TGID_Z_EN: 0
; COMPUTE_PGM_RSRC2:TIDIG_COMP_CNT: 0
	.section	.text._ZN7rocprim17ROCPRIM_400000_NS6detail17trampoline_kernelINS0_14default_configENS1_21merge_config_selectorINS0_5tupleIJssEEENS0_10empty_typeEEEZNS1_10merge_implIS3_NS0_12zip_iteratorINS5_IJN6thrust23THRUST_200600_302600_NS6detail15normal_iteratorINSC_10device_ptrIKsEEEESI_EEEEESK_NSA_INS5_IJNSE_INSF_IsEEEESM_EEEEEPS7_SP_SP_NSC_11hip_rocprim7__merge17predicate_wrapperIssNSC_7greaterIsEEEEEE10hipError_tPvRmT0_T1_T2_T3_T4_T5_mmT6_P12ihipStream_tbEUlT_E0_NS1_11comp_targetILNS1_3genE8ELNS1_11target_archE1030ELNS1_3gpuE2ELNS1_3repE0EEENS1_30default_config_static_selectorELNS0_4arch9wavefront6targetE0EEEvS10_,"axG",@progbits,_ZN7rocprim17ROCPRIM_400000_NS6detail17trampoline_kernelINS0_14default_configENS1_21merge_config_selectorINS0_5tupleIJssEEENS0_10empty_typeEEEZNS1_10merge_implIS3_NS0_12zip_iteratorINS5_IJN6thrust23THRUST_200600_302600_NS6detail15normal_iteratorINSC_10device_ptrIKsEEEESI_EEEEESK_NSA_INS5_IJNSE_INSF_IsEEEESM_EEEEEPS7_SP_SP_NSC_11hip_rocprim7__merge17predicate_wrapperIssNSC_7greaterIsEEEEEE10hipError_tPvRmT0_T1_T2_T3_T4_T5_mmT6_P12ihipStream_tbEUlT_E0_NS1_11comp_targetILNS1_3genE8ELNS1_11target_archE1030ELNS1_3gpuE2ELNS1_3repE0EEENS1_30default_config_static_selectorELNS0_4arch9wavefront6targetE0EEEvS10_,comdat
	.protected	_ZN7rocprim17ROCPRIM_400000_NS6detail17trampoline_kernelINS0_14default_configENS1_21merge_config_selectorINS0_5tupleIJssEEENS0_10empty_typeEEEZNS1_10merge_implIS3_NS0_12zip_iteratorINS5_IJN6thrust23THRUST_200600_302600_NS6detail15normal_iteratorINSC_10device_ptrIKsEEEESI_EEEEESK_NSA_INS5_IJNSE_INSF_IsEEEESM_EEEEEPS7_SP_SP_NSC_11hip_rocprim7__merge17predicate_wrapperIssNSC_7greaterIsEEEEEE10hipError_tPvRmT0_T1_T2_T3_T4_T5_mmT6_P12ihipStream_tbEUlT_E0_NS1_11comp_targetILNS1_3genE8ELNS1_11target_archE1030ELNS1_3gpuE2ELNS1_3repE0EEENS1_30default_config_static_selectorELNS0_4arch9wavefront6targetE0EEEvS10_ ; -- Begin function _ZN7rocprim17ROCPRIM_400000_NS6detail17trampoline_kernelINS0_14default_configENS1_21merge_config_selectorINS0_5tupleIJssEEENS0_10empty_typeEEEZNS1_10merge_implIS3_NS0_12zip_iteratorINS5_IJN6thrust23THRUST_200600_302600_NS6detail15normal_iteratorINSC_10device_ptrIKsEEEESI_EEEEESK_NSA_INS5_IJNSE_INSF_IsEEEESM_EEEEEPS7_SP_SP_NSC_11hip_rocprim7__merge17predicate_wrapperIssNSC_7greaterIsEEEEEE10hipError_tPvRmT0_T1_T2_T3_T4_T5_mmT6_P12ihipStream_tbEUlT_E0_NS1_11comp_targetILNS1_3genE8ELNS1_11target_archE1030ELNS1_3gpuE2ELNS1_3repE0EEENS1_30default_config_static_selectorELNS0_4arch9wavefront6targetE0EEEvS10_
	.globl	_ZN7rocprim17ROCPRIM_400000_NS6detail17trampoline_kernelINS0_14default_configENS1_21merge_config_selectorINS0_5tupleIJssEEENS0_10empty_typeEEEZNS1_10merge_implIS3_NS0_12zip_iteratorINS5_IJN6thrust23THRUST_200600_302600_NS6detail15normal_iteratorINSC_10device_ptrIKsEEEESI_EEEEESK_NSA_INS5_IJNSE_INSF_IsEEEESM_EEEEEPS7_SP_SP_NSC_11hip_rocprim7__merge17predicate_wrapperIssNSC_7greaterIsEEEEEE10hipError_tPvRmT0_T1_T2_T3_T4_T5_mmT6_P12ihipStream_tbEUlT_E0_NS1_11comp_targetILNS1_3genE8ELNS1_11target_archE1030ELNS1_3gpuE2ELNS1_3repE0EEENS1_30default_config_static_selectorELNS0_4arch9wavefront6targetE0EEEvS10_
	.p2align	8
	.type	_ZN7rocprim17ROCPRIM_400000_NS6detail17trampoline_kernelINS0_14default_configENS1_21merge_config_selectorINS0_5tupleIJssEEENS0_10empty_typeEEEZNS1_10merge_implIS3_NS0_12zip_iteratorINS5_IJN6thrust23THRUST_200600_302600_NS6detail15normal_iteratorINSC_10device_ptrIKsEEEESI_EEEEESK_NSA_INS5_IJNSE_INSF_IsEEEESM_EEEEEPS7_SP_SP_NSC_11hip_rocprim7__merge17predicate_wrapperIssNSC_7greaterIsEEEEEE10hipError_tPvRmT0_T1_T2_T3_T4_T5_mmT6_P12ihipStream_tbEUlT_E0_NS1_11comp_targetILNS1_3genE8ELNS1_11target_archE1030ELNS1_3gpuE2ELNS1_3repE0EEENS1_30default_config_static_selectorELNS0_4arch9wavefront6targetE0EEEvS10_,@function
_ZN7rocprim17ROCPRIM_400000_NS6detail17trampoline_kernelINS0_14default_configENS1_21merge_config_selectorINS0_5tupleIJssEEENS0_10empty_typeEEEZNS1_10merge_implIS3_NS0_12zip_iteratorINS5_IJN6thrust23THRUST_200600_302600_NS6detail15normal_iteratorINSC_10device_ptrIKsEEEESI_EEEEESK_NSA_INS5_IJNSE_INSF_IsEEEESM_EEEEEPS7_SP_SP_NSC_11hip_rocprim7__merge17predicate_wrapperIssNSC_7greaterIsEEEEEE10hipError_tPvRmT0_T1_T2_T3_T4_T5_mmT6_P12ihipStream_tbEUlT_E0_NS1_11comp_targetILNS1_3genE8ELNS1_11target_archE1030ELNS1_3gpuE2ELNS1_3repE0EEENS1_30default_config_static_selectorELNS0_4arch9wavefront6targetE0EEEvS10_: ; @_ZN7rocprim17ROCPRIM_400000_NS6detail17trampoline_kernelINS0_14default_configENS1_21merge_config_selectorINS0_5tupleIJssEEENS0_10empty_typeEEEZNS1_10merge_implIS3_NS0_12zip_iteratorINS5_IJN6thrust23THRUST_200600_302600_NS6detail15normal_iteratorINSC_10device_ptrIKsEEEESI_EEEEESK_NSA_INS5_IJNSE_INSF_IsEEEESM_EEEEEPS7_SP_SP_NSC_11hip_rocprim7__merge17predicate_wrapperIssNSC_7greaterIsEEEEEE10hipError_tPvRmT0_T1_T2_T3_T4_T5_mmT6_P12ihipStream_tbEUlT_E0_NS1_11comp_targetILNS1_3genE8ELNS1_11target_archE1030ELNS1_3gpuE2ELNS1_3repE0EEENS1_30default_config_static_selectorELNS0_4arch9wavefront6targetE0EEEvS10_
; %bb.0:
	s_clause 0x2
	s_load_dwordx4 s[0:3], s[4:5], 0x58
	s_load_dwordx8 s[8:15], s[4:5], 0x8
	s_load_dwordx4 s[16:19], s[4:5], 0x28
	s_mov_b32 s23, 0
	v_mov_b32_e32 v1, 0
	s_mov_b32 s25, s23
	s_waitcnt lgkmcnt(0)
	s_add_i32 s20, s2, s0
	s_add_i32 s0, s20, 0x1fff
	s_lshr_b32 s0, s0, 13
	s_min_u32 s1, s6, s0
	s_lshl_b32 s1, s1, 2
	s_load_dword s22, s[8:9], s1 offset:0x0
	s_add_i32 s1, s6, 1
	s_min_u32 s0, s1, s0
	s_lshl_b32 s0, s0, 2
	s_load_dword s9, s[8:9], s0 offset:0x0
	s_lshl_b32 s8, s6, 13
	s_add_i32 s0, s8, 0x2000
	s_min_u32 s21, s20, s0
	s_waitcnt lgkmcnt(0)
	s_lshl_b64 s[2:3], s[22:23], 1
	s_sub_i32 s24, s8, s22
	s_add_u32 s0, s10, s2
	s_addc_u32 s1, s11, s3
	s_add_u32 s2, s12, s2
	s_addc_u32 s3, s13, s3
	s_lshl_b64 s[10:11], s[24:25], 1
	s_add_u32 s6, s14, s10
	s_addc_u32 s7, s15, s11
	s_add_u32 s10, s16, s10
	s_addc_u32 s11, s17, s11
	s_add_i32 s12, s24, s9
	s_sub_i32 s9, s9, s22
	s_sub_i32 s14, s21, s12
	s_mov_b32 s15, exec_lo
	s_add_u32 s12, s14, s9
	s_addc_u32 s13, 0, 0
	v_cmpx_le_u32_e64 s9, v0
	s_xor_b32 s15, exec_lo, s15
	s_cbranch_execz .LBB460_4
; %bb.1:
	s_mov_b32 s16, exec_lo
	v_cmpx_gt_u64_e64 s[12:13], v[0:1]
	s_cbranch_execz .LBB460_3
; %bb.2:
	v_subrev_nc_u32_e32 v1, s9, v0
	v_lshlrev_b32_e32 v1, 1, v1
	s_clause 0x1
	global_load_ushort v2, v1, s[6:7]
	global_load_short_d16_hi v2, v1, s[10:11]
	v_lshlrev_b32_e32 v1, 2, v0
	s_waitcnt vmcnt(0)
	ds_write_b32 v1, v2
.LBB460_3:
	s_or_b32 exec_lo, exec_lo, s16
.LBB460_4:
	s_or_saveexec_b32 s15, s15
	v_lshlrev_b32_e32 v12, 1, v0
	v_lshlrev_b32_e32 v9, 2, v0
	s_xor_b32 exec_lo, exec_lo, s15
	s_cbranch_execz .LBB460_6
; %bb.5:
	s_clause 0x1
	global_load_ushort v1, v12, s[0:1]
	global_load_short_d16_hi v1, v12, s[2:3]
	s_waitcnt vmcnt(0)
	ds_write_b32 v9, v1
.LBB460_6:
	s_or_b32 exec_lo, exec_lo, s15
	v_or_b32_e32 v1, 0x400, v0
	v_mov_b32_e32 v2, 0
	s_mov_b32 s15, exec_lo
	v_cmpx_le_u32_e64 s9, v1
	s_xor_b32 s15, exec_lo, s15
	s_cbranch_execz .LBB460_10
; %bb.7:
	s_mov_b32 s16, exec_lo
	v_cmpx_gt_u64_e64 s[12:13], v[1:2]
	s_cbranch_execz .LBB460_9
; %bb.8:
	v_subrev_nc_u32_e32 v2, s9, v1
	v_lshlrev_b32_e32 v2, 1, v2
	s_clause 0x1
	global_load_ushort v3, v2, s[6:7]
	global_load_short_d16_hi v3, v2, s[10:11]
	s_waitcnt vmcnt(0)
	ds_write_b32 v9, v3 offset:4096
.LBB460_9:
	s_or_b32 exec_lo, exec_lo, s16
.LBB460_10:
	s_andn2_saveexec_b32 s15, s15
	s_cbranch_execz .LBB460_12
; %bb.11:
	v_lshlrev_b32_e32 v2, 1, v1
	s_clause 0x1
	global_load_ushort v3, v2, s[0:1]
	global_load_short_d16_hi v3, v2, s[2:3]
	s_waitcnt vmcnt(0)
	ds_write_b32 v9, v3 offset:4096
.LBB460_12:
	s_or_b32 exec_lo, exec_lo, s15
	v_or_b32_e32 v2, 0x800, v0
	v_mov_b32_e32 v3, 0
	s_mov_b32 s15, exec_lo
	v_cmpx_le_u32_e64 s9, v2
	s_xor_b32 s15, exec_lo, s15
	s_cbranch_execz .LBB460_16
; %bb.13:
	s_mov_b32 s16, exec_lo
	v_cmpx_gt_u64_e64 s[12:13], v[2:3]
	s_cbranch_execz .LBB460_15
; %bb.14:
	v_subrev_nc_u32_e32 v3, s9, v2
	v_lshlrev_b32_e32 v3, 1, v3
	s_clause 0x1
	global_load_ushort v4, v3, s[6:7]
	global_load_short_d16_hi v4, v3, s[10:11]
	s_waitcnt vmcnt(0)
	ds_write_b32 v9, v4 offset:8192
.LBB460_15:
	s_or_b32 exec_lo, exec_lo, s16
.LBB460_16:
	s_andn2_saveexec_b32 s15, s15
	s_cbranch_execz .LBB460_18
; %bb.17:
	v_lshlrev_b32_e32 v3, 1, v2
	s_clause 0x1
	global_load_ushort v4, v3, s[0:1]
	global_load_short_d16_hi v4, v3, s[2:3]
	s_waitcnt vmcnt(0)
	ds_write_b32 v9, v4 offset:8192
.LBB460_18:
	;; [unrolled: 32-line block ×6, first 2 shown]
	s_or_b32 exec_lo, exec_lo, s15
	v_or_b32_e32 v7, 0x1c00, v0
	v_mov_b32_e32 v8, 0
	s_mov_b32 s15, exec_lo
	v_cmpx_le_u32_e64 s9, v7
	s_xor_b32 s15, exec_lo, s15
	s_cbranch_execz .LBB460_46
; %bb.43:
	v_cmp_gt_u64_e32 vcc_lo, s[12:13], v[7:8]
	s_and_saveexec_b32 s12, vcc_lo
	s_cbranch_execz .LBB460_45
; %bb.44:
	v_subrev_nc_u32_e32 v8, s9, v7
	v_lshlrev_b32_e32 v8, 1, v8
	s_clause 0x1
	global_load_ushort v10, v8, s[6:7]
	global_load_short_d16_hi v10, v8, s[10:11]
	s_waitcnt vmcnt(0)
	ds_write_b32 v9, v10 offset:28672
.LBB460_45:
	s_or_b32 exec_lo, exec_lo, s12
.LBB460_46:
	s_or_saveexec_b32 s6, s15
	s_load_dwordx2 s[10:11], s[4:5], 0x38
	s_xor_b32 exec_lo, exec_lo, s6
	s_cbranch_execz .LBB460_48
; %bb.47:
	v_lshlrev_b32_e32 v8, 1, v7
	s_clause 0x1
	global_load_ushort v10, v8, s[0:1]
	global_load_short_d16_hi v10, v8, s[2:3]
	s_waitcnt vmcnt(0)
	ds_write_b32 v9, v10 offset:28672
.LBB460_48:
	s_or_b32 exec_lo, exec_lo, s6
	v_lshlrev_b32_e32 v8, 3, v0
	s_mov_b32 s0, exec_lo
	s_waitcnt lgkmcnt(0)
	s_barrier
	buffer_gl0_inv
	v_sub_nc_u32_e64 v15, v8, s14 clamp
	v_min_u32_e32 v10, s9, v8
	v_cmpx_lt_u32_e64 v15, v10
	s_cbranch_execz .LBB460_52
; %bb.49:
	v_lshlrev_b32_e32 v11, 2, v8
	s_mov_b32 s1, 0
	v_lshl_add_u32 v11, s9, 2, v11
	.p2align	6
.LBB460_50:                             ; =>This Inner Loop Header: Depth=1
	v_add_nc_u32_e32 v13, v10, v15
	v_lshrrev_b32_e32 v13, 1, v13
	v_not_b32_e32 v14, v13
	v_lshlrev_b32_e32 v16, 2, v13
	v_add_nc_u32_e32 v17, 1, v13
	v_lshl_add_u32 v14, v14, 2, v11
	ds_read_b32 v16, v16
	ds_read_b32 v14, v14
	s_waitcnt lgkmcnt(0)
	v_cmp_gt_i16_e32 vcc_lo, v14, v16
	v_cndmask_b32_e32 v10, v10, v13, vcc_lo
	v_cndmask_b32_e32 v15, v17, v15, vcc_lo
	v_cmp_ge_u32_e32 vcc_lo, v15, v10
	s_or_b32 s1, vcc_lo, s1
	s_andn2_b32 exec_lo, exec_lo, s1
	s_cbranch_execnz .LBB460_50
; %bb.51:
	s_or_b32 exec_lo, exec_lo, s1
.LBB460_52:
	s_or_b32 exec_lo, exec_lo, s0
	v_add_nc_u32_e32 v11, s9, v8
	s_add_i32 s14, s14, s9
	v_cmp_ge_u32_e32 vcc_lo, s9, v15
	v_mov_b32_e32 v10, 0
	v_mov_b32_e32 v13, 0
	v_sub_nc_u32_e32 v16, v11, v15
	v_mov_b32_e32 v11, 0
	v_mov_b32_e32 v18, 0
	;; [unrolled: 1-line block ×4, first 2 shown]
	v_cmp_ge_u32_e64 s0, s14, v16
	v_mov_b32_e32 v21, 0
	v_mov_b32_e32 v22, 0
	s_or_b32 s0, vcc_lo, s0
	s_and_saveexec_b32 s7, s0
	s_cbranch_execz .LBB460_58
; %bb.53:
	v_cmp_gt_u32_e32 vcc_lo, s9, v15
	v_mov_b32_e32 v10, 0
	v_mov_b32_e32 v13, 0
	;; [unrolled: 1-line block ×3, first 2 shown]
	s_and_saveexec_b32 s0, vcc_lo
	s_cbranch_execz .LBB460_55
; %bb.54:
	v_lshlrev_b32_e32 v11, 2, v15
	ds_read_b32 v13, v11
	s_waitcnt lgkmcnt(0)
	v_lshrrev_b32_e32 v11, 16, v13
.LBB460_55:
	s_or_b32 exec_lo, exec_lo, s0
	v_cmp_le_u32_e64 s0, s14, v16
	v_mov_b32_e32 v14, 0
	s_mov_b32 s2, exec_lo
	v_cmpx_gt_u32_e64 s14, v16
	s_cbranch_execz .LBB460_57
; %bb.56:
	v_lshlrev_b32_e32 v10, 2, v16
	ds_read_b32 v10, v10
	s_waitcnt lgkmcnt(0)
	v_lshrrev_b32_e32 v14, 16, v10
.LBB460_57:
	s_or_b32 exec_lo, exec_lo, s2
	v_cmp_le_i16_e64 s1, v10, v13
	v_mov_b32_e32 v17, s9
	v_lshlrev_b32_e32 v35, 16, v11
	v_lshlrev_b32_e32 v36, 16, v14
	s_and_b32 s1, vcc_lo, s1
	s_or_b32 vcc_lo, s0, s1
	v_cndmask_b32_e32 v18, v16, v15, vcc_lo
	v_cndmask_b32_e32 v19, s14, v17, vcc_lo
	v_add_nc_u32_e32 v18, 1, v18
	v_add_nc_u32_e32 v19, -1, v19
	v_cndmask_b32_e32 v15, v15, v18, vcc_lo
	v_min_u32_e32 v19, v18, v19
	v_cndmask_b32_e32 v16, v18, v16, vcc_lo
	v_cmp_gt_u32_e64 s0, s9, v15
	v_lshlrev_b32_e32 v19, 2, v19
	v_cmp_le_u32_e64 s2, s14, v16
	ds_read_b32 v19, v19
	s_waitcnt lgkmcnt(0)
	v_cndmask_b32_e32 v20, v19, v10, vcc_lo
	v_cndmask_b32_e32 v21, v13, v19, vcc_lo
	v_or_b32_sdwa v13, v35, v13 dst_sel:DWORD dst_unused:UNUSED_PAD src0_sel:DWORD src1_sel:WORD_0
	v_or_b32_sdwa v10, v36, v10 dst_sel:DWORD dst_unused:UNUSED_PAD src0_sel:DWORD src1_sel:WORD_0
	v_lshrrev_b32_e32 v19, 16, v19
	v_cmp_le_i16_e64 s1, v20, v21
	v_cndmask_b32_e32 v10, v10, v13, vcc_lo
	v_cndmask_b32_e32 v13, v19, v14, vcc_lo
	;; [unrolled: 1-line block ×3, first 2 shown]
	s_and_b32 s0, s0, s1
	s_or_b32 s0, s2, s0
	v_cndmask_b32_e64 v18, v16, v15, s0
	v_cndmask_b32_e64 v22, s14, v17, s0
	v_lshlrev_b32_e32 v19, 16, v11
	v_add_nc_u32_e32 v18, 1, v18
	v_add_nc_u32_e32 v22, -1, v22
	v_or_b32_sdwa v19, v19, v21 dst_sel:DWORD dst_unused:UNUSED_PAD src0_sel:DWORD src1_sel:WORD_0
	v_cndmask_b32_e64 v15, v15, v18, s0
	v_min_u32_e32 v22, v18, v22
	v_cndmask_b32_e64 v16, v18, v16, s0
	v_cmp_gt_u32_e64 s1, s9, v15
	v_lshlrev_b32_e32 v22, 2, v22
	v_cmp_le_u32_e64 s3, s14, v16
	ds_read_b32 v22, v22
	s_waitcnt lgkmcnt(0)
	v_cndmask_b32_e64 v23, v22, v20, s0
	v_cndmask_b32_e64 v24, v21, v22, s0
	v_cmp_le_i16_e64 s2, v23, v24
	s_and_b32 s1, s1, s2
	s_or_b32 s1, s3, s1
	v_cndmask_b32_e64 v18, v16, v15, s1
	v_cndmask_b32_e64 v25, s14, v17, s1
	v_add_nc_u32_e32 v18, 1, v18
	v_add_nc_u32_e32 v25, -1, v25
	v_cndmask_b32_e64 v15, v15, v18, s1
	v_min_u32_e32 v25, v18, v25
	v_cndmask_b32_e64 v16, v18, v16, s1
	v_cmp_gt_u32_e64 s2, s9, v15
	v_lshlrev_b32_e32 v25, 2, v25
	v_cmp_le_u32_e64 s4, s14, v16
	ds_read_b32 v25, v25
	s_waitcnt lgkmcnt(0)
	v_cndmask_b32_e64 v26, v25, v23, s1
	v_cndmask_b32_e64 v27, v24, v25, s1
	v_lshrrev_b32_e32 v25, 16, v25
	v_cmp_le_i16_e64 s3, v26, v27
	s_and_b32 s2, s2, s3
	s_or_b32 s2, s4, s2
	v_cndmask_b32_e64 v18, v16, v15, s2
	v_cndmask_b32_e64 v28, s14, v17, s2
	v_add_nc_u32_e32 v18, 1, v18
	v_add_nc_u32_e32 v28, -1, v28
	v_cndmask_b32_e64 v15, v15, v18, s2
	v_min_u32_e32 v28, v18, v28
	v_cndmask_b32_e64 v16, v18, v16, s2
	v_cmp_gt_u32_e64 s3, s9, v15
	v_lshlrev_b32_e32 v28, 2, v28
	v_cmp_le_u32_e64 s5, s14, v16
	ds_read_b32 v28, v28
	s_waitcnt lgkmcnt(0)
	v_cndmask_b32_e64 v29, v28, v26, s2
	v_cndmask_b32_e64 v30, v27, v28, s2
	v_cmp_le_i16_e64 s4, v29, v30
	s_and_b32 s3, s3, s4
	s_or_b32 s3, s5, s3
	v_cndmask_b32_e64 v18, v16, v15, s3
	v_cndmask_b32_e64 v31, s14, v17, s3
	v_add_nc_u32_e32 v18, 1, v18
	v_add_nc_u32_e32 v31, -1, v31
	v_cndmask_b32_e64 v15, v15, v18, s3
	v_min_u32_e32 v31, v18, v31
	v_cndmask_b32_e64 v16, v18, v16, s3
	v_cmp_gt_u32_e64 s4, s9, v15
	v_lshlrev_b32_e32 v31, 2, v31
	v_cmp_le_u32_e64 s6, s14, v16
	ds_read_b32 v31, v31
	s_waitcnt lgkmcnt(0)
	v_cndmask_b32_e64 v32, v31, v29, s3
	v_cndmask_b32_e64 v33, v30, v31, s3
	v_cmp_le_i16_e64 s5, v32, v33
	s_and_b32 s4, s4, s5
	s_or_b32 s4, s6, s4
	v_cndmask_b32_e64 v18, v16, v15, s4
	v_cndmask_b32_e64 v34, s14, v17, s4
	v_add_nc_u32_e32 v18, 1, v18
	v_add_nc_u32_e32 v34, -1, v34
	v_cndmask_b32_e64 v14, v15, v18, s4
	v_min_u32_e32 v34, v18, v34
	v_cndmask_b32_e64 v16, v18, v16, s4
	v_lshrrev_b32_e32 v18, 16, v22
	v_lshlrev_b32_e32 v22, 16, v13
	v_cmp_gt_u32_e32 vcc_lo, s9, v14
	v_lshlrev_b32_e32 v34, 2, v34
	v_cmp_le_u32_e64 s6, s14, v16
	v_cndmask_b32_e64 v13, v18, v13, s0
	v_cndmask_b32_e64 v18, v11, v18, s0
	v_or_b32_sdwa v20, v22, v20 dst_sel:DWORD dst_unused:UNUSED_PAD src0_sel:DWORD src1_sel:WORD_0
	ds_read_b32 v34, v34
	v_lshlrev_b32_e32 v22, 16, v13
	v_lshlrev_b32_e32 v21, 16, v18
	v_cndmask_b32_e64 v18, v18, v25, s1
	s_waitcnt lgkmcnt(0)
	v_cndmask_b32_e64 v15, v34, v32, s4
	v_cndmask_b32_e64 v35, v33, v34, s4
	v_cmp_le_i16_e64 s5, v15, v35
	s_and_b32 s5, vcc_lo, s5
	s_or_b32 vcc_lo, s6, s5
	v_cndmask_b32_e32 v11, v16, v14, vcc_lo
	v_cndmask_b32_e32 v17, s14, v17, vcc_lo
	v_add_nc_u32_e32 v36, 1, v11
	v_add_nc_u32_e32 v17, -1, v17
	v_cndmask_b32_e64 v11, v20, v19, s0
	v_or_b32_sdwa v19, v21, v24 dst_sel:DWORD dst_unused:UNUSED_PAD src0_sel:DWORD src1_sel:WORD_0
	v_or_b32_sdwa v20, v22, v23 dst_sel:DWORD dst_unused:UNUSED_PAD src0_sel:DWORD src1_sel:WORD_0
	v_cndmask_b32_e64 v21, v25, v13, s1
	v_min_u32_e32 v17, v36, v17
	v_lshrrev_b32_e32 v22, 16, v28
	v_cndmask_b32_e32 v14, v14, v36, vcc_lo
	v_cndmask_b32_e64 v13, v20, v19, s1
	v_lshlrev_b32_e32 v19, 16, v18
	v_lshlrev_b32_e32 v17, 2, v17
	;; [unrolled: 1-line block ×3, first 2 shown]
	v_cndmask_b32_e64 v21, v22, v21, s2
	v_cndmask_b32_e64 v18, v18, v22, s2
	v_lshrrev_b32_e32 v22, 16, v31
	ds_read_b32 v17, v17
	v_or_b32_sdwa v20, v20, v26 dst_sel:DWORD dst_unused:UNUSED_PAD src0_sel:DWORD src1_sel:WORD_0
	v_lshlrev_b32_e32 v24, 16, v21
	v_lshlrev_b32_e32 v23, 16, v18
	v_lshrrev_b32_e32 v26, 16, v34
	v_cndmask_b32_e64 v21, v22, v21, s3
	v_or_b32_sdwa v19, v19, v27 dst_sel:DWORD dst_unused:UNUSED_PAD src0_sel:DWORD src1_sel:WORD_0
	v_cndmask_b32_e64 v25, v18, v22, s3
	v_or_b32_sdwa v22, v23, v30 dst_sel:DWORD dst_unused:UNUSED_PAD src0_sel:DWORD src1_sel:WORD_0
	v_or_b32_sdwa v23, v24, v29 dst_sel:DWORD dst_unused:UNUSED_PAD src0_sel:DWORD src1_sel:WORD_0
	v_cndmask_b32_e64 v24, v26, v21, s4
	v_cndmask_b32_e64 v18, v20, v19, s2
	;; [unrolled: 1-line block ×3, first 2 shown]
	v_lshlrev_b32_e32 v25, 16, v25
	v_cndmask_b32_e64 v19, v23, v22, s3
	v_lshlrev_b32_e32 v23, 16, v24
	v_lshlrev_b32_e32 v21, 16, v21
	;; [unrolled: 1-line block ×3, first 2 shown]
	v_cndmask_b32_e32 v16, v36, v16, vcc_lo
	v_cmp_gt_u32_e64 s0, s9, v14
	s_waitcnt lgkmcnt(0)
	v_lshrrev_b32_e32 v26, 16, v17
	v_or_b32_sdwa v23, v23, v15 dst_sel:DWORD dst_unused:UNUSED_PAD src0_sel:DWORD src1_sel:WORD_0
	v_cndmask_b32_e32 v15, v17, v15, vcc_lo
	v_cndmask_b32_e32 v17, v35, v17, vcc_lo
	v_or_b32_sdwa v25, v25, v33 dst_sel:DWORD dst_unused:UNUSED_PAD src0_sel:DWORD src1_sel:WORD_0
	v_cndmask_b32_e32 v20, v20, v26, vcc_lo
	v_cndmask_b32_e32 v24, v26, v24, vcc_lo
	v_or_b32_sdwa v21, v21, v32 dst_sel:DWORD dst_unused:UNUSED_PAD src0_sel:DWORD src1_sel:WORD_0
	v_cmp_le_i16_e64 s1, v15, v17
	v_or_b32_sdwa v22, v22, v35 dst_sel:DWORD dst_unused:UNUSED_PAD src0_sel:DWORD src1_sel:WORD_0
	v_lshlrev_b32_e32 v20, 16, v20
	v_lshlrev_b32_e32 v24, 16, v24
	v_cmp_le_u32_e64 s2, s14, v16
	s_and_b32 s0, s0, s1
	v_or_b32_sdwa v14, v20, v17 dst_sel:DWORD dst_unused:UNUSED_PAD src0_sel:DWORD src1_sel:WORD_0
	v_or_b32_sdwa v15, v24, v15 dst_sel:DWORD dst_unused:UNUSED_PAD src0_sel:DWORD src1_sel:WORD_0
	v_cndmask_b32_e64 v20, v21, v25, s4
	v_cndmask_b32_e32 v21, v23, v22, vcc_lo
	s_or_b32 vcc_lo, s2, s0
	v_cndmask_b32_e32 v22, v15, v14, vcc_lo
.LBB460_58:
	s_or_b32 exec_lo, exec_lo, s7
	v_and_b32_e32 v14, 0x3fc, v0
	s_mov_b32 s9, 0
	s_sub_i32 s4, s20, s8
	s_lshl_b64 s[2:3], s[8:9], 1
	v_lshl_add_u32 v23, v8, 2, v14
	s_add_u32 s0, s18, s2
	s_addc_u32 s1, s19, s3
	s_barrier
	buffer_gl0_inv
	ds_write2_b32 v23, v10, v11 offset1:1
	v_lshrrev_b32_e32 v17, 3, v1
	v_lshrrev_b32_e32 v16, 3, v2
	;; [unrolled: 1-line block ×7, first 2 shown]
	s_add_u32 s2, s10, s2
	s_addc_u32 s3, s11, s3
	s_cmpk_gt_u32 s4, 0x1fff
	ds_write2_b32 v23, v13, v18 offset0:2 offset1:3
	ds_write2_b32 v23, v19, v20 offset0:4 offset1:5
	;; [unrolled: 1-line block ×3, first 2 shown]
	s_waitcnt lgkmcnt(0)
	s_cbranch_scc0 .LBB460_60
; %bb.59:
	v_lshrrev_b32_e32 v13, 3, v0
	v_and_b32_e32 v18, 0xfc, v17
	v_and_b32_e32 v19, 0x1fc, v16
	;; [unrolled: 1-line block ×6, first 2 shown]
	s_barrier
	buffer_gl0_inv
	v_and_b32_e32 v23, 0x3fc, v10
	v_add_nc_u32_e32 v13, v13, v9
	v_and_b32_e32 v24, 0x3fc, v8
	v_add_co_u32 v26, s5, s0, v12
	v_add_co_ci_u32_e64 v27, null, s1, 0, s5
	ds_read_b32 v25, v13
	v_add_nc_u32_e32 v13, v18, v9
	v_add_nc_u32_e32 v18, v19, v9
	;; [unrolled: 1-line block ×7, first 2 shown]
	ds_read_b32 v24, v13 offset:4096
	ds_read_b32 v30, v18 offset:8192
	;; [unrolled: 1-line block ×7, first 2 shown]
	v_add_co_u32 v28, s5, s2, v12
	v_add_co_ci_u32_e64 v29, null, s3, 0, s5
	v_add_co_u32 v18, vcc_lo, v26, 0x1000
	v_add_co_ci_u32_e64 v19, null, 0, v27, vcc_lo
	v_add_co_u32 v20, vcc_lo, v28, 0x1000
	v_add_co_ci_u32_e64 v21, null, 0, v29, vcc_lo
	;; [unrolled: 2-line block ×3, first 2 shown]
	s_waitcnt lgkmcnt(7)
	global_store_short v12, v25, s[0:1]
	global_store_short_d16_hi v12, v25, s[2:3]
	s_waitcnt lgkmcnt(6)
	global_store_short v[18:19], v24, off offset:-2048
	global_store_short_d16_hi v[20:21], v24, off offset:-2048
	s_waitcnt lgkmcnt(5)
	global_store_short v[18:19], v30, off
	global_store_short_d16_hi v[20:21], v30, off
	s_waitcnt lgkmcnt(4)
	global_store_short v[22:23], v31, off offset:-2048
	v_add_co_u32 v18, vcc_lo, v28, 0x2000
	v_add_co_ci_u32_e64 v19, null, 0, v29, vcc_lo
	v_add_co_u32 v20, vcc_lo, v26, 0x3000
	v_add_co_ci_u32_e64 v21, null, 0, v27, vcc_lo
	;; [unrolled: 2-line block ×3, first 2 shown]
	global_store_short_d16_hi v[18:19], v31, off offset:-2048
	s_waitcnt lgkmcnt(3)
	global_store_short v[22:23], v32, off
	global_store_short_d16_hi v[18:19], v32, off
	s_waitcnt lgkmcnt(2)
	global_store_short v[20:21], v33, off offset:-2048
	global_store_short_d16_hi v[24:25], v33, off offset:-2048
	s_waitcnt lgkmcnt(1)
	global_store_short v[20:21], v34, off
	s_mov_b32 s9, -1
	global_store_short_d16_hi v[24:25], v34, off
	s_cbranch_execz .LBB460_61
	s_branch .LBB460_70
.LBB460_60:
                                        ; implicit-def: $vgpr13
.LBB460_61:
	s_waitcnt lgkmcnt(0)
	v_and_b32_e32 v13, 0xfc, v17
	v_and_b32_e32 v16, 0x1fc, v16
	v_and_b32_e32 v15, 0x1fc, v15
	v_and_b32_e32 v14, 0x3fc, v14
	v_and_b32_e32 v11, 0x3fc, v11
	v_add_nc_u32_e32 v13, v13, v9
	v_and_b32_e32 v10, 0x3fc, v10
	v_and_b32_e32 v8, 0x3fc, v8
	v_add_nc_u32_e32 v16, v16, v9
	v_add_nc_u32_e32 v15, v15, v9
	;; [unrolled: 1-line block ×4, first 2 shown]
	s_barrier
	s_waitcnt_vscnt null, 0x0
	buffer_gl0_inv
	v_add_nc_u32_e32 v10, v10, v9
	v_add_nc_u32_e32 v8, v8, v9
	ds_read_b32 v19, v13 offset:4096
	ds_read_b32 v18, v16 offset:8192
	;; [unrolled: 1-line block ×7, first 2 shown]
	v_add_co_u32 v10, s5, s0, v12
	v_add_co_ci_u32_e64 v11, null, s1, 0, s5
	v_add_co_u32 v8, s5, s2, v12
	v_add_co_ci_u32_e64 v9, null, s3, 0, s5
	s_mov_b32 s5, exec_lo
	v_cmpx_gt_u32_e64 s4, v0
	s_cbranch_execnz .LBB460_73
; %bb.62:
	s_or_b32 exec_lo, exec_lo, s5
	s_mov_b32 s5, exec_lo
	v_cmpx_gt_u32_e64 s4, v1
	s_cbranch_execnz .LBB460_74
.LBB460_63:
	s_or_b32 exec_lo, exec_lo, s5
	s_mov_b32 s5, exec_lo
	v_cmpx_gt_u32_e64 s4, v2
	s_cbranch_execnz .LBB460_75
.LBB460_64:
	s_or_b32 exec_lo, exec_lo, s5
	s_mov_b32 s5, exec_lo
	v_cmpx_gt_u32_e64 s4, v3
	s_cbranch_execnz .LBB460_76
.LBB460_65:
	s_or_b32 exec_lo, exec_lo, s5
	s_mov_b32 s5, exec_lo
	v_cmpx_gt_u32_e64 s4, v4
	s_cbranch_execnz .LBB460_77
.LBB460_66:
	s_or_b32 exec_lo, exec_lo, s5
	s_mov_b32 s5, exec_lo
	v_cmpx_gt_u32_e64 s4, v5
	s_cbranch_execnz .LBB460_78
.LBB460_67:
	s_or_b32 exec_lo, exec_lo, s5
	s_mov_b32 s5, exec_lo
	v_cmpx_gt_u32_e64 s4, v6
	s_cbranch_execz .LBB460_69
.LBB460_68:
	v_add_co_u32 v0, vcc_lo, 0x3000, v10
	v_add_co_ci_u32_e64 v1, null, 0, v11, vcc_lo
	v_add_co_u32 v2, vcc_lo, 0x3000, v8
	v_add_co_ci_u32_e64 v3, null, 0, v9, vcc_lo
	s_waitcnt lgkmcnt(1)
	global_store_short v[0:1], v14, off
	global_store_short_d16_hi v[2:3], v14, off
.LBB460_69:
	s_or_b32 exec_lo, exec_lo, s5
	v_cmp_gt_u32_e64 s9, s4, v7
.LBB460_70:
	s_and_saveexec_b32 s4, s9
	s_cbranch_execnz .LBB460_72
; %bb.71:
	s_endpgm
.LBB460_72:
	v_add_co_u32 v0, s0, s0, v12
	v_add_co_ci_u32_e64 v1, null, s1, 0, s0
	v_add_co_u32 v2, s0, s2, v12
	v_add_co_ci_u32_e64 v3, null, s3, 0, s0
	v_add_co_u32 v0, vcc_lo, 0x3800, v0
	v_add_co_ci_u32_e64 v1, null, 0, v1, vcc_lo
	v_add_co_u32 v2, vcc_lo, 0x3800, v2
	v_add_co_ci_u32_e64 v3, null, 0, v3, vcc_lo
	s_waitcnt lgkmcnt(0)
	global_store_short v[0:1], v13, off
	global_store_short_d16_hi v[2:3], v13, off
	s_endpgm
.LBB460_73:
	v_lshrrev_b32_e32 v20, 3, v0
	v_and_b32_e32 v20, 0x7c, v20
	v_lshl_add_u32 v0, v0, 2, v20
	ds_read_b32 v0, v0
	s_waitcnt lgkmcnt(0)
	global_store_short v[10:11], v0, off
	global_store_short_d16_hi v[8:9], v0, off
	s_or_b32 exec_lo, exec_lo, s5
	s_mov_b32 s5, exec_lo
	v_cmpx_gt_u32_e64 s4, v1
	s_cbranch_execz .LBB460_63
.LBB460_74:
	v_add_co_u32 v0, vcc_lo, 0x800, v10
	v_add_co_ci_u32_e64 v1, null, 0, v11, vcc_lo
	v_add_co_u32 v20, vcc_lo, 0x800, v8
	v_add_co_ci_u32_e64 v21, null, 0, v9, vcc_lo
	s_waitcnt lgkmcnt(6)
	global_store_short v[0:1], v19, off
	global_store_short_d16_hi v[20:21], v19, off
	s_or_b32 exec_lo, exec_lo, s5
	s_mov_b32 s5, exec_lo
	v_cmpx_gt_u32_e64 s4, v2
	s_cbranch_execz .LBB460_64
.LBB460_75:
	v_add_co_u32 v0, vcc_lo, 0x1000, v10
	v_add_co_ci_u32_e64 v1, null, 0, v11, vcc_lo
	s_waitcnt lgkmcnt(6)
	v_add_co_u32 v19, vcc_lo, 0x1000, v8
	v_add_co_ci_u32_e64 v20, null, 0, v9, vcc_lo
	s_waitcnt lgkmcnt(5)
	global_store_short v[0:1], v18, off
	global_store_short_d16_hi v[19:20], v18, off
	s_or_b32 exec_lo, exec_lo, s5
	s_mov_b32 s5, exec_lo
	v_cmpx_gt_u32_e64 s4, v3
	s_cbranch_execz .LBB460_65
.LBB460_76:
	v_add_co_u32 v0, vcc_lo, 0x1800, v10
	v_add_co_ci_u32_e64 v1, null, 0, v11, vcc_lo
	v_add_co_u32 v2, vcc_lo, 0x1800, v8
	v_add_co_ci_u32_e64 v3, null, 0, v9, vcc_lo
	s_waitcnt lgkmcnt(4)
	global_store_short v[0:1], v17, off
	global_store_short_d16_hi v[2:3], v17, off
	s_or_b32 exec_lo, exec_lo, s5
	s_mov_b32 s5, exec_lo
	v_cmpx_gt_u32_e64 s4, v4
	s_cbranch_execz .LBB460_66
.LBB460_77:
	v_add_co_u32 v0, vcc_lo, 0x2000, v10
	v_add_co_ci_u32_e64 v1, null, 0, v11, vcc_lo
	v_add_co_u32 v2, vcc_lo, 0x2000, v8
	v_add_co_ci_u32_e64 v3, null, 0, v9, vcc_lo
	s_waitcnt lgkmcnt(3)
	global_store_short v[0:1], v16, off
	global_store_short_d16_hi v[2:3], v16, off
	s_or_b32 exec_lo, exec_lo, s5
	s_mov_b32 s5, exec_lo
	v_cmpx_gt_u32_e64 s4, v5
	s_cbranch_execz .LBB460_67
.LBB460_78:
	v_add_co_u32 v0, vcc_lo, 0x2800, v10
	v_add_co_ci_u32_e64 v1, null, 0, v11, vcc_lo
	v_add_co_u32 v2, vcc_lo, 0x2800, v8
	v_add_co_ci_u32_e64 v3, null, 0, v9, vcc_lo
	s_waitcnt lgkmcnt(2)
	global_store_short v[0:1], v15, off
	global_store_short_d16_hi v[2:3], v15, off
	s_or_b32 exec_lo, exec_lo, s5
	s_mov_b32 s5, exec_lo
	v_cmpx_gt_u32_e64 s4, v6
	s_cbranch_execnz .LBB460_68
	s_branch .LBB460_69
	.section	.rodata,"a",@progbits
	.p2align	6, 0x0
	.amdhsa_kernel _ZN7rocprim17ROCPRIM_400000_NS6detail17trampoline_kernelINS0_14default_configENS1_21merge_config_selectorINS0_5tupleIJssEEENS0_10empty_typeEEEZNS1_10merge_implIS3_NS0_12zip_iteratorINS5_IJN6thrust23THRUST_200600_302600_NS6detail15normal_iteratorINSC_10device_ptrIKsEEEESI_EEEEESK_NSA_INS5_IJNSE_INSF_IsEEEESM_EEEEEPS7_SP_SP_NSC_11hip_rocprim7__merge17predicate_wrapperIssNSC_7greaterIsEEEEEE10hipError_tPvRmT0_T1_T2_T3_T4_T5_mmT6_P12ihipStream_tbEUlT_E0_NS1_11comp_targetILNS1_3genE8ELNS1_11target_archE1030ELNS1_3gpuE2ELNS1_3repE0EEENS1_30default_config_static_selectorELNS0_4arch9wavefront6targetE0EEEvS10_
		.amdhsa_group_segment_fixed_size 33792
		.amdhsa_private_segment_fixed_size 0
		.amdhsa_kernarg_size 112
		.amdhsa_user_sgpr_count 6
		.amdhsa_user_sgpr_private_segment_buffer 1
		.amdhsa_user_sgpr_dispatch_ptr 0
		.amdhsa_user_sgpr_queue_ptr 0
		.amdhsa_user_sgpr_kernarg_segment_ptr 1
		.amdhsa_user_sgpr_dispatch_id 0
		.amdhsa_user_sgpr_flat_scratch_init 0
		.amdhsa_user_sgpr_private_segment_size 0
		.amdhsa_wavefront_size32 1
		.amdhsa_uses_dynamic_stack 0
		.amdhsa_system_sgpr_private_segment_wavefront_offset 0
		.amdhsa_system_sgpr_workgroup_id_x 1
		.amdhsa_system_sgpr_workgroup_id_y 0
		.amdhsa_system_sgpr_workgroup_id_z 0
		.amdhsa_system_sgpr_workgroup_info 0
		.amdhsa_system_vgpr_workitem_id 0
		.amdhsa_next_free_vgpr 37
		.amdhsa_next_free_sgpr 26
		.amdhsa_reserve_vcc 1
		.amdhsa_reserve_flat_scratch 0
		.amdhsa_float_round_mode_32 0
		.amdhsa_float_round_mode_16_64 0
		.amdhsa_float_denorm_mode_32 3
		.amdhsa_float_denorm_mode_16_64 3
		.amdhsa_dx10_clamp 1
		.amdhsa_ieee_mode 1
		.amdhsa_fp16_overflow 0
		.amdhsa_workgroup_processor_mode 1
		.amdhsa_memory_ordered 1
		.amdhsa_forward_progress 1
		.amdhsa_shared_vgpr_count 0
		.amdhsa_exception_fp_ieee_invalid_op 0
		.amdhsa_exception_fp_denorm_src 0
		.amdhsa_exception_fp_ieee_div_zero 0
		.amdhsa_exception_fp_ieee_overflow 0
		.amdhsa_exception_fp_ieee_underflow 0
		.amdhsa_exception_fp_ieee_inexact 0
		.amdhsa_exception_int_div_zero 0
	.end_amdhsa_kernel
	.section	.text._ZN7rocprim17ROCPRIM_400000_NS6detail17trampoline_kernelINS0_14default_configENS1_21merge_config_selectorINS0_5tupleIJssEEENS0_10empty_typeEEEZNS1_10merge_implIS3_NS0_12zip_iteratorINS5_IJN6thrust23THRUST_200600_302600_NS6detail15normal_iteratorINSC_10device_ptrIKsEEEESI_EEEEESK_NSA_INS5_IJNSE_INSF_IsEEEESM_EEEEEPS7_SP_SP_NSC_11hip_rocprim7__merge17predicate_wrapperIssNSC_7greaterIsEEEEEE10hipError_tPvRmT0_T1_T2_T3_T4_T5_mmT6_P12ihipStream_tbEUlT_E0_NS1_11comp_targetILNS1_3genE8ELNS1_11target_archE1030ELNS1_3gpuE2ELNS1_3repE0EEENS1_30default_config_static_selectorELNS0_4arch9wavefront6targetE0EEEvS10_,"axG",@progbits,_ZN7rocprim17ROCPRIM_400000_NS6detail17trampoline_kernelINS0_14default_configENS1_21merge_config_selectorINS0_5tupleIJssEEENS0_10empty_typeEEEZNS1_10merge_implIS3_NS0_12zip_iteratorINS5_IJN6thrust23THRUST_200600_302600_NS6detail15normal_iteratorINSC_10device_ptrIKsEEEESI_EEEEESK_NSA_INS5_IJNSE_INSF_IsEEEESM_EEEEEPS7_SP_SP_NSC_11hip_rocprim7__merge17predicate_wrapperIssNSC_7greaterIsEEEEEE10hipError_tPvRmT0_T1_T2_T3_T4_T5_mmT6_P12ihipStream_tbEUlT_E0_NS1_11comp_targetILNS1_3genE8ELNS1_11target_archE1030ELNS1_3gpuE2ELNS1_3repE0EEENS1_30default_config_static_selectorELNS0_4arch9wavefront6targetE0EEEvS10_,comdat
.Lfunc_end460:
	.size	_ZN7rocprim17ROCPRIM_400000_NS6detail17trampoline_kernelINS0_14default_configENS1_21merge_config_selectorINS0_5tupleIJssEEENS0_10empty_typeEEEZNS1_10merge_implIS3_NS0_12zip_iteratorINS5_IJN6thrust23THRUST_200600_302600_NS6detail15normal_iteratorINSC_10device_ptrIKsEEEESI_EEEEESK_NSA_INS5_IJNSE_INSF_IsEEEESM_EEEEEPS7_SP_SP_NSC_11hip_rocprim7__merge17predicate_wrapperIssNSC_7greaterIsEEEEEE10hipError_tPvRmT0_T1_T2_T3_T4_T5_mmT6_P12ihipStream_tbEUlT_E0_NS1_11comp_targetILNS1_3genE8ELNS1_11target_archE1030ELNS1_3gpuE2ELNS1_3repE0EEENS1_30default_config_static_selectorELNS0_4arch9wavefront6targetE0EEEvS10_, .Lfunc_end460-_ZN7rocprim17ROCPRIM_400000_NS6detail17trampoline_kernelINS0_14default_configENS1_21merge_config_selectorINS0_5tupleIJssEEENS0_10empty_typeEEEZNS1_10merge_implIS3_NS0_12zip_iteratorINS5_IJN6thrust23THRUST_200600_302600_NS6detail15normal_iteratorINSC_10device_ptrIKsEEEESI_EEEEESK_NSA_INS5_IJNSE_INSF_IsEEEESM_EEEEEPS7_SP_SP_NSC_11hip_rocprim7__merge17predicate_wrapperIssNSC_7greaterIsEEEEEE10hipError_tPvRmT0_T1_T2_T3_T4_T5_mmT6_P12ihipStream_tbEUlT_E0_NS1_11comp_targetILNS1_3genE8ELNS1_11target_archE1030ELNS1_3gpuE2ELNS1_3repE0EEENS1_30default_config_static_selectorELNS0_4arch9wavefront6targetE0EEEvS10_
                                        ; -- End function
	.set _ZN7rocprim17ROCPRIM_400000_NS6detail17trampoline_kernelINS0_14default_configENS1_21merge_config_selectorINS0_5tupleIJssEEENS0_10empty_typeEEEZNS1_10merge_implIS3_NS0_12zip_iteratorINS5_IJN6thrust23THRUST_200600_302600_NS6detail15normal_iteratorINSC_10device_ptrIKsEEEESI_EEEEESK_NSA_INS5_IJNSE_INSF_IsEEEESM_EEEEEPS7_SP_SP_NSC_11hip_rocprim7__merge17predicate_wrapperIssNSC_7greaterIsEEEEEE10hipError_tPvRmT0_T1_T2_T3_T4_T5_mmT6_P12ihipStream_tbEUlT_E0_NS1_11comp_targetILNS1_3genE8ELNS1_11target_archE1030ELNS1_3gpuE2ELNS1_3repE0EEENS1_30default_config_static_selectorELNS0_4arch9wavefront6targetE0EEEvS10_.num_vgpr, 37
	.set _ZN7rocprim17ROCPRIM_400000_NS6detail17trampoline_kernelINS0_14default_configENS1_21merge_config_selectorINS0_5tupleIJssEEENS0_10empty_typeEEEZNS1_10merge_implIS3_NS0_12zip_iteratorINS5_IJN6thrust23THRUST_200600_302600_NS6detail15normal_iteratorINSC_10device_ptrIKsEEEESI_EEEEESK_NSA_INS5_IJNSE_INSF_IsEEEESM_EEEEEPS7_SP_SP_NSC_11hip_rocprim7__merge17predicate_wrapperIssNSC_7greaterIsEEEEEE10hipError_tPvRmT0_T1_T2_T3_T4_T5_mmT6_P12ihipStream_tbEUlT_E0_NS1_11comp_targetILNS1_3genE8ELNS1_11target_archE1030ELNS1_3gpuE2ELNS1_3repE0EEENS1_30default_config_static_selectorELNS0_4arch9wavefront6targetE0EEEvS10_.num_agpr, 0
	.set _ZN7rocprim17ROCPRIM_400000_NS6detail17trampoline_kernelINS0_14default_configENS1_21merge_config_selectorINS0_5tupleIJssEEENS0_10empty_typeEEEZNS1_10merge_implIS3_NS0_12zip_iteratorINS5_IJN6thrust23THRUST_200600_302600_NS6detail15normal_iteratorINSC_10device_ptrIKsEEEESI_EEEEESK_NSA_INS5_IJNSE_INSF_IsEEEESM_EEEEEPS7_SP_SP_NSC_11hip_rocprim7__merge17predicate_wrapperIssNSC_7greaterIsEEEEEE10hipError_tPvRmT0_T1_T2_T3_T4_T5_mmT6_P12ihipStream_tbEUlT_E0_NS1_11comp_targetILNS1_3genE8ELNS1_11target_archE1030ELNS1_3gpuE2ELNS1_3repE0EEENS1_30default_config_static_selectorELNS0_4arch9wavefront6targetE0EEEvS10_.numbered_sgpr, 26
	.set _ZN7rocprim17ROCPRIM_400000_NS6detail17trampoline_kernelINS0_14default_configENS1_21merge_config_selectorINS0_5tupleIJssEEENS0_10empty_typeEEEZNS1_10merge_implIS3_NS0_12zip_iteratorINS5_IJN6thrust23THRUST_200600_302600_NS6detail15normal_iteratorINSC_10device_ptrIKsEEEESI_EEEEESK_NSA_INS5_IJNSE_INSF_IsEEEESM_EEEEEPS7_SP_SP_NSC_11hip_rocprim7__merge17predicate_wrapperIssNSC_7greaterIsEEEEEE10hipError_tPvRmT0_T1_T2_T3_T4_T5_mmT6_P12ihipStream_tbEUlT_E0_NS1_11comp_targetILNS1_3genE8ELNS1_11target_archE1030ELNS1_3gpuE2ELNS1_3repE0EEENS1_30default_config_static_selectorELNS0_4arch9wavefront6targetE0EEEvS10_.num_named_barrier, 0
	.set _ZN7rocprim17ROCPRIM_400000_NS6detail17trampoline_kernelINS0_14default_configENS1_21merge_config_selectorINS0_5tupleIJssEEENS0_10empty_typeEEEZNS1_10merge_implIS3_NS0_12zip_iteratorINS5_IJN6thrust23THRUST_200600_302600_NS6detail15normal_iteratorINSC_10device_ptrIKsEEEESI_EEEEESK_NSA_INS5_IJNSE_INSF_IsEEEESM_EEEEEPS7_SP_SP_NSC_11hip_rocprim7__merge17predicate_wrapperIssNSC_7greaterIsEEEEEE10hipError_tPvRmT0_T1_T2_T3_T4_T5_mmT6_P12ihipStream_tbEUlT_E0_NS1_11comp_targetILNS1_3genE8ELNS1_11target_archE1030ELNS1_3gpuE2ELNS1_3repE0EEENS1_30default_config_static_selectorELNS0_4arch9wavefront6targetE0EEEvS10_.private_seg_size, 0
	.set _ZN7rocprim17ROCPRIM_400000_NS6detail17trampoline_kernelINS0_14default_configENS1_21merge_config_selectorINS0_5tupleIJssEEENS0_10empty_typeEEEZNS1_10merge_implIS3_NS0_12zip_iteratorINS5_IJN6thrust23THRUST_200600_302600_NS6detail15normal_iteratorINSC_10device_ptrIKsEEEESI_EEEEESK_NSA_INS5_IJNSE_INSF_IsEEEESM_EEEEEPS7_SP_SP_NSC_11hip_rocprim7__merge17predicate_wrapperIssNSC_7greaterIsEEEEEE10hipError_tPvRmT0_T1_T2_T3_T4_T5_mmT6_P12ihipStream_tbEUlT_E0_NS1_11comp_targetILNS1_3genE8ELNS1_11target_archE1030ELNS1_3gpuE2ELNS1_3repE0EEENS1_30default_config_static_selectorELNS0_4arch9wavefront6targetE0EEEvS10_.uses_vcc, 1
	.set _ZN7rocprim17ROCPRIM_400000_NS6detail17trampoline_kernelINS0_14default_configENS1_21merge_config_selectorINS0_5tupleIJssEEENS0_10empty_typeEEEZNS1_10merge_implIS3_NS0_12zip_iteratorINS5_IJN6thrust23THRUST_200600_302600_NS6detail15normal_iteratorINSC_10device_ptrIKsEEEESI_EEEEESK_NSA_INS5_IJNSE_INSF_IsEEEESM_EEEEEPS7_SP_SP_NSC_11hip_rocprim7__merge17predicate_wrapperIssNSC_7greaterIsEEEEEE10hipError_tPvRmT0_T1_T2_T3_T4_T5_mmT6_P12ihipStream_tbEUlT_E0_NS1_11comp_targetILNS1_3genE8ELNS1_11target_archE1030ELNS1_3gpuE2ELNS1_3repE0EEENS1_30default_config_static_selectorELNS0_4arch9wavefront6targetE0EEEvS10_.uses_flat_scratch, 0
	.set _ZN7rocprim17ROCPRIM_400000_NS6detail17trampoline_kernelINS0_14default_configENS1_21merge_config_selectorINS0_5tupleIJssEEENS0_10empty_typeEEEZNS1_10merge_implIS3_NS0_12zip_iteratorINS5_IJN6thrust23THRUST_200600_302600_NS6detail15normal_iteratorINSC_10device_ptrIKsEEEESI_EEEEESK_NSA_INS5_IJNSE_INSF_IsEEEESM_EEEEEPS7_SP_SP_NSC_11hip_rocprim7__merge17predicate_wrapperIssNSC_7greaterIsEEEEEE10hipError_tPvRmT0_T1_T2_T3_T4_T5_mmT6_P12ihipStream_tbEUlT_E0_NS1_11comp_targetILNS1_3genE8ELNS1_11target_archE1030ELNS1_3gpuE2ELNS1_3repE0EEENS1_30default_config_static_selectorELNS0_4arch9wavefront6targetE0EEEvS10_.has_dyn_sized_stack, 0
	.set _ZN7rocprim17ROCPRIM_400000_NS6detail17trampoline_kernelINS0_14default_configENS1_21merge_config_selectorINS0_5tupleIJssEEENS0_10empty_typeEEEZNS1_10merge_implIS3_NS0_12zip_iteratorINS5_IJN6thrust23THRUST_200600_302600_NS6detail15normal_iteratorINSC_10device_ptrIKsEEEESI_EEEEESK_NSA_INS5_IJNSE_INSF_IsEEEESM_EEEEEPS7_SP_SP_NSC_11hip_rocprim7__merge17predicate_wrapperIssNSC_7greaterIsEEEEEE10hipError_tPvRmT0_T1_T2_T3_T4_T5_mmT6_P12ihipStream_tbEUlT_E0_NS1_11comp_targetILNS1_3genE8ELNS1_11target_archE1030ELNS1_3gpuE2ELNS1_3repE0EEENS1_30default_config_static_selectorELNS0_4arch9wavefront6targetE0EEEvS10_.has_recursion, 0
	.set _ZN7rocprim17ROCPRIM_400000_NS6detail17trampoline_kernelINS0_14default_configENS1_21merge_config_selectorINS0_5tupleIJssEEENS0_10empty_typeEEEZNS1_10merge_implIS3_NS0_12zip_iteratorINS5_IJN6thrust23THRUST_200600_302600_NS6detail15normal_iteratorINSC_10device_ptrIKsEEEESI_EEEEESK_NSA_INS5_IJNSE_INSF_IsEEEESM_EEEEEPS7_SP_SP_NSC_11hip_rocprim7__merge17predicate_wrapperIssNSC_7greaterIsEEEEEE10hipError_tPvRmT0_T1_T2_T3_T4_T5_mmT6_P12ihipStream_tbEUlT_E0_NS1_11comp_targetILNS1_3genE8ELNS1_11target_archE1030ELNS1_3gpuE2ELNS1_3repE0EEENS1_30default_config_static_selectorELNS0_4arch9wavefront6targetE0EEEvS10_.has_indirect_call, 0
	.section	.AMDGPU.csdata,"",@progbits
; Kernel info:
; codeLenInByte = 4348
; TotalNumSgprs: 28
; NumVgprs: 37
; ScratchSize: 0
; MemoryBound: 0
; FloatMode: 240
; IeeeMode: 1
; LDSByteSize: 33792 bytes/workgroup (compile time only)
; SGPRBlocks: 0
; VGPRBlocks: 4
; NumSGPRsForWavesPerEU: 28
; NumVGPRsForWavesPerEU: 37
; Occupancy: 16
; WaveLimiterHint : 1
; COMPUTE_PGM_RSRC2:SCRATCH_EN: 0
; COMPUTE_PGM_RSRC2:USER_SGPR: 6
; COMPUTE_PGM_RSRC2:TRAP_HANDLER: 0
; COMPUTE_PGM_RSRC2:TGID_X_EN: 1
; COMPUTE_PGM_RSRC2:TGID_Y_EN: 0
; COMPUTE_PGM_RSRC2:TGID_Z_EN: 0
; COMPUTE_PGM_RSRC2:TIDIG_COMP_CNT: 0
	.section	.text._ZN7rocprim17ROCPRIM_400000_NS6detail17trampoline_kernelINS0_14default_configENS1_21merge_config_selectorINS0_5tupleIJyyEEENS0_10empty_typeEEEZNS1_10merge_implIS3_NS0_12zip_iteratorINS5_IJN6thrust23THRUST_200600_302600_NS6detail15normal_iteratorINSC_10device_ptrIKyEEEESI_EEEEESK_NSA_INS5_IJNSE_INSF_IyEEEESM_EEEEEPS7_SP_SP_NSC_11hip_rocprim7__merge17predicate_wrapperIyyNSC_4lessImEEEEEE10hipError_tPvRmT0_T1_T2_T3_T4_T5_mmT6_P12ihipStream_tbEUlT_E_NS1_11comp_targetILNS1_3genE0ELNS1_11target_archE4294967295ELNS1_3gpuE0ELNS1_3repE0EEENS1_30default_config_static_selectorELNS0_4arch9wavefront6targetE0EEEvS10_,"axG",@progbits,_ZN7rocprim17ROCPRIM_400000_NS6detail17trampoline_kernelINS0_14default_configENS1_21merge_config_selectorINS0_5tupleIJyyEEENS0_10empty_typeEEEZNS1_10merge_implIS3_NS0_12zip_iteratorINS5_IJN6thrust23THRUST_200600_302600_NS6detail15normal_iteratorINSC_10device_ptrIKyEEEESI_EEEEESK_NSA_INS5_IJNSE_INSF_IyEEEESM_EEEEEPS7_SP_SP_NSC_11hip_rocprim7__merge17predicate_wrapperIyyNSC_4lessImEEEEEE10hipError_tPvRmT0_T1_T2_T3_T4_T5_mmT6_P12ihipStream_tbEUlT_E_NS1_11comp_targetILNS1_3genE0ELNS1_11target_archE4294967295ELNS1_3gpuE0ELNS1_3repE0EEENS1_30default_config_static_selectorELNS0_4arch9wavefront6targetE0EEEvS10_,comdat
	.protected	_ZN7rocprim17ROCPRIM_400000_NS6detail17trampoline_kernelINS0_14default_configENS1_21merge_config_selectorINS0_5tupleIJyyEEENS0_10empty_typeEEEZNS1_10merge_implIS3_NS0_12zip_iteratorINS5_IJN6thrust23THRUST_200600_302600_NS6detail15normal_iteratorINSC_10device_ptrIKyEEEESI_EEEEESK_NSA_INS5_IJNSE_INSF_IyEEEESM_EEEEEPS7_SP_SP_NSC_11hip_rocprim7__merge17predicate_wrapperIyyNSC_4lessImEEEEEE10hipError_tPvRmT0_T1_T2_T3_T4_T5_mmT6_P12ihipStream_tbEUlT_E_NS1_11comp_targetILNS1_3genE0ELNS1_11target_archE4294967295ELNS1_3gpuE0ELNS1_3repE0EEENS1_30default_config_static_selectorELNS0_4arch9wavefront6targetE0EEEvS10_ ; -- Begin function _ZN7rocprim17ROCPRIM_400000_NS6detail17trampoline_kernelINS0_14default_configENS1_21merge_config_selectorINS0_5tupleIJyyEEENS0_10empty_typeEEEZNS1_10merge_implIS3_NS0_12zip_iteratorINS5_IJN6thrust23THRUST_200600_302600_NS6detail15normal_iteratorINSC_10device_ptrIKyEEEESI_EEEEESK_NSA_INS5_IJNSE_INSF_IyEEEESM_EEEEEPS7_SP_SP_NSC_11hip_rocprim7__merge17predicate_wrapperIyyNSC_4lessImEEEEEE10hipError_tPvRmT0_T1_T2_T3_T4_T5_mmT6_P12ihipStream_tbEUlT_E_NS1_11comp_targetILNS1_3genE0ELNS1_11target_archE4294967295ELNS1_3gpuE0ELNS1_3repE0EEENS1_30default_config_static_selectorELNS0_4arch9wavefront6targetE0EEEvS10_
	.globl	_ZN7rocprim17ROCPRIM_400000_NS6detail17trampoline_kernelINS0_14default_configENS1_21merge_config_selectorINS0_5tupleIJyyEEENS0_10empty_typeEEEZNS1_10merge_implIS3_NS0_12zip_iteratorINS5_IJN6thrust23THRUST_200600_302600_NS6detail15normal_iteratorINSC_10device_ptrIKyEEEESI_EEEEESK_NSA_INS5_IJNSE_INSF_IyEEEESM_EEEEEPS7_SP_SP_NSC_11hip_rocprim7__merge17predicate_wrapperIyyNSC_4lessImEEEEEE10hipError_tPvRmT0_T1_T2_T3_T4_T5_mmT6_P12ihipStream_tbEUlT_E_NS1_11comp_targetILNS1_3genE0ELNS1_11target_archE4294967295ELNS1_3gpuE0ELNS1_3repE0EEENS1_30default_config_static_selectorELNS0_4arch9wavefront6targetE0EEEvS10_
	.p2align	8
	.type	_ZN7rocprim17ROCPRIM_400000_NS6detail17trampoline_kernelINS0_14default_configENS1_21merge_config_selectorINS0_5tupleIJyyEEENS0_10empty_typeEEEZNS1_10merge_implIS3_NS0_12zip_iteratorINS5_IJN6thrust23THRUST_200600_302600_NS6detail15normal_iteratorINSC_10device_ptrIKyEEEESI_EEEEESK_NSA_INS5_IJNSE_INSF_IyEEEESM_EEEEEPS7_SP_SP_NSC_11hip_rocprim7__merge17predicate_wrapperIyyNSC_4lessImEEEEEE10hipError_tPvRmT0_T1_T2_T3_T4_T5_mmT6_P12ihipStream_tbEUlT_E_NS1_11comp_targetILNS1_3genE0ELNS1_11target_archE4294967295ELNS1_3gpuE0ELNS1_3repE0EEENS1_30default_config_static_selectorELNS0_4arch9wavefront6targetE0EEEvS10_,@function
_ZN7rocprim17ROCPRIM_400000_NS6detail17trampoline_kernelINS0_14default_configENS1_21merge_config_selectorINS0_5tupleIJyyEEENS0_10empty_typeEEEZNS1_10merge_implIS3_NS0_12zip_iteratorINS5_IJN6thrust23THRUST_200600_302600_NS6detail15normal_iteratorINSC_10device_ptrIKyEEEESI_EEEEESK_NSA_INS5_IJNSE_INSF_IyEEEESM_EEEEEPS7_SP_SP_NSC_11hip_rocprim7__merge17predicate_wrapperIyyNSC_4lessImEEEEEE10hipError_tPvRmT0_T1_T2_T3_T4_T5_mmT6_P12ihipStream_tbEUlT_E_NS1_11comp_targetILNS1_3genE0ELNS1_11target_archE4294967295ELNS1_3gpuE0ELNS1_3repE0EEENS1_30default_config_static_selectorELNS0_4arch9wavefront6targetE0EEEvS10_: ; @_ZN7rocprim17ROCPRIM_400000_NS6detail17trampoline_kernelINS0_14default_configENS1_21merge_config_selectorINS0_5tupleIJyyEEENS0_10empty_typeEEEZNS1_10merge_implIS3_NS0_12zip_iteratorINS5_IJN6thrust23THRUST_200600_302600_NS6detail15normal_iteratorINSC_10device_ptrIKyEEEESI_EEEEESK_NSA_INS5_IJNSE_INSF_IyEEEESM_EEEEEPS7_SP_SP_NSC_11hip_rocprim7__merge17predicate_wrapperIyyNSC_4lessImEEEEEE10hipError_tPvRmT0_T1_T2_T3_T4_T5_mmT6_P12ihipStream_tbEUlT_E_NS1_11comp_targetILNS1_3genE0ELNS1_11target_archE4294967295ELNS1_3gpuE0ELNS1_3repE0EEENS1_30default_config_static_selectorELNS0_4arch9wavefront6targetE0EEEvS10_
; %bb.0:
	.section	.rodata,"a",@progbits
	.p2align	6, 0x0
	.amdhsa_kernel _ZN7rocprim17ROCPRIM_400000_NS6detail17trampoline_kernelINS0_14default_configENS1_21merge_config_selectorINS0_5tupleIJyyEEENS0_10empty_typeEEEZNS1_10merge_implIS3_NS0_12zip_iteratorINS5_IJN6thrust23THRUST_200600_302600_NS6detail15normal_iteratorINSC_10device_ptrIKyEEEESI_EEEEESK_NSA_INS5_IJNSE_INSF_IyEEEESM_EEEEEPS7_SP_SP_NSC_11hip_rocprim7__merge17predicate_wrapperIyyNSC_4lessImEEEEEE10hipError_tPvRmT0_T1_T2_T3_T4_T5_mmT6_P12ihipStream_tbEUlT_E_NS1_11comp_targetILNS1_3genE0ELNS1_11target_archE4294967295ELNS1_3gpuE0ELNS1_3repE0EEENS1_30default_config_static_selectorELNS0_4arch9wavefront6targetE0EEEvS10_
		.amdhsa_group_segment_fixed_size 0
		.amdhsa_private_segment_fixed_size 0
		.amdhsa_kernarg_size 64
		.amdhsa_user_sgpr_count 6
		.amdhsa_user_sgpr_private_segment_buffer 1
		.amdhsa_user_sgpr_dispatch_ptr 0
		.amdhsa_user_sgpr_queue_ptr 0
		.amdhsa_user_sgpr_kernarg_segment_ptr 1
		.amdhsa_user_sgpr_dispatch_id 0
		.amdhsa_user_sgpr_flat_scratch_init 0
		.amdhsa_user_sgpr_private_segment_size 0
		.amdhsa_wavefront_size32 1
		.amdhsa_uses_dynamic_stack 0
		.amdhsa_system_sgpr_private_segment_wavefront_offset 0
		.amdhsa_system_sgpr_workgroup_id_x 1
		.amdhsa_system_sgpr_workgroup_id_y 0
		.amdhsa_system_sgpr_workgroup_id_z 0
		.amdhsa_system_sgpr_workgroup_info 0
		.amdhsa_system_vgpr_workitem_id 0
		.amdhsa_next_free_vgpr 1
		.amdhsa_next_free_sgpr 1
		.amdhsa_reserve_vcc 0
		.amdhsa_reserve_flat_scratch 0
		.amdhsa_float_round_mode_32 0
		.amdhsa_float_round_mode_16_64 0
		.amdhsa_float_denorm_mode_32 3
		.amdhsa_float_denorm_mode_16_64 3
		.amdhsa_dx10_clamp 1
		.amdhsa_ieee_mode 1
		.amdhsa_fp16_overflow 0
		.amdhsa_workgroup_processor_mode 1
		.amdhsa_memory_ordered 1
		.amdhsa_forward_progress 1
		.amdhsa_shared_vgpr_count 0
		.amdhsa_exception_fp_ieee_invalid_op 0
		.amdhsa_exception_fp_denorm_src 0
		.amdhsa_exception_fp_ieee_div_zero 0
		.amdhsa_exception_fp_ieee_overflow 0
		.amdhsa_exception_fp_ieee_underflow 0
		.amdhsa_exception_fp_ieee_inexact 0
		.amdhsa_exception_int_div_zero 0
	.end_amdhsa_kernel
	.section	.text._ZN7rocprim17ROCPRIM_400000_NS6detail17trampoline_kernelINS0_14default_configENS1_21merge_config_selectorINS0_5tupleIJyyEEENS0_10empty_typeEEEZNS1_10merge_implIS3_NS0_12zip_iteratorINS5_IJN6thrust23THRUST_200600_302600_NS6detail15normal_iteratorINSC_10device_ptrIKyEEEESI_EEEEESK_NSA_INS5_IJNSE_INSF_IyEEEESM_EEEEEPS7_SP_SP_NSC_11hip_rocprim7__merge17predicate_wrapperIyyNSC_4lessImEEEEEE10hipError_tPvRmT0_T1_T2_T3_T4_T5_mmT6_P12ihipStream_tbEUlT_E_NS1_11comp_targetILNS1_3genE0ELNS1_11target_archE4294967295ELNS1_3gpuE0ELNS1_3repE0EEENS1_30default_config_static_selectorELNS0_4arch9wavefront6targetE0EEEvS10_,"axG",@progbits,_ZN7rocprim17ROCPRIM_400000_NS6detail17trampoline_kernelINS0_14default_configENS1_21merge_config_selectorINS0_5tupleIJyyEEENS0_10empty_typeEEEZNS1_10merge_implIS3_NS0_12zip_iteratorINS5_IJN6thrust23THRUST_200600_302600_NS6detail15normal_iteratorINSC_10device_ptrIKyEEEESI_EEEEESK_NSA_INS5_IJNSE_INSF_IyEEEESM_EEEEEPS7_SP_SP_NSC_11hip_rocprim7__merge17predicate_wrapperIyyNSC_4lessImEEEEEE10hipError_tPvRmT0_T1_T2_T3_T4_T5_mmT6_P12ihipStream_tbEUlT_E_NS1_11comp_targetILNS1_3genE0ELNS1_11target_archE4294967295ELNS1_3gpuE0ELNS1_3repE0EEENS1_30default_config_static_selectorELNS0_4arch9wavefront6targetE0EEEvS10_,comdat
.Lfunc_end461:
	.size	_ZN7rocprim17ROCPRIM_400000_NS6detail17trampoline_kernelINS0_14default_configENS1_21merge_config_selectorINS0_5tupleIJyyEEENS0_10empty_typeEEEZNS1_10merge_implIS3_NS0_12zip_iteratorINS5_IJN6thrust23THRUST_200600_302600_NS6detail15normal_iteratorINSC_10device_ptrIKyEEEESI_EEEEESK_NSA_INS5_IJNSE_INSF_IyEEEESM_EEEEEPS7_SP_SP_NSC_11hip_rocprim7__merge17predicate_wrapperIyyNSC_4lessImEEEEEE10hipError_tPvRmT0_T1_T2_T3_T4_T5_mmT6_P12ihipStream_tbEUlT_E_NS1_11comp_targetILNS1_3genE0ELNS1_11target_archE4294967295ELNS1_3gpuE0ELNS1_3repE0EEENS1_30default_config_static_selectorELNS0_4arch9wavefront6targetE0EEEvS10_, .Lfunc_end461-_ZN7rocprim17ROCPRIM_400000_NS6detail17trampoline_kernelINS0_14default_configENS1_21merge_config_selectorINS0_5tupleIJyyEEENS0_10empty_typeEEEZNS1_10merge_implIS3_NS0_12zip_iteratorINS5_IJN6thrust23THRUST_200600_302600_NS6detail15normal_iteratorINSC_10device_ptrIKyEEEESI_EEEEESK_NSA_INS5_IJNSE_INSF_IyEEEESM_EEEEEPS7_SP_SP_NSC_11hip_rocprim7__merge17predicate_wrapperIyyNSC_4lessImEEEEEE10hipError_tPvRmT0_T1_T2_T3_T4_T5_mmT6_P12ihipStream_tbEUlT_E_NS1_11comp_targetILNS1_3genE0ELNS1_11target_archE4294967295ELNS1_3gpuE0ELNS1_3repE0EEENS1_30default_config_static_selectorELNS0_4arch9wavefront6targetE0EEEvS10_
                                        ; -- End function
	.set _ZN7rocprim17ROCPRIM_400000_NS6detail17trampoline_kernelINS0_14default_configENS1_21merge_config_selectorINS0_5tupleIJyyEEENS0_10empty_typeEEEZNS1_10merge_implIS3_NS0_12zip_iteratorINS5_IJN6thrust23THRUST_200600_302600_NS6detail15normal_iteratorINSC_10device_ptrIKyEEEESI_EEEEESK_NSA_INS5_IJNSE_INSF_IyEEEESM_EEEEEPS7_SP_SP_NSC_11hip_rocprim7__merge17predicate_wrapperIyyNSC_4lessImEEEEEE10hipError_tPvRmT0_T1_T2_T3_T4_T5_mmT6_P12ihipStream_tbEUlT_E_NS1_11comp_targetILNS1_3genE0ELNS1_11target_archE4294967295ELNS1_3gpuE0ELNS1_3repE0EEENS1_30default_config_static_selectorELNS0_4arch9wavefront6targetE0EEEvS10_.num_vgpr, 0
	.set _ZN7rocprim17ROCPRIM_400000_NS6detail17trampoline_kernelINS0_14default_configENS1_21merge_config_selectorINS0_5tupleIJyyEEENS0_10empty_typeEEEZNS1_10merge_implIS3_NS0_12zip_iteratorINS5_IJN6thrust23THRUST_200600_302600_NS6detail15normal_iteratorINSC_10device_ptrIKyEEEESI_EEEEESK_NSA_INS5_IJNSE_INSF_IyEEEESM_EEEEEPS7_SP_SP_NSC_11hip_rocprim7__merge17predicate_wrapperIyyNSC_4lessImEEEEEE10hipError_tPvRmT0_T1_T2_T3_T4_T5_mmT6_P12ihipStream_tbEUlT_E_NS1_11comp_targetILNS1_3genE0ELNS1_11target_archE4294967295ELNS1_3gpuE0ELNS1_3repE0EEENS1_30default_config_static_selectorELNS0_4arch9wavefront6targetE0EEEvS10_.num_agpr, 0
	.set _ZN7rocprim17ROCPRIM_400000_NS6detail17trampoline_kernelINS0_14default_configENS1_21merge_config_selectorINS0_5tupleIJyyEEENS0_10empty_typeEEEZNS1_10merge_implIS3_NS0_12zip_iteratorINS5_IJN6thrust23THRUST_200600_302600_NS6detail15normal_iteratorINSC_10device_ptrIKyEEEESI_EEEEESK_NSA_INS5_IJNSE_INSF_IyEEEESM_EEEEEPS7_SP_SP_NSC_11hip_rocprim7__merge17predicate_wrapperIyyNSC_4lessImEEEEEE10hipError_tPvRmT0_T1_T2_T3_T4_T5_mmT6_P12ihipStream_tbEUlT_E_NS1_11comp_targetILNS1_3genE0ELNS1_11target_archE4294967295ELNS1_3gpuE0ELNS1_3repE0EEENS1_30default_config_static_selectorELNS0_4arch9wavefront6targetE0EEEvS10_.numbered_sgpr, 0
	.set _ZN7rocprim17ROCPRIM_400000_NS6detail17trampoline_kernelINS0_14default_configENS1_21merge_config_selectorINS0_5tupleIJyyEEENS0_10empty_typeEEEZNS1_10merge_implIS3_NS0_12zip_iteratorINS5_IJN6thrust23THRUST_200600_302600_NS6detail15normal_iteratorINSC_10device_ptrIKyEEEESI_EEEEESK_NSA_INS5_IJNSE_INSF_IyEEEESM_EEEEEPS7_SP_SP_NSC_11hip_rocprim7__merge17predicate_wrapperIyyNSC_4lessImEEEEEE10hipError_tPvRmT0_T1_T2_T3_T4_T5_mmT6_P12ihipStream_tbEUlT_E_NS1_11comp_targetILNS1_3genE0ELNS1_11target_archE4294967295ELNS1_3gpuE0ELNS1_3repE0EEENS1_30default_config_static_selectorELNS0_4arch9wavefront6targetE0EEEvS10_.num_named_barrier, 0
	.set _ZN7rocprim17ROCPRIM_400000_NS6detail17trampoline_kernelINS0_14default_configENS1_21merge_config_selectorINS0_5tupleIJyyEEENS0_10empty_typeEEEZNS1_10merge_implIS3_NS0_12zip_iteratorINS5_IJN6thrust23THRUST_200600_302600_NS6detail15normal_iteratorINSC_10device_ptrIKyEEEESI_EEEEESK_NSA_INS5_IJNSE_INSF_IyEEEESM_EEEEEPS7_SP_SP_NSC_11hip_rocprim7__merge17predicate_wrapperIyyNSC_4lessImEEEEEE10hipError_tPvRmT0_T1_T2_T3_T4_T5_mmT6_P12ihipStream_tbEUlT_E_NS1_11comp_targetILNS1_3genE0ELNS1_11target_archE4294967295ELNS1_3gpuE0ELNS1_3repE0EEENS1_30default_config_static_selectorELNS0_4arch9wavefront6targetE0EEEvS10_.private_seg_size, 0
	.set _ZN7rocprim17ROCPRIM_400000_NS6detail17trampoline_kernelINS0_14default_configENS1_21merge_config_selectorINS0_5tupleIJyyEEENS0_10empty_typeEEEZNS1_10merge_implIS3_NS0_12zip_iteratorINS5_IJN6thrust23THRUST_200600_302600_NS6detail15normal_iteratorINSC_10device_ptrIKyEEEESI_EEEEESK_NSA_INS5_IJNSE_INSF_IyEEEESM_EEEEEPS7_SP_SP_NSC_11hip_rocprim7__merge17predicate_wrapperIyyNSC_4lessImEEEEEE10hipError_tPvRmT0_T1_T2_T3_T4_T5_mmT6_P12ihipStream_tbEUlT_E_NS1_11comp_targetILNS1_3genE0ELNS1_11target_archE4294967295ELNS1_3gpuE0ELNS1_3repE0EEENS1_30default_config_static_selectorELNS0_4arch9wavefront6targetE0EEEvS10_.uses_vcc, 0
	.set _ZN7rocprim17ROCPRIM_400000_NS6detail17trampoline_kernelINS0_14default_configENS1_21merge_config_selectorINS0_5tupleIJyyEEENS0_10empty_typeEEEZNS1_10merge_implIS3_NS0_12zip_iteratorINS5_IJN6thrust23THRUST_200600_302600_NS6detail15normal_iteratorINSC_10device_ptrIKyEEEESI_EEEEESK_NSA_INS5_IJNSE_INSF_IyEEEESM_EEEEEPS7_SP_SP_NSC_11hip_rocprim7__merge17predicate_wrapperIyyNSC_4lessImEEEEEE10hipError_tPvRmT0_T1_T2_T3_T4_T5_mmT6_P12ihipStream_tbEUlT_E_NS1_11comp_targetILNS1_3genE0ELNS1_11target_archE4294967295ELNS1_3gpuE0ELNS1_3repE0EEENS1_30default_config_static_selectorELNS0_4arch9wavefront6targetE0EEEvS10_.uses_flat_scratch, 0
	.set _ZN7rocprim17ROCPRIM_400000_NS6detail17trampoline_kernelINS0_14default_configENS1_21merge_config_selectorINS0_5tupleIJyyEEENS0_10empty_typeEEEZNS1_10merge_implIS3_NS0_12zip_iteratorINS5_IJN6thrust23THRUST_200600_302600_NS6detail15normal_iteratorINSC_10device_ptrIKyEEEESI_EEEEESK_NSA_INS5_IJNSE_INSF_IyEEEESM_EEEEEPS7_SP_SP_NSC_11hip_rocprim7__merge17predicate_wrapperIyyNSC_4lessImEEEEEE10hipError_tPvRmT0_T1_T2_T3_T4_T5_mmT6_P12ihipStream_tbEUlT_E_NS1_11comp_targetILNS1_3genE0ELNS1_11target_archE4294967295ELNS1_3gpuE0ELNS1_3repE0EEENS1_30default_config_static_selectorELNS0_4arch9wavefront6targetE0EEEvS10_.has_dyn_sized_stack, 0
	.set _ZN7rocprim17ROCPRIM_400000_NS6detail17trampoline_kernelINS0_14default_configENS1_21merge_config_selectorINS0_5tupleIJyyEEENS0_10empty_typeEEEZNS1_10merge_implIS3_NS0_12zip_iteratorINS5_IJN6thrust23THRUST_200600_302600_NS6detail15normal_iteratorINSC_10device_ptrIKyEEEESI_EEEEESK_NSA_INS5_IJNSE_INSF_IyEEEESM_EEEEEPS7_SP_SP_NSC_11hip_rocprim7__merge17predicate_wrapperIyyNSC_4lessImEEEEEE10hipError_tPvRmT0_T1_T2_T3_T4_T5_mmT6_P12ihipStream_tbEUlT_E_NS1_11comp_targetILNS1_3genE0ELNS1_11target_archE4294967295ELNS1_3gpuE0ELNS1_3repE0EEENS1_30default_config_static_selectorELNS0_4arch9wavefront6targetE0EEEvS10_.has_recursion, 0
	.set _ZN7rocprim17ROCPRIM_400000_NS6detail17trampoline_kernelINS0_14default_configENS1_21merge_config_selectorINS0_5tupleIJyyEEENS0_10empty_typeEEEZNS1_10merge_implIS3_NS0_12zip_iteratorINS5_IJN6thrust23THRUST_200600_302600_NS6detail15normal_iteratorINSC_10device_ptrIKyEEEESI_EEEEESK_NSA_INS5_IJNSE_INSF_IyEEEESM_EEEEEPS7_SP_SP_NSC_11hip_rocprim7__merge17predicate_wrapperIyyNSC_4lessImEEEEEE10hipError_tPvRmT0_T1_T2_T3_T4_T5_mmT6_P12ihipStream_tbEUlT_E_NS1_11comp_targetILNS1_3genE0ELNS1_11target_archE4294967295ELNS1_3gpuE0ELNS1_3repE0EEENS1_30default_config_static_selectorELNS0_4arch9wavefront6targetE0EEEvS10_.has_indirect_call, 0
	.section	.AMDGPU.csdata,"",@progbits
; Kernel info:
; codeLenInByte = 0
; TotalNumSgprs: 0
; NumVgprs: 0
; ScratchSize: 0
; MemoryBound: 0
; FloatMode: 240
; IeeeMode: 1
; LDSByteSize: 0 bytes/workgroup (compile time only)
; SGPRBlocks: 0
; VGPRBlocks: 0
; NumSGPRsForWavesPerEU: 1
; NumVGPRsForWavesPerEU: 1
; Occupancy: 16
; WaveLimiterHint : 0
; COMPUTE_PGM_RSRC2:SCRATCH_EN: 0
; COMPUTE_PGM_RSRC2:USER_SGPR: 6
; COMPUTE_PGM_RSRC2:TRAP_HANDLER: 0
; COMPUTE_PGM_RSRC2:TGID_X_EN: 1
; COMPUTE_PGM_RSRC2:TGID_Y_EN: 0
; COMPUTE_PGM_RSRC2:TGID_Z_EN: 0
; COMPUTE_PGM_RSRC2:TIDIG_COMP_CNT: 0
	.section	.text._ZN7rocprim17ROCPRIM_400000_NS6detail17trampoline_kernelINS0_14default_configENS1_21merge_config_selectorINS0_5tupleIJyyEEENS0_10empty_typeEEEZNS1_10merge_implIS3_NS0_12zip_iteratorINS5_IJN6thrust23THRUST_200600_302600_NS6detail15normal_iteratorINSC_10device_ptrIKyEEEESI_EEEEESK_NSA_INS5_IJNSE_INSF_IyEEEESM_EEEEEPS7_SP_SP_NSC_11hip_rocprim7__merge17predicate_wrapperIyyNSC_4lessImEEEEEE10hipError_tPvRmT0_T1_T2_T3_T4_T5_mmT6_P12ihipStream_tbEUlT_E_NS1_11comp_targetILNS1_3genE5ELNS1_11target_archE942ELNS1_3gpuE9ELNS1_3repE0EEENS1_30default_config_static_selectorELNS0_4arch9wavefront6targetE0EEEvS10_,"axG",@progbits,_ZN7rocprim17ROCPRIM_400000_NS6detail17trampoline_kernelINS0_14default_configENS1_21merge_config_selectorINS0_5tupleIJyyEEENS0_10empty_typeEEEZNS1_10merge_implIS3_NS0_12zip_iteratorINS5_IJN6thrust23THRUST_200600_302600_NS6detail15normal_iteratorINSC_10device_ptrIKyEEEESI_EEEEESK_NSA_INS5_IJNSE_INSF_IyEEEESM_EEEEEPS7_SP_SP_NSC_11hip_rocprim7__merge17predicate_wrapperIyyNSC_4lessImEEEEEE10hipError_tPvRmT0_T1_T2_T3_T4_T5_mmT6_P12ihipStream_tbEUlT_E_NS1_11comp_targetILNS1_3genE5ELNS1_11target_archE942ELNS1_3gpuE9ELNS1_3repE0EEENS1_30default_config_static_selectorELNS0_4arch9wavefront6targetE0EEEvS10_,comdat
	.protected	_ZN7rocprim17ROCPRIM_400000_NS6detail17trampoline_kernelINS0_14default_configENS1_21merge_config_selectorINS0_5tupleIJyyEEENS0_10empty_typeEEEZNS1_10merge_implIS3_NS0_12zip_iteratorINS5_IJN6thrust23THRUST_200600_302600_NS6detail15normal_iteratorINSC_10device_ptrIKyEEEESI_EEEEESK_NSA_INS5_IJNSE_INSF_IyEEEESM_EEEEEPS7_SP_SP_NSC_11hip_rocprim7__merge17predicate_wrapperIyyNSC_4lessImEEEEEE10hipError_tPvRmT0_T1_T2_T3_T4_T5_mmT6_P12ihipStream_tbEUlT_E_NS1_11comp_targetILNS1_3genE5ELNS1_11target_archE942ELNS1_3gpuE9ELNS1_3repE0EEENS1_30default_config_static_selectorELNS0_4arch9wavefront6targetE0EEEvS10_ ; -- Begin function _ZN7rocprim17ROCPRIM_400000_NS6detail17trampoline_kernelINS0_14default_configENS1_21merge_config_selectorINS0_5tupleIJyyEEENS0_10empty_typeEEEZNS1_10merge_implIS3_NS0_12zip_iteratorINS5_IJN6thrust23THRUST_200600_302600_NS6detail15normal_iteratorINSC_10device_ptrIKyEEEESI_EEEEESK_NSA_INS5_IJNSE_INSF_IyEEEESM_EEEEEPS7_SP_SP_NSC_11hip_rocprim7__merge17predicate_wrapperIyyNSC_4lessImEEEEEE10hipError_tPvRmT0_T1_T2_T3_T4_T5_mmT6_P12ihipStream_tbEUlT_E_NS1_11comp_targetILNS1_3genE5ELNS1_11target_archE942ELNS1_3gpuE9ELNS1_3repE0EEENS1_30default_config_static_selectorELNS0_4arch9wavefront6targetE0EEEvS10_
	.globl	_ZN7rocprim17ROCPRIM_400000_NS6detail17trampoline_kernelINS0_14default_configENS1_21merge_config_selectorINS0_5tupleIJyyEEENS0_10empty_typeEEEZNS1_10merge_implIS3_NS0_12zip_iteratorINS5_IJN6thrust23THRUST_200600_302600_NS6detail15normal_iteratorINSC_10device_ptrIKyEEEESI_EEEEESK_NSA_INS5_IJNSE_INSF_IyEEEESM_EEEEEPS7_SP_SP_NSC_11hip_rocprim7__merge17predicate_wrapperIyyNSC_4lessImEEEEEE10hipError_tPvRmT0_T1_T2_T3_T4_T5_mmT6_P12ihipStream_tbEUlT_E_NS1_11comp_targetILNS1_3genE5ELNS1_11target_archE942ELNS1_3gpuE9ELNS1_3repE0EEENS1_30default_config_static_selectorELNS0_4arch9wavefront6targetE0EEEvS10_
	.p2align	8
	.type	_ZN7rocprim17ROCPRIM_400000_NS6detail17trampoline_kernelINS0_14default_configENS1_21merge_config_selectorINS0_5tupleIJyyEEENS0_10empty_typeEEEZNS1_10merge_implIS3_NS0_12zip_iteratorINS5_IJN6thrust23THRUST_200600_302600_NS6detail15normal_iteratorINSC_10device_ptrIKyEEEESI_EEEEESK_NSA_INS5_IJNSE_INSF_IyEEEESM_EEEEEPS7_SP_SP_NSC_11hip_rocprim7__merge17predicate_wrapperIyyNSC_4lessImEEEEEE10hipError_tPvRmT0_T1_T2_T3_T4_T5_mmT6_P12ihipStream_tbEUlT_E_NS1_11comp_targetILNS1_3genE5ELNS1_11target_archE942ELNS1_3gpuE9ELNS1_3repE0EEENS1_30default_config_static_selectorELNS0_4arch9wavefront6targetE0EEEvS10_,@function
_ZN7rocprim17ROCPRIM_400000_NS6detail17trampoline_kernelINS0_14default_configENS1_21merge_config_selectorINS0_5tupleIJyyEEENS0_10empty_typeEEEZNS1_10merge_implIS3_NS0_12zip_iteratorINS5_IJN6thrust23THRUST_200600_302600_NS6detail15normal_iteratorINSC_10device_ptrIKyEEEESI_EEEEESK_NSA_INS5_IJNSE_INSF_IyEEEESM_EEEEEPS7_SP_SP_NSC_11hip_rocprim7__merge17predicate_wrapperIyyNSC_4lessImEEEEEE10hipError_tPvRmT0_T1_T2_T3_T4_T5_mmT6_P12ihipStream_tbEUlT_E_NS1_11comp_targetILNS1_3genE5ELNS1_11target_archE942ELNS1_3gpuE9ELNS1_3repE0EEENS1_30default_config_static_selectorELNS0_4arch9wavefront6targetE0EEEvS10_: ; @_ZN7rocprim17ROCPRIM_400000_NS6detail17trampoline_kernelINS0_14default_configENS1_21merge_config_selectorINS0_5tupleIJyyEEENS0_10empty_typeEEEZNS1_10merge_implIS3_NS0_12zip_iteratorINS5_IJN6thrust23THRUST_200600_302600_NS6detail15normal_iteratorINSC_10device_ptrIKyEEEESI_EEEEESK_NSA_INS5_IJNSE_INSF_IyEEEESM_EEEEEPS7_SP_SP_NSC_11hip_rocprim7__merge17predicate_wrapperIyyNSC_4lessImEEEEEE10hipError_tPvRmT0_T1_T2_T3_T4_T5_mmT6_P12ihipStream_tbEUlT_E_NS1_11comp_targetILNS1_3genE5ELNS1_11target_archE942ELNS1_3gpuE9ELNS1_3repE0EEENS1_30default_config_static_selectorELNS0_4arch9wavefront6targetE0EEEvS10_
; %bb.0:
	.section	.rodata,"a",@progbits
	.p2align	6, 0x0
	.amdhsa_kernel _ZN7rocprim17ROCPRIM_400000_NS6detail17trampoline_kernelINS0_14default_configENS1_21merge_config_selectorINS0_5tupleIJyyEEENS0_10empty_typeEEEZNS1_10merge_implIS3_NS0_12zip_iteratorINS5_IJN6thrust23THRUST_200600_302600_NS6detail15normal_iteratorINSC_10device_ptrIKyEEEESI_EEEEESK_NSA_INS5_IJNSE_INSF_IyEEEESM_EEEEEPS7_SP_SP_NSC_11hip_rocprim7__merge17predicate_wrapperIyyNSC_4lessImEEEEEE10hipError_tPvRmT0_T1_T2_T3_T4_T5_mmT6_P12ihipStream_tbEUlT_E_NS1_11comp_targetILNS1_3genE5ELNS1_11target_archE942ELNS1_3gpuE9ELNS1_3repE0EEENS1_30default_config_static_selectorELNS0_4arch9wavefront6targetE0EEEvS10_
		.amdhsa_group_segment_fixed_size 0
		.amdhsa_private_segment_fixed_size 0
		.amdhsa_kernarg_size 64
		.amdhsa_user_sgpr_count 6
		.amdhsa_user_sgpr_private_segment_buffer 1
		.amdhsa_user_sgpr_dispatch_ptr 0
		.amdhsa_user_sgpr_queue_ptr 0
		.amdhsa_user_sgpr_kernarg_segment_ptr 1
		.amdhsa_user_sgpr_dispatch_id 0
		.amdhsa_user_sgpr_flat_scratch_init 0
		.amdhsa_user_sgpr_private_segment_size 0
		.amdhsa_wavefront_size32 1
		.amdhsa_uses_dynamic_stack 0
		.amdhsa_system_sgpr_private_segment_wavefront_offset 0
		.amdhsa_system_sgpr_workgroup_id_x 1
		.amdhsa_system_sgpr_workgroup_id_y 0
		.amdhsa_system_sgpr_workgroup_id_z 0
		.amdhsa_system_sgpr_workgroup_info 0
		.amdhsa_system_vgpr_workitem_id 0
		.amdhsa_next_free_vgpr 1
		.amdhsa_next_free_sgpr 1
		.amdhsa_reserve_vcc 0
		.amdhsa_reserve_flat_scratch 0
		.amdhsa_float_round_mode_32 0
		.amdhsa_float_round_mode_16_64 0
		.amdhsa_float_denorm_mode_32 3
		.amdhsa_float_denorm_mode_16_64 3
		.amdhsa_dx10_clamp 1
		.amdhsa_ieee_mode 1
		.amdhsa_fp16_overflow 0
		.amdhsa_workgroup_processor_mode 1
		.amdhsa_memory_ordered 1
		.amdhsa_forward_progress 1
		.amdhsa_shared_vgpr_count 0
		.amdhsa_exception_fp_ieee_invalid_op 0
		.amdhsa_exception_fp_denorm_src 0
		.amdhsa_exception_fp_ieee_div_zero 0
		.amdhsa_exception_fp_ieee_overflow 0
		.amdhsa_exception_fp_ieee_underflow 0
		.amdhsa_exception_fp_ieee_inexact 0
		.amdhsa_exception_int_div_zero 0
	.end_amdhsa_kernel
	.section	.text._ZN7rocprim17ROCPRIM_400000_NS6detail17trampoline_kernelINS0_14default_configENS1_21merge_config_selectorINS0_5tupleIJyyEEENS0_10empty_typeEEEZNS1_10merge_implIS3_NS0_12zip_iteratorINS5_IJN6thrust23THRUST_200600_302600_NS6detail15normal_iteratorINSC_10device_ptrIKyEEEESI_EEEEESK_NSA_INS5_IJNSE_INSF_IyEEEESM_EEEEEPS7_SP_SP_NSC_11hip_rocprim7__merge17predicate_wrapperIyyNSC_4lessImEEEEEE10hipError_tPvRmT0_T1_T2_T3_T4_T5_mmT6_P12ihipStream_tbEUlT_E_NS1_11comp_targetILNS1_3genE5ELNS1_11target_archE942ELNS1_3gpuE9ELNS1_3repE0EEENS1_30default_config_static_selectorELNS0_4arch9wavefront6targetE0EEEvS10_,"axG",@progbits,_ZN7rocprim17ROCPRIM_400000_NS6detail17trampoline_kernelINS0_14default_configENS1_21merge_config_selectorINS0_5tupleIJyyEEENS0_10empty_typeEEEZNS1_10merge_implIS3_NS0_12zip_iteratorINS5_IJN6thrust23THRUST_200600_302600_NS6detail15normal_iteratorINSC_10device_ptrIKyEEEESI_EEEEESK_NSA_INS5_IJNSE_INSF_IyEEEESM_EEEEEPS7_SP_SP_NSC_11hip_rocprim7__merge17predicate_wrapperIyyNSC_4lessImEEEEEE10hipError_tPvRmT0_T1_T2_T3_T4_T5_mmT6_P12ihipStream_tbEUlT_E_NS1_11comp_targetILNS1_3genE5ELNS1_11target_archE942ELNS1_3gpuE9ELNS1_3repE0EEENS1_30default_config_static_selectorELNS0_4arch9wavefront6targetE0EEEvS10_,comdat
.Lfunc_end462:
	.size	_ZN7rocprim17ROCPRIM_400000_NS6detail17trampoline_kernelINS0_14default_configENS1_21merge_config_selectorINS0_5tupleIJyyEEENS0_10empty_typeEEEZNS1_10merge_implIS3_NS0_12zip_iteratorINS5_IJN6thrust23THRUST_200600_302600_NS6detail15normal_iteratorINSC_10device_ptrIKyEEEESI_EEEEESK_NSA_INS5_IJNSE_INSF_IyEEEESM_EEEEEPS7_SP_SP_NSC_11hip_rocprim7__merge17predicate_wrapperIyyNSC_4lessImEEEEEE10hipError_tPvRmT0_T1_T2_T3_T4_T5_mmT6_P12ihipStream_tbEUlT_E_NS1_11comp_targetILNS1_3genE5ELNS1_11target_archE942ELNS1_3gpuE9ELNS1_3repE0EEENS1_30default_config_static_selectorELNS0_4arch9wavefront6targetE0EEEvS10_, .Lfunc_end462-_ZN7rocprim17ROCPRIM_400000_NS6detail17trampoline_kernelINS0_14default_configENS1_21merge_config_selectorINS0_5tupleIJyyEEENS0_10empty_typeEEEZNS1_10merge_implIS3_NS0_12zip_iteratorINS5_IJN6thrust23THRUST_200600_302600_NS6detail15normal_iteratorINSC_10device_ptrIKyEEEESI_EEEEESK_NSA_INS5_IJNSE_INSF_IyEEEESM_EEEEEPS7_SP_SP_NSC_11hip_rocprim7__merge17predicate_wrapperIyyNSC_4lessImEEEEEE10hipError_tPvRmT0_T1_T2_T3_T4_T5_mmT6_P12ihipStream_tbEUlT_E_NS1_11comp_targetILNS1_3genE5ELNS1_11target_archE942ELNS1_3gpuE9ELNS1_3repE0EEENS1_30default_config_static_selectorELNS0_4arch9wavefront6targetE0EEEvS10_
                                        ; -- End function
	.set _ZN7rocprim17ROCPRIM_400000_NS6detail17trampoline_kernelINS0_14default_configENS1_21merge_config_selectorINS0_5tupleIJyyEEENS0_10empty_typeEEEZNS1_10merge_implIS3_NS0_12zip_iteratorINS5_IJN6thrust23THRUST_200600_302600_NS6detail15normal_iteratorINSC_10device_ptrIKyEEEESI_EEEEESK_NSA_INS5_IJNSE_INSF_IyEEEESM_EEEEEPS7_SP_SP_NSC_11hip_rocprim7__merge17predicate_wrapperIyyNSC_4lessImEEEEEE10hipError_tPvRmT0_T1_T2_T3_T4_T5_mmT6_P12ihipStream_tbEUlT_E_NS1_11comp_targetILNS1_3genE5ELNS1_11target_archE942ELNS1_3gpuE9ELNS1_3repE0EEENS1_30default_config_static_selectorELNS0_4arch9wavefront6targetE0EEEvS10_.num_vgpr, 0
	.set _ZN7rocprim17ROCPRIM_400000_NS6detail17trampoline_kernelINS0_14default_configENS1_21merge_config_selectorINS0_5tupleIJyyEEENS0_10empty_typeEEEZNS1_10merge_implIS3_NS0_12zip_iteratorINS5_IJN6thrust23THRUST_200600_302600_NS6detail15normal_iteratorINSC_10device_ptrIKyEEEESI_EEEEESK_NSA_INS5_IJNSE_INSF_IyEEEESM_EEEEEPS7_SP_SP_NSC_11hip_rocprim7__merge17predicate_wrapperIyyNSC_4lessImEEEEEE10hipError_tPvRmT0_T1_T2_T3_T4_T5_mmT6_P12ihipStream_tbEUlT_E_NS1_11comp_targetILNS1_3genE5ELNS1_11target_archE942ELNS1_3gpuE9ELNS1_3repE0EEENS1_30default_config_static_selectorELNS0_4arch9wavefront6targetE0EEEvS10_.num_agpr, 0
	.set _ZN7rocprim17ROCPRIM_400000_NS6detail17trampoline_kernelINS0_14default_configENS1_21merge_config_selectorINS0_5tupleIJyyEEENS0_10empty_typeEEEZNS1_10merge_implIS3_NS0_12zip_iteratorINS5_IJN6thrust23THRUST_200600_302600_NS6detail15normal_iteratorINSC_10device_ptrIKyEEEESI_EEEEESK_NSA_INS5_IJNSE_INSF_IyEEEESM_EEEEEPS7_SP_SP_NSC_11hip_rocprim7__merge17predicate_wrapperIyyNSC_4lessImEEEEEE10hipError_tPvRmT0_T1_T2_T3_T4_T5_mmT6_P12ihipStream_tbEUlT_E_NS1_11comp_targetILNS1_3genE5ELNS1_11target_archE942ELNS1_3gpuE9ELNS1_3repE0EEENS1_30default_config_static_selectorELNS0_4arch9wavefront6targetE0EEEvS10_.numbered_sgpr, 0
	.set _ZN7rocprim17ROCPRIM_400000_NS6detail17trampoline_kernelINS0_14default_configENS1_21merge_config_selectorINS0_5tupleIJyyEEENS0_10empty_typeEEEZNS1_10merge_implIS3_NS0_12zip_iteratorINS5_IJN6thrust23THRUST_200600_302600_NS6detail15normal_iteratorINSC_10device_ptrIKyEEEESI_EEEEESK_NSA_INS5_IJNSE_INSF_IyEEEESM_EEEEEPS7_SP_SP_NSC_11hip_rocprim7__merge17predicate_wrapperIyyNSC_4lessImEEEEEE10hipError_tPvRmT0_T1_T2_T3_T4_T5_mmT6_P12ihipStream_tbEUlT_E_NS1_11comp_targetILNS1_3genE5ELNS1_11target_archE942ELNS1_3gpuE9ELNS1_3repE0EEENS1_30default_config_static_selectorELNS0_4arch9wavefront6targetE0EEEvS10_.num_named_barrier, 0
	.set _ZN7rocprim17ROCPRIM_400000_NS6detail17trampoline_kernelINS0_14default_configENS1_21merge_config_selectorINS0_5tupleIJyyEEENS0_10empty_typeEEEZNS1_10merge_implIS3_NS0_12zip_iteratorINS5_IJN6thrust23THRUST_200600_302600_NS6detail15normal_iteratorINSC_10device_ptrIKyEEEESI_EEEEESK_NSA_INS5_IJNSE_INSF_IyEEEESM_EEEEEPS7_SP_SP_NSC_11hip_rocprim7__merge17predicate_wrapperIyyNSC_4lessImEEEEEE10hipError_tPvRmT0_T1_T2_T3_T4_T5_mmT6_P12ihipStream_tbEUlT_E_NS1_11comp_targetILNS1_3genE5ELNS1_11target_archE942ELNS1_3gpuE9ELNS1_3repE0EEENS1_30default_config_static_selectorELNS0_4arch9wavefront6targetE0EEEvS10_.private_seg_size, 0
	.set _ZN7rocprim17ROCPRIM_400000_NS6detail17trampoline_kernelINS0_14default_configENS1_21merge_config_selectorINS0_5tupleIJyyEEENS0_10empty_typeEEEZNS1_10merge_implIS3_NS0_12zip_iteratorINS5_IJN6thrust23THRUST_200600_302600_NS6detail15normal_iteratorINSC_10device_ptrIKyEEEESI_EEEEESK_NSA_INS5_IJNSE_INSF_IyEEEESM_EEEEEPS7_SP_SP_NSC_11hip_rocprim7__merge17predicate_wrapperIyyNSC_4lessImEEEEEE10hipError_tPvRmT0_T1_T2_T3_T4_T5_mmT6_P12ihipStream_tbEUlT_E_NS1_11comp_targetILNS1_3genE5ELNS1_11target_archE942ELNS1_3gpuE9ELNS1_3repE0EEENS1_30default_config_static_selectorELNS0_4arch9wavefront6targetE0EEEvS10_.uses_vcc, 0
	.set _ZN7rocprim17ROCPRIM_400000_NS6detail17trampoline_kernelINS0_14default_configENS1_21merge_config_selectorINS0_5tupleIJyyEEENS0_10empty_typeEEEZNS1_10merge_implIS3_NS0_12zip_iteratorINS5_IJN6thrust23THRUST_200600_302600_NS6detail15normal_iteratorINSC_10device_ptrIKyEEEESI_EEEEESK_NSA_INS5_IJNSE_INSF_IyEEEESM_EEEEEPS7_SP_SP_NSC_11hip_rocprim7__merge17predicate_wrapperIyyNSC_4lessImEEEEEE10hipError_tPvRmT0_T1_T2_T3_T4_T5_mmT6_P12ihipStream_tbEUlT_E_NS1_11comp_targetILNS1_3genE5ELNS1_11target_archE942ELNS1_3gpuE9ELNS1_3repE0EEENS1_30default_config_static_selectorELNS0_4arch9wavefront6targetE0EEEvS10_.uses_flat_scratch, 0
	.set _ZN7rocprim17ROCPRIM_400000_NS6detail17trampoline_kernelINS0_14default_configENS1_21merge_config_selectorINS0_5tupleIJyyEEENS0_10empty_typeEEEZNS1_10merge_implIS3_NS0_12zip_iteratorINS5_IJN6thrust23THRUST_200600_302600_NS6detail15normal_iteratorINSC_10device_ptrIKyEEEESI_EEEEESK_NSA_INS5_IJNSE_INSF_IyEEEESM_EEEEEPS7_SP_SP_NSC_11hip_rocprim7__merge17predicate_wrapperIyyNSC_4lessImEEEEEE10hipError_tPvRmT0_T1_T2_T3_T4_T5_mmT6_P12ihipStream_tbEUlT_E_NS1_11comp_targetILNS1_3genE5ELNS1_11target_archE942ELNS1_3gpuE9ELNS1_3repE0EEENS1_30default_config_static_selectorELNS0_4arch9wavefront6targetE0EEEvS10_.has_dyn_sized_stack, 0
	.set _ZN7rocprim17ROCPRIM_400000_NS6detail17trampoline_kernelINS0_14default_configENS1_21merge_config_selectorINS0_5tupleIJyyEEENS0_10empty_typeEEEZNS1_10merge_implIS3_NS0_12zip_iteratorINS5_IJN6thrust23THRUST_200600_302600_NS6detail15normal_iteratorINSC_10device_ptrIKyEEEESI_EEEEESK_NSA_INS5_IJNSE_INSF_IyEEEESM_EEEEEPS7_SP_SP_NSC_11hip_rocprim7__merge17predicate_wrapperIyyNSC_4lessImEEEEEE10hipError_tPvRmT0_T1_T2_T3_T4_T5_mmT6_P12ihipStream_tbEUlT_E_NS1_11comp_targetILNS1_3genE5ELNS1_11target_archE942ELNS1_3gpuE9ELNS1_3repE0EEENS1_30default_config_static_selectorELNS0_4arch9wavefront6targetE0EEEvS10_.has_recursion, 0
	.set _ZN7rocprim17ROCPRIM_400000_NS6detail17trampoline_kernelINS0_14default_configENS1_21merge_config_selectorINS0_5tupleIJyyEEENS0_10empty_typeEEEZNS1_10merge_implIS3_NS0_12zip_iteratorINS5_IJN6thrust23THRUST_200600_302600_NS6detail15normal_iteratorINSC_10device_ptrIKyEEEESI_EEEEESK_NSA_INS5_IJNSE_INSF_IyEEEESM_EEEEEPS7_SP_SP_NSC_11hip_rocprim7__merge17predicate_wrapperIyyNSC_4lessImEEEEEE10hipError_tPvRmT0_T1_T2_T3_T4_T5_mmT6_P12ihipStream_tbEUlT_E_NS1_11comp_targetILNS1_3genE5ELNS1_11target_archE942ELNS1_3gpuE9ELNS1_3repE0EEENS1_30default_config_static_selectorELNS0_4arch9wavefront6targetE0EEEvS10_.has_indirect_call, 0
	.section	.AMDGPU.csdata,"",@progbits
; Kernel info:
; codeLenInByte = 0
; TotalNumSgprs: 0
; NumVgprs: 0
; ScratchSize: 0
; MemoryBound: 0
; FloatMode: 240
; IeeeMode: 1
; LDSByteSize: 0 bytes/workgroup (compile time only)
; SGPRBlocks: 0
; VGPRBlocks: 0
; NumSGPRsForWavesPerEU: 1
; NumVGPRsForWavesPerEU: 1
; Occupancy: 16
; WaveLimiterHint : 0
; COMPUTE_PGM_RSRC2:SCRATCH_EN: 0
; COMPUTE_PGM_RSRC2:USER_SGPR: 6
; COMPUTE_PGM_RSRC2:TRAP_HANDLER: 0
; COMPUTE_PGM_RSRC2:TGID_X_EN: 1
; COMPUTE_PGM_RSRC2:TGID_Y_EN: 0
; COMPUTE_PGM_RSRC2:TGID_Z_EN: 0
; COMPUTE_PGM_RSRC2:TIDIG_COMP_CNT: 0
	.section	.text._ZN7rocprim17ROCPRIM_400000_NS6detail17trampoline_kernelINS0_14default_configENS1_21merge_config_selectorINS0_5tupleIJyyEEENS0_10empty_typeEEEZNS1_10merge_implIS3_NS0_12zip_iteratorINS5_IJN6thrust23THRUST_200600_302600_NS6detail15normal_iteratorINSC_10device_ptrIKyEEEESI_EEEEESK_NSA_INS5_IJNSE_INSF_IyEEEESM_EEEEEPS7_SP_SP_NSC_11hip_rocprim7__merge17predicate_wrapperIyyNSC_4lessImEEEEEE10hipError_tPvRmT0_T1_T2_T3_T4_T5_mmT6_P12ihipStream_tbEUlT_E_NS1_11comp_targetILNS1_3genE4ELNS1_11target_archE910ELNS1_3gpuE8ELNS1_3repE0EEENS1_30default_config_static_selectorELNS0_4arch9wavefront6targetE0EEEvS10_,"axG",@progbits,_ZN7rocprim17ROCPRIM_400000_NS6detail17trampoline_kernelINS0_14default_configENS1_21merge_config_selectorINS0_5tupleIJyyEEENS0_10empty_typeEEEZNS1_10merge_implIS3_NS0_12zip_iteratorINS5_IJN6thrust23THRUST_200600_302600_NS6detail15normal_iteratorINSC_10device_ptrIKyEEEESI_EEEEESK_NSA_INS5_IJNSE_INSF_IyEEEESM_EEEEEPS7_SP_SP_NSC_11hip_rocprim7__merge17predicate_wrapperIyyNSC_4lessImEEEEEE10hipError_tPvRmT0_T1_T2_T3_T4_T5_mmT6_P12ihipStream_tbEUlT_E_NS1_11comp_targetILNS1_3genE4ELNS1_11target_archE910ELNS1_3gpuE8ELNS1_3repE0EEENS1_30default_config_static_selectorELNS0_4arch9wavefront6targetE0EEEvS10_,comdat
	.protected	_ZN7rocprim17ROCPRIM_400000_NS6detail17trampoline_kernelINS0_14default_configENS1_21merge_config_selectorINS0_5tupleIJyyEEENS0_10empty_typeEEEZNS1_10merge_implIS3_NS0_12zip_iteratorINS5_IJN6thrust23THRUST_200600_302600_NS6detail15normal_iteratorINSC_10device_ptrIKyEEEESI_EEEEESK_NSA_INS5_IJNSE_INSF_IyEEEESM_EEEEEPS7_SP_SP_NSC_11hip_rocprim7__merge17predicate_wrapperIyyNSC_4lessImEEEEEE10hipError_tPvRmT0_T1_T2_T3_T4_T5_mmT6_P12ihipStream_tbEUlT_E_NS1_11comp_targetILNS1_3genE4ELNS1_11target_archE910ELNS1_3gpuE8ELNS1_3repE0EEENS1_30default_config_static_selectorELNS0_4arch9wavefront6targetE0EEEvS10_ ; -- Begin function _ZN7rocprim17ROCPRIM_400000_NS6detail17trampoline_kernelINS0_14default_configENS1_21merge_config_selectorINS0_5tupleIJyyEEENS0_10empty_typeEEEZNS1_10merge_implIS3_NS0_12zip_iteratorINS5_IJN6thrust23THRUST_200600_302600_NS6detail15normal_iteratorINSC_10device_ptrIKyEEEESI_EEEEESK_NSA_INS5_IJNSE_INSF_IyEEEESM_EEEEEPS7_SP_SP_NSC_11hip_rocprim7__merge17predicate_wrapperIyyNSC_4lessImEEEEEE10hipError_tPvRmT0_T1_T2_T3_T4_T5_mmT6_P12ihipStream_tbEUlT_E_NS1_11comp_targetILNS1_3genE4ELNS1_11target_archE910ELNS1_3gpuE8ELNS1_3repE0EEENS1_30default_config_static_selectorELNS0_4arch9wavefront6targetE0EEEvS10_
	.globl	_ZN7rocprim17ROCPRIM_400000_NS6detail17trampoline_kernelINS0_14default_configENS1_21merge_config_selectorINS0_5tupleIJyyEEENS0_10empty_typeEEEZNS1_10merge_implIS3_NS0_12zip_iteratorINS5_IJN6thrust23THRUST_200600_302600_NS6detail15normal_iteratorINSC_10device_ptrIKyEEEESI_EEEEESK_NSA_INS5_IJNSE_INSF_IyEEEESM_EEEEEPS7_SP_SP_NSC_11hip_rocprim7__merge17predicate_wrapperIyyNSC_4lessImEEEEEE10hipError_tPvRmT0_T1_T2_T3_T4_T5_mmT6_P12ihipStream_tbEUlT_E_NS1_11comp_targetILNS1_3genE4ELNS1_11target_archE910ELNS1_3gpuE8ELNS1_3repE0EEENS1_30default_config_static_selectorELNS0_4arch9wavefront6targetE0EEEvS10_
	.p2align	8
	.type	_ZN7rocprim17ROCPRIM_400000_NS6detail17trampoline_kernelINS0_14default_configENS1_21merge_config_selectorINS0_5tupleIJyyEEENS0_10empty_typeEEEZNS1_10merge_implIS3_NS0_12zip_iteratorINS5_IJN6thrust23THRUST_200600_302600_NS6detail15normal_iteratorINSC_10device_ptrIKyEEEESI_EEEEESK_NSA_INS5_IJNSE_INSF_IyEEEESM_EEEEEPS7_SP_SP_NSC_11hip_rocprim7__merge17predicate_wrapperIyyNSC_4lessImEEEEEE10hipError_tPvRmT0_T1_T2_T3_T4_T5_mmT6_P12ihipStream_tbEUlT_E_NS1_11comp_targetILNS1_3genE4ELNS1_11target_archE910ELNS1_3gpuE8ELNS1_3repE0EEENS1_30default_config_static_selectorELNS0_4arch9wavefront6targetE0EEEvS10_,@function
_ZN7rocprim17ROCPRIM_400000_NS6detail17trampoline_kernelINS0_14default_configENS1_21merge_config_selectorINS0_5tupleIJyyEEENS0_10empty_typeEEEZNS1_10merge_implIS3_NS0_12zip_iteratorINS5_IJN6thrust23THRUST_200600_302600_NS6detail15normal_iteratorINSC_10device_ptrIKyEEEESI_EEEEESK_NSA_INS5_IJNSE_INSF_IyEEEESM_EEEEEPS7_SP_SP_NSC_11hip_rocprim7__merge17predicate_wrapperIyyNSC_4lessImEEEEEE10hipError_tPvRmT0_T1_T2_T3_T4_T5_mmT6_P12ihipStream_tbEUlT_E_NS1_11comp_targetILNS1_3genE4ELNS1_11target_archE910ELNS1_3gpuE8ELNS1_3repE0EEENS1_30default_config_static_selectorELNS0_4arch9wavefront6targetE0EEEvS10_: ; @_ZN7rocprim17ROCPRIM_400000_NS6detail17trampoline_kernelINS0_14default_configENS1_21merge_config_selectorINS0_5tupleIJyyEEENS0_10empty_typeEEEZNS1_10merge_implIS3_NS0_12zip_iteratorINS5_IJN6thrust23THRUST_200600_302600_NS6detail15normal_iteratorINSC_10device_ptrIKyEEEESI_EEEEESK_NSA_INS5_IJNSE_INSF_IyEEEESM_EEEEEPS7_SP_SP_NSC_11hip_rocprim7__merge17predicate_wrapperIyyNSC_4lessImEEEEEE10hipError_tPvRmT0_T1_T2_T3_T4_T5_mmT6_P12ihipStream_tbEUlT_E_NS1_11comp_targetILNS1_3genE4ELNS1_11target_archE910ELNS1_3gpuE8ELNS1_3repE0EEENS1_30default_config_static_selectorELNS0_4arch9wavefront6targetE0EEEvS10_
; %bb.0:
	.section	.rodata,"a",@progbits
	.p2align	6, 0x0
	.amdhsa_kernel _ZN7rocprim17ROCPRIM_400000_NS6detail17trampoline_kernelINS0_14default_configENS1_21merge_config_selectorINS0_5tupleIJyyEEENS0_10empty_typeEEEZNS1_10merge_implIS3_NS0_12zip_iteratorINS5_IJN6thrust23THRUST_200600_302600_NS6detail15normal_iteratorINSC_10device_ptrIKyEEEESI_EEEEESK_NSA_INS5_IJNSE_INSF_IyEEEESM_EEEEEPS7_SP_SP_NSC_11hip_rocprim7__merge17predicate_wrapperIyyNSC_4lessImEEEEEE10hipError_tPvRmT0_T1_T2_T3_T4_T5_mmT6_P12ihipStream_tbEUlT_E_NS1_11comp_targetILNS1_3genE4ELNS1_11target_archE910ELNS1_3gpuE8ELNS1_3repE0EEENS1_30default_config_static_selectorELNS0_4arch9wavefront6targetE0EEEvS10_
		.amdhsa_group_segment_fixed_size 0
		.amdhsa_private_segment_fixed_size 0
		.amdhsa_kernarg_size 64
		.amdhsa_user_sgpr_count 6
		.amdhsa_user_sgpr_private_segment_buffer 1
		.amdhsa_user_sgpr_dispatch_ptr 0
		.amdhsa_user_sgpr_queue_ptr 0
		.amdhsa_user_sgpr_kernarg_segment_ptr 1
		.amdhsa_user_sgpr_dispatch_id 0
		.amdhsa_user_sgpr_flat_scratch_init 0
		.amdhsa_user_sgpr_private_segment_size 0
		.amdhsa_wavefront_size32 1
		.amdhsa_uses_dynamic_stack 0
		.amdhsa_system_sgpr_private_segment_wavefront_offset 0
		.amdhsa_system_sgpr_workgroup_id_x 1
		.amdhsa_system_sgpr_workgroup_id_y 0
		.amdhsa_system_sgpr_workgroup_id_z 0
		.amdhsa_system_sgpr_workgroup_info 0
		.amdhsa_system_vgpr_workitem_id 0
		.amdhsa_next_free_vgpr 1
		.amdhsa_next_free_sgpr 1
		.amdhsa_reserve_vcc 0
		.amdhsa_reserve_flat_scratch 0
		.amdhsa_float_round_mode_32 0
		.amdhsa_float_round_mode_16_64 0
		.amdhsa_float_denorm_mode_32 3
		.amdhsa_float_denorm_mode_16_64 3
		.amdhsa_dx10_clamp 1
		.amdhsa_ieee_mode 1
		.amdhsa_fp16_overflow 0
		.amdhsa_workgroup_processor_mode 1
		.amdhsa_memory_ordered 1
		.amdhsa_forward_progress 1
		.amdhsa_shared_vgpr_count 0
		.amdhsa_exception_fp_ieee_invalid_op 0
		.amdhsa_exception_fp_denorm_src 0
		.amdhsa_exception_fp_ieee_div_zero 0
		.amdhsa_exception_fp_ieee_overflow 0
		.amdhsa_exception_fp_ieee_underflow 0
		.amdhsa_exception_fp_ieee_inexact 0
		.amdhsa_exception_int_div_zero 0
	.end_amdhsa_kernel
	.section	.text._ZN7rocprim17ROCPRIM_400000_NS6detail17trampoline_kernelINS0_14default_configENS1_21merge_config_selectorINS0_5tupleIJyyEEENS0_10empty_typeEEEZNS1_10merge_implIS3_NS0_12zip_iteratorINS5_IJN6thrust23THRUST_200600_302600_NS6detail15normal_iteratorINSC_10device_ptrIKyEEEESI_EEEEESK_NSA_INS5_IJNSE_INSF_IyEEEESM_EEEEEPS7_SP_SP_NSC_11hip_rocprim7__merge17predicate_wrapperIyyNSC_4lessImEEEEEE10hipError_tPvRmT0_T1_T2_T3_T4_T5_mmT6_P12ihipStream_tbEUlT_E_NS1_11comp_targetILNS1_3genE4ELNS1_11target_archE910ELNS1_3gpuE8ELNS1_3repE0EEENS1_30default_config_static_selectorELNS0_4arch9wavefront6targetE0EEEvS10_,"axG",@progbits,_ZN7rocprim17ROCPRIM_400000_NS6detail17trampoline_kernelINS0_14default_configENS1_21merge_config_selectorINS0_5tupleIJyyEEENS0_10empty_typeEEEZNS1_10merge_implIS3_NS0_12zip_iteratorINS5_IJN6thrust23THRUST_200600_302600_NS6detail15normal_iteratorINSC_10device_ptrIKyEEEESI_EEEEESK_NSA_INS5_IJNSE_INSF_IyEEEESM_EEEEEPS7_SP_SP_NSC_11hip_rocprim7__merge17predicate_wrapperIyyNSC_4lessImEEEEEE10hipError_tPvRmT0_T1_T2_T3_T4_T5_mmT6_P12ihipStream_tbEUlT_E_NS1_11comp_targetILNS1_3genE4ELNS1_11target_archE910ELNS1_3gpuE8ELNS1_3repE0EEENS1_30default_config_static_selectorELNS0_4arch9wavefront6targetE0EEEvS10_,comdat
.Lfunc_end463:
	.size	_ZN7rocprim17ROCPRIM_400000_NS6detail17trampoline_kernelINS0_14default_configENS1_21merge_config_selectorINS0_5tupleIJyyEEENS0_10empty_typeEEEZNS1_10merge_implIS3_NS0_12zip_iteratorINS5_IJN6thrust23THRUST_200600_302600_NS6detail15normal_iteratorINSC_10device_ptrIKyEEEESI_EEEEESK_NSA_INS5_IJNSE_INSF_IyEEEESM_EEEEEPS7_SP_SP_NSC_11hip_rocprim7__merge17predicate_wrapperIyyNSC_4lessImEEEEEE10hipError_tPvRmT0_T1_T2_T3_T4_T5_mmT6_P12ihipStream_tbEUlT_E_NS1_11comp_targetILNS1_3genE4ELNS1_11target_archE910ELNS1_3gpuE8ELNS1_3repE0EEENS1_30default_config_static_selectorELNS0_4arch9wavefront6targetE0EEEvS10_, .Lfunc_end463-_ZN7rocprim17ROCPRIM_400000_NS6detail17trampoline_kernelINS0_14default_configENS1_21merge_config_selectorINS0_5tupleIJyyEEENS0_10empty_typeEEEZNS1_10merge_implIS3_NS0_12zip_iteratorINS5_IJN6thrust23THRUST_200600_302600_NS6detail15normal_iteratorINSC_10device_ptrIKyEEEESI_EEEEESK_NSA_INS5_IJNSE_INSF_IyEEEESM_EEEEEPS7_SP_SP_NSC_11hip_rocprim7__merge17predicate_wrapperIyyNSC_4lessImEEEEEE10hipError_tPvRmT0_T1_T2_T3_T4_T5_mmT6_P12ihipStream_tbEUlT_E_NS1_11comp_targetILNS1_3genE4ELNS1_11target_archE910ELNS1_3gpuE8ELNS1_3repE0EEENS1_30default_config_static_selectorELNS0_4arch9wavefront6targetE0EEEvS10_
                                        ; -- End function
	.set _ZN7rocprim17ROCPRIM_400000_NS6detail17trampoline_kernelINS0_14default_configENS1_21merge_config_selectorINS0_5tupleIJyyEEENS0_10empty_typeEEEZNS1_10merge_implIS3_NS0_12zip_iteratorINS5_IJN6thrust23THRUST_200600_302600_NS6detail15normal_iteratorINSC_10device_ptrIKyEEEESI_EEEEESK_NSA_INS5_IJNSE_INSF_IyEEEESM_EEEEEPS7_SP_SP_NSC_11hip_rocprim7__merge17predicate_wrapperIyyNSC_4lessImEEEEEE10hipError_tPvRmT0_T1_T2_T3_T4_T5_mmT6_P12ihipStream_tbEUlT_E_NS1_11comp_targetILNS1_3genE4ELNS1_11target_archE910ELNS1_3gpuE8ELNS1_3repE0EEENS1_30default_config_static_selectorELNS0_4arch9wavefront6targetE0EEEvS10_.num_vgpr, 0
	.set _ZN7rocprim17ROCPRIM_400000_NS6detail17trampoline_kernelINS0_14default_configENS1_21merge_config_selectorINS0_5tupleIJyyEEENS0_10empty_typeEEEZNS1_10merge_implIS3_NS0_12zip_iteratorINS5_IJN6thrust23THRUST_200600_302600_NS6detail15normal_iteratorINSC_10device_ptrIKyEEEESI_EEEEESK_NSA_INS5_IJNSE_INSF_IyEEEESM_EEEEEPS7_SP_SP_NSC_11hip_rocprim7__merge17predicate_wrapperIyyNSC_4lessImEEEEEE10hipError_tPvRmT0_T1_T2_T3_T4_T5_mmT6_P12ihipStream_tbEUlT_E_NS1_11comp_targetILNS1_3genE4ELNS1_11target_archE910ELNS1_3gpuE8ELNS1_3repE0EEENS1_30default_config_static_selectorELNS0_4arch9wavefront6targetE0EEEvS10_.num_agpr, 0
	.set _ZN7rocprim17ROCPRIM_400000_NS6detail17trampoline_kernelINS0_14default_configENS1_21merge_config_selectorINS0_5tupleIJyyEEENS0_10empty_typeEEEZNS1_10merge_implIS3_NS0_12zip_iteratorINS5_IJN6thrust23THRUST_200600_302600_NS6detail15normal_iteratorINSC_10device_ptrIKyEEEESI_EEEEESK_NSA_INS5_IJNSE_INSF_IyEEEESM_EEEEEPS7_SP_SP_NSC_11hip_rocprim7__merge17predicate_wrapperIyyNSC_4lessImEEEEEE10hipError_tPvRmT0_T1_T2_T3_T4_T5_mmT6_P12ihipStream_tbEUlT_E_NS1_11comp_targetILNS1_3genE4ELNS1_11target_archE910ELNS1_3gpuE8ELNS1_3repE0EEENS1_30default_config_static_selectorELNS0_4arch9wavefront6targetE0EEEvS10_.numbered_sgpr, 0
	.set _ZN7rocprim17ROCPRIM_400000_NS6detail17trampoline_kernelINS0_14default_configENS1_21merge_config_selectorINS0_5tupleIJyyEEENS0_10empty_typeEEEZNS1_10merge_implIS3_NS0_12zip_iteratorINS5_IJN6thrust23THRUST_200600_302600_NS6detail15normal_iteratorINSC_10device_ptrIKyEEEESI_EEEEESK_NSA_INS5_IJNSE_INSF_IyEEEESM_EEEEEPS7_SP_SP_NSC_11hip_rocprim7__merge17predicate_wrapperIyyNSC_4lessImEEEEEE10hipError_tPvRmT0_T1_T2_T3_T4_T5_mmT6_P12ihipStream_tbEUlT_E_NS1_11comp_targetILNS1_3genE4ELNS1_11target_archE910ELNS1_3gpuE8ELNS1_3repE0EEENS1_30default_config_static_selectorELNS0_4arch9wavefront6targetE0EEEvS10_.num_named_barrier, 0
	.set _ZN7rocprim17ROCPRIM_400000_NS6detail17trampoline_kernelINS0_14default_configENS1_21merge_config_selectorINS0_5tupleIJyyEEENS0_10empty_typeEEEZNS1_10merge_implIS3_NS0_12zip_iteratorINS5_IJN6thrust23THRUST_200600_302600_NS6detail15normal_iteratorINSC_10device_ptrIKyEEEESI_EEEEESK_NSA_INS5_IJNSE_INSF_IyEEEESM_EEEEEPS7_SP_SP_NSC_11hip_rocprim7__merge17predicate_wrapperIyyNSC_4lessImEEEEEE10hipError_tPvRmT0_T1_T2_T3_T4_T5_mmT6_P12ihipStream_tbEUlT_E_NS1_11comp_targetILNS1_3genE4ELNS1_11target_archE910ELNS1_3gpuE8ELNS1_3repE0EEENS1_30default_config_static_selectorELNS0_4arch9wavefront6targetE0EEEvS10_.private_seg_size, 0
	.set _ZN7rocprim17ROCPRIM_400000_NS6detail17trampoline_kernelINS0_14default_configENS1_21merge_config_selectorINS0_5tupleIJyyEEENS0_10empty_typeEEEZNS1_10merge_implIS3_NS0_12zip_iteratorINS5_IJN6thrust23THRUST_200600_302600_NS6detail15normal_iteratorINSC_10device_ptrIKyEEEESI_EEEEESK_NSA_INS5_IJNSE_INSF_IyEEEESM_EEEEEPS7_SP_SP_NSC_11hip_rocprim7__merge17predicate_wrapperIyyNSC_4lessImEEEEEE10hipError_tPvRmT0_T1_T2_T3_T4_T5_mmT6_P12ihipStream_tbEUlT_E_NS1_11comp_targetILNS1_3genE4ELNS1_11target_archE910ELNS1_3gpuE8ELNS1_3repE0EEENS1_30default_config_static_selectorELNS0_4arch9wavefront6targetE0EEEvS10_.uses_vcc, 0
	.set _ZN7rocprim17ROCPRIM_400000_NS6detail17trampoline_kernelINS0_14default_configENS1_21merge_config_selectorINS0_5tupleIJyyEEENS0_10empty_typeEEEZNS1_10merge_implIS3_NS0_12zip_iteratorINS5_IJN6thrust23THRUST_200600_302600_NS6detail15normal_iteratorINSC_10device_ptrIKyEEEESI_EEEEESK_NSA_INS5_IJNSE_INSF_IyEEEESM_EEEEEPS7_SP_SP_NSC_11hip_rocprim7__merge17predicate_wrapperIyyNSC_4lessImEEEEEE10hipError_tPvRmT0_T1_T2_T3_T4_T5_mmT6_P12ihipStream_tbEUlT_E_NS1_11comp_targetILNS1_3genE4ELNS1_11target_archE910ELNS1_3gpuE8ELNS1_3repE0EEENS1_30default_config_static_selectorELNS0_4arch9wavefront6targetE0EEEvS10_.uses_flat_scratch, 0
	.set _ZN7rocprim17ROCPRIM_400000_NS6detail17trampoline_kernelINS0_14default_configENS1_21merge_config_selectorINS0_5tupleIJyyEEENS0_10empty_typeEEEZNS1_10merge_implIS3_NS0_12zip_iteratorINS5_IJN6thrust23THRUST_200600_302600_NS6detail15normal_iteratorINSC_10device_ptrIKyEEEESI_EEEEESK_NSA_INS5_IJNSE_INSF_IyEEEESM_EEEEEPS7_SP_SP_NSC_11hip_rocprim7__merge17predicate_wrapperIyyNSC_4lessImEEEEEE10hipError_tPvRmT0_T1_T2_T3_T4_T5_mmT6_P12ihipStream_tbEUlT_E_NS1_11comp_targetILNS1_3genE4ELNS1_11target_archE910ELNS1_3gpuE8ELNS1_3repE0EEENS1_30default_config_static_selectorELNS0_4arch9wavefront6targetE0EEEvS10_.has_dyn_sized_stack, 0
	.set _ZN7rocprim17ROCPRIM_400000_NS6detail17trampoline_kernelINS0_14default_configENS1_21merge_config_selectorINS0_5tupleIJyyEEENS0_10empty_typeEEEZNS1_10merge_implIS3_NS0_12zip_iteratorINS5_IJN6thrust23THRUST_200600_302600_NS6detail15normal_iteratorINSC_10device_ptrIKyEEEESI_EEEEESK_NSA_INS5_IJNSE_INSF_IyEEEESM_EEEEEPS7_SP_SP_NSC_11hip_rocprim7__merge17predicate_wrapperIyyNSC_4lessImEEEEEE10hipError_tPvRmT0_T1_T2_T3_T4_T5_mmT6_P12ihipStream_tbEUlT_E_NS1_11comp_targetILNS1_3genE4ELNS1_11target_archE910ELNS1_3gpuE8ELNS1_3repE0EEENS1_30default_config_static_selectorELNS0_4arch9wavefront6targetE0EEEvS10_.has_recursion, 0
	.set _ZN7rocprim17ROCPRIM_400000_NS6detail17trampoline_kernelINS0_14default_configENS1_21merge_config_selectorINS0_5tupleIJyyEEENS0_10empty_typeEEEZNS1_10merge_implIS3_NS0_12zip_iteratorINS5_IJN6thrust23THRUST_200600_302600_NS6detail15normal_iteratorINSC_10device_ptrIKyEEEESI_EEEEESK_NSA_INS5_IJNSE_INSF_IyEEEESM_EEEEEPS7_SP_SP_NSC_11hip_rocprim7__merge17predicate_wrapperIyyNSC_4lessImEEEEEE10hipError_tPvRmT0_T1_T2_T3_T4_T5_mmT6_P12ihipStream_tbEUlT_E_NS1_11comp_targetILNS1_3genE4ELNS1_11target_archE910ELNS1_3gpuE8ELNS1_3repE0EEENS1_30default_config_static_selectorELNS0_4arch9wavefront6targetE0EEEvS10_.has_indirect_call, 0
	.section	.AMDGPU.csdata,"",@progbits
; Kernel info:
; codeLenInByte = 0
; TotalNumSgprs: 0
; NumVgprs: 0
; ScratchSize: 0
; MemoryBound: 0
; FloatMode: 240
; IeeeMode: 1
; LDSByteSize: 0 bytes/workgroup (compile time only)
; SGPRBlocks: 0
; VGPRBlocks: 0
; NumSGPRsForWavesPerEU: 1
; NumVGPRsForWavesPerEU: 1
; Occupancy: 16
; WaveLimiterHint : 0
; COMPUTE_PGM_RSRC2:SCRATCH_EN: 0
; COMPUTE_PGM_RSRC2:USER_SGPR: 6
; COMPUTE_PGM_RSRC2:TRAP_HANDLER: 0
; COMPUTE_PGM_RSRC2:TGID_X_EN: 1
; COMPUTE_PGM_RSRC2:TGID_Y_EN: 0
; COMPUTE_PGM_RSRC2:TGID_Z_EN: 0
; COMPUTE_PGM_RSRC2:TIDIG_COMP_CNT: 0
	.section	.text._ZN7rocprim17ROCPRIM_400000_NS6detail17trampoline_kernelINS0_14default_configENS1_21merge_config_selectorINS0_5tupleIJyyEEENS0_10empty_typeEEEZNS1_10merge_implIS3_NS0_12zip_iteratorINS5_IJN6thrust23THRUST_200600_302600_NS6detail15normal_iteratorINSC_10device_ptrIKyEEEESI_EEEEESK_NSA_INS5_IJNSE_INSF_IyEEEESM_EEEEEPS7_SP_SP_NSC_11hip_rocprim7__merge17predicate_wrapperIyyNSC_4lessImEEEEEE10hipError_tPvRmT0_T1_T2_T3_T4_T5_mmT6_P12ihipStream_tbEUlT_E_NS1_11comp_targetILNS1_3genE3ELNS1_11target_archE908ELNS1_3gpuE7ELNS1_3repE0EEENS1_30default_config_static_selectorELNS0_4arch9wavefront6targetE0EEEvS10_,"axG",@progbits,_ZN7rocprim17ROCPRIM_400000_NS6detail17trampoline_kernelINS0_14default_configENS1_21merge_config_selectorINS0_5tupleIJyyEEENS0_10empty_typeEEEZNS1_10merge_implIS3_NS0_12zip_iteratorINS5_IJN6thrust23THRUST_200600_302600_NS6detail15normal_iteratorINSC_10device_ptrIKyEEEESI_EEEEESK_NSA_INS5_IJNSE_INSF_IyEEEESM_EEEEEPS7_SP_SP_NSC_11hip_rocprim7__merge17predicate_wrapperIyyNSC_4lessImEEEEEE10hipError_tPvRmT0_T1_T2_T3_T4_T5_mmT6_P12ihipStream_tbEUlT_E_NS1_11comp_targetILNS1_3genE3ELNS1_11target_archE908ELNS1_3gpuE7ELNS1_3repE0EEENS1_30default_config_static_selectorELNS0_4arch9wavefront6targetE0EEEvS10_,comdat
	.protected	_ZN7rocprim17ROCPRIM_400000_NS6detail17trampoline_kernelINS0_14default_configENS1_21merge_config_selectorINS0_5tupleIJyyEEENS0_10empty_typeEEEZNS1_10merge_implIS3_NS0_12zip_iteratorINS5_IJN6thrust23THRUST_200600_302600_NS6detail15normal_iteratorINSC_10device_ptrIKyEEEESI_EEEEESK_NSA_INS5_IJNSE_INSF_IyEEEESM_EEEEEPS7_SP_SP_NSC_11hip_rocprim7__merge17predicate_wrapperIyyNSC_4lessImEEEEEE10hipError_tPvRmT0_T1_T2_T3_T4_T5_mmT6_P12ihipStream_tbEUlT_E_NS1_11comp_targetILNS1_3genE3ELNS1_11target_archE908ELNS1_3gpuE7ELNS1_3repE0EEENS1_30default_config_static_selectorELNS0_4arch9wavefront6targetE0EEEvS10_ ; -- Begin function _ZN7rocprim17ROCPRIM_400000_NS6detail17trampoline_kernelINS0_14default_configENS1_21merge_config_selectorINS0_5tupleIJyyEEENS0_10empty_typeEEEZNS1_10merge_implIS3_NS0_12zip_iteratorINS5_IJN6thrust23THRUST_200600_302600_NS6detail15normal_iteratorINSC_10device_ptrIKyEEEESI_EEEEESK_NSA_INS5_IJNSE_INSF_IyEEEESM_EEEEEPS7_SP_SP_NSC_11hip_rocprim7__merge17predicate_wrapperIyyNSC_4lessImEEEEEE10hipError_tPvRmT0_T1_T2_T3_T4_T5_mmT6_P12ihipStream_tbEUlT_E_NS1_11comp_targetILNS1_3genE3ELNS1_11target_archE908ELNS1_3gpuE7ELNS1_3repE0EEENS1_30default_config_static_selectorELNS0_4arch9wavefront6targetE0EEEvS10_
	.globl	_ZN7rocprim17ROCPRIM_400000_NS6detail17trampoline_kernelINS0_14default_configENS1_21merge_config_selectorINS0_5tupleIJyyEEENS0_10empty_typeEEEZNS1_10merge_implIS3_NS0_12zip_iteratorINS5_IJN6thrust23THRUST_200600_302600_NS6detail15normal_iteratorINSC_10device_ptrIKyEEEESI_EEEEESK_NSA_INS5_IJNSE_INSF_IyEEEESM_EEEEEPS7_SP_SP_NSC_11hip_rocprim7__merge17predicate_wrapperIyyNSC_4lessImEEEEEE10hipError_tPvRmT0_T1_T2_T3_T4_T5_mmT6_P12ihipStream_tbEUlT_E_NS1_11comp_targetILNS1_3genE3ELNS1_11target_archE908ELNS1_3gpuE7ELNS1_3repE0EEENS1_30default_config_static_selectorELNS0_4arch9wavefront6targetE0EEEvS10_
	.p2align	8
	.type	_ZN7rocprim17ROCPRIM_400000_NS6detail17trampoline_kernelINS0_14default_configENS1_21merge_config_selectorINS0_5tupleIJyyEEENS0_10empty_typeEEEZNS1_10merge_implIS3_NS0_12zip_iteratorINS5_IJN6thrust23THRUST_200600_302600_NS6detail15normal_iteratorINSC_10device_ptrIKyEEEESI_EEEEESK_NSA_INS5_IJNSE_INSF_IyEEEESM_EEEEEPS7_SP_SP_NSC_11hip_rocprim7__merge17predicate_wrapperIyyNSC_4lessImEEEEEE10hipError_tPvRmT0_T1_T2_T3_T4_T5_mmT6_P12ihipStream_tbEUlT_E_NS1_11comp_targetILNS1_3genE3ELNS1_11target_archE908ELNS1_3gpuE7ELNS1_3repE0EEENS1_30default_config_static_selectorELNS0_4arch9wavefront6targetE0EEEvS10_,@function
_ZN7rocprim17ROCPRIM_400000_NS6detail17trampoline_kernelINS0_14default_configENS1_21merge_config_selectorINS0_5tupleIJyyEEENS0_10empty_typeEEEZNS1_10merge_implIS3_NS0_12zip_iteratorINS5_IJN6thrust23THRUST_200600_302600_NS6detail15normal_iteratorINSC_10device_ptrIKyEEEESI_EEEEESK_NSA_INS5_IJNSE_INSF_IyEEEESM_EEEEEPS7_SP_SP_NSC_11hip_rocprim7__merge17predicate_wrapperIyyNSC_4lessImEEEEEE10hipError_tPvRmT0_T1_T2_T3_T4_T5_mmT6_P12ihipStream_tbEUlT_E_NS1_11comp_targetILNS1_3genE3ELNS1_11target_archE908ELNS1_3gpuE7ELNS1_3repE0EEENS1_30default_config_static_selectorELNS0_4arch9wavefront6targetE0EEEvS10_: ; @_ZN7rocprim17ROCPRIM_400000_NS6detail17trampoline_kernelINS0_14default_configENS1_21merge_config_selectorINS0_5tupleIJyyEEENS0_10empty_typeEEEZNS1_10merge_implIS3_NS0_12zip_iteratorINS5_IJN6thrust23THRUST_200600_302600_NS6detail15normal_iteratorINSC_10device_ptrIKyEEEESI_EEEEESK_NSA_INS5_IJNSE_INSF_IyEEEESM_EEEEEPS7_SP_SP_NSC_11hip_rocprim7__merge17predicate_wrapperIyyNSC_4lessImEEEEEE10hipError_tPvRmT0_T1_T2_T3_T4_T5_mmT6_P12ihipStream_tbEUlT_E_NS1_11comp_targetILNS1_3genE3ELNS1_11target_archE908ELNS1_3gpuE7ELNS1_3repE0EEENS1_30default_config_static_selectorELNS0_4arch9wavefront6targetE0EEEvS10_
; %bb.0:
	.section	.rodata,"a",@progbits
	.p2align	6, 0x0
	.amdhsa_kernel _ZN7rocprim17ROCPRIM_400000_NS6detail17trampoline_kernelINS0_14default_configENS1_21merge_config_selectorINS0_5tupleIJyyEEENS0_10empty_typeEEEZNS1_10merge_implIS3_NS0_12zip_iteratorINS5_IJN6thrust23THRUST_200600_302600_NS6detail15normal_iteratorINSC_10device_ptrIKyEEEESI_EEEEESK_NSA_INS5_IJNSE_INSF_IyEEEESM_EEEEEPS7_SP_SP_NSC_11hip_rocprim7__merge17predicate_wrapperIyyNSC_4lessImEEEEEE10hipError_tPvRmT0_T1_T2_T3_T4_T5_mmT6_P12ihipStream_tbEUlT_E_NS1_11comp_targetILNS1_3genE3ELNS1_11target_archE908ELNS1_3gpuE7ELNS1_3repE0EEENS1_30default_config_static_selectorELNS0_4arch9wavefront6targetE0EEEvS10_
		.amdhsa_group_segment_fixed_size 0
		.amdhsa_private_segment_fixed_size 0
		.amdhsa_kernarg_size 64
		.amdhsa_user_sgpr_count 6
		.amdhsa_user_sgpr_private_segment_buffer 1
		.amdhsa_user_sgpr_dispatch_ptr 0
		.amdhsa_user_sgpr_queue_ptr 0
		.amdhsa_user_sgpr_kernarg_segment_ptr 1
		.amdhsa_user_sgpr_dispatch_id 0
		.amdhsa_user_sgpr_flat_scratch_init 0
		.amdhsa_user_sgpr_private_segment_size 0
		.amdhsa_wavefront_size32 1
		.amdhsa_uses_dynamic_stack 0
		.amdhsa_system_sgpr_private_segment_wavefront_offset 0
		.amdhsa_system_sgpr_workgroup_id_x 1
		.amdhsa_system_sgpr_workgroup_id_y 0
		.amdhsa_system_sgpr_workgroup_id_z 0
		.amdhsa_system_sgpr_workgroup_info 0
		.amdhsa_system_vgpr_workitem_id 0
		.amdhsa_next_free_vgpr 1
		.amdhsa_next_free_sgpr 1
		.amdhsa_reserve_vcc 0
		.amdhsa_reserve_flat_scratch 0
		.amdhsa_float_round_mode_32 0
		.amdhsa_float_round_mode_16_64 0
		.amdhsa_float_denorm_mode_32 3
		.amdhsa_float_denorm_mode_16_64 3
		.amdhsa_dx10_clamp 1
		.amdhsa_ieee_mode 1
		.amdhsa_fp16_overflow 0
		.amdhsa_workgroup_processor_mode 1
		.amdhsa_memory_ordered 1
		.amdhsa_forward_progress 1
		.amdhsa_shared_vgpr_count 0
		.amdhsa_exception_fp_ieee_invalid_op 0
		.amdhsa_exception_fp_denorm_src 0
		.amdhsa_exception_fp_ieee_div_zero 0
		.amdhsa_exception_fp_ieee_overflow 0
		.amdhsa_exception_fp_ieee_underflow 0
		.amdhsa_exception_fp_ieee_inexact 0
		.amdhsa_exception_int_div_zero 0
	.end_amdhsa_kernel
	.section	.text._ZN7rocprim17ROCPRIM_400000_NS6detail17trampoline_kernelINS0_14default_configENS1_21merge_config_selectorINS0_5tupleIJyyEEENS0_10empty_typeEEEZNS1_10merge_implIS3_NS0_12zip_iteratorINS5_IJN6thrust23THRUST_200600_302600_NS6detail15normal_iteratorINSC_10device_ptrIKyEEEESI_EEEEESK_NSA_INS5_IJNSE_INSF_IyEEEESM_EEEEEPS7_SP_SP_NSC_11hip_rocprim7__merge17predicate_wrapperIyyNSC_4lessImEEEEEE10hipError_tPvRmT0_T1_T2_T3_T4_T5_mmT6_P12ihipStream_tbEUlT_E_NS1_11comp_targetILNS1_3genE3ELNS1_11target_archE908ELNS1_3gpuE7ELNS1_3repE0EEENS1_30default_config_static_selectorELNS0_4arch9wavefront6targetE0EEEvS10_,"axG",@progbits,_ZN7rocprim17ROCPRIM_400000_NS6detail17trampoline_kernelINS0_14default_configENS1_21merge_config_selectorINS0_5tupleIJyyEEENS0_10empty_typeEEEZNS1_10merge_implIS3_NS0_12zip_iteratorINS5_IJN6thrust23THRUST_200600_302600_NS6detail15normal_iteratorINSC_10device_ptrIKyEEEESI_EEEEESK_NSA_INS5_IJNSE_INSF_IyEEEESM_EEEEEPS7_SP_SP_NSC_11hip_rocprim7__merge17predicate_wrapperIyyNSC_4lessImEEEEEE10hipError_tPvRmT0_T1_T2_T3_T4_T5_mmT6_P12ihipStream_tbEUlT_E_NS1_11comp_targetILNS1_3genE3ELNS1_11target_archE908ELNS1_3gpuE7ELNS1_3repE0EEENS1_30default_config_static_selectorELNS0_4arch9wavefront6targetE0EEEvS10_,comdat
.Lfunc_end464:
	.size	_ZN7rocprim17ROCPRIM_400000_NS6detail17trampoline_kernelINS0_14default_configENS1_21merge_config_selectorINS0_5tupleIJyyEEENS0_10empty_typeEEEZNS1_10merge_implIS3_NS0_12zip_iteratorINS5_IJN6thrust23THRUST_200600_302600_NS6detail15normal_iteratorINSC_10device_ptrIKyEEEESI_EEEEESK_NSA_INS5_IJNSE_INSF_IyEEEESM_EEEEEPS7_SP_SP_NSC_11hip_rocprim7__merge17predicate_wrapperIyyNSC_4lessImEEEEEE10hipError_tPvRmT0_T1_T2_T3_T4_T5_mmT6_P12ihipStream_tbEUlT_E_NS1_11comp_targetILNS1_3genE3ELNS1_11target_archE908ELNS1_3gpuE7ELNS1_3repE0EEENS1_30default_config_static_selectorELNS0_4arch9wavefront6targetE0EEEvS10_, .Lfunc_end464-_ZN7rocprim17ROCPRIM_400000_NS6detail17trampoline_kernelINS0_14default_configENS1_21merge_config_selectorINS0_5tupleIJyyEEENS0_10empty_typeEEEZNS1_10merge_implIS3_NS0_12zip_iteratorINS5_IJN6thrust23THRUST_200600_302600_NS6detail15normal_iteratorINSC_10device_ptrIKyEEEESI_EEEEESK_NSA_INS5_IJNSE_INSF_IyEEEESM_EEEEEPS7_SP_SP_NSC_11hip_rocprim7__merge17predicate_wrapperIyyNSC_4lessImEEEEEE10hipError_tPvRmT0_T1_T2_T3_T4_T5_mmT6_P12ihipStream_tbEUlT_E_NS1_11comp_targetILNS1_3genE3ELNS1_11target_archE908ELNS1_3gpuE7ELNS1_3repE0EEENS1_30default_config_static_selectorELNS0_4arch9wavefront6targetE0EEEvS10_
                                        ; -- End function
	.set _ZN7rocprim17ROCPRIM_400000_NS6detail17trampoline_kernelINS0_14default_configENS1_21merge_config_selectorINS0_5tupleIJyyEEENS0_10empty_typeEEEZNS1_10merge_implIS3_NS0_12zip_iteratorINS5_IJN6thrust23THRUST_200600_302600_NS6detail15normal_iteratorINSC_10device_ptrIKyEEEESI_EEEEESK_NSA_INS5_IJNSE_INSF_IyEEEESM_EEEEEPS7_SP_SP_NSC_11hip_rocprim7__merge17predicate_wrapperIyyNSC_4lessImEEEEEE10hipError_tPvRmT0_T1_T2_T3_T4_T5_mmT6_P12ihipStream_tbEUlT_E_NS1_11comp_targetILNS1_3genE3ELNS1_11target_archE908ELNS1_3gpuE7ELNS1_3repE0EEENS1_30default_config_static_selectorELNS0_4arch9wavefront6targetE0EEEvS10_.num_vgpr, 0
	.set _ZN7rocprim17ROCPRIM_400000_NS6detail17trampoline_kernelINS0_14default_configENS1_21merge_config_selectorINS0_5tupleIJyyEEENS0_10empty_typeEEEZNS1_10merge_implIS3_NS0_12zip_iteratorINS5_IJN6thrust23THRUST_200600_302600_NS6detail15normal_iteratorINSC_10device_ptrIKyEEEESI_EEEEESK_NSA_INS5_IJNSE_INSF_IyEEEESM_EEEEEPS7_SP_SP_NSC_11hip_rocprim7__merge17predicate_wrapperIyyNSC_4lessImEEEEEE10hipError_tPvRmT0_T1_T2_T3_T4_T5_mmT6_P12ihipStream_tbEUlT_E_NS1_11comp_targetILNS1_3genE3ELNS1_11target_archE908ELNS1_3gpuE7ELNS1_3repE0EEENS1_30default_config_static_selectorELNS0_4arch9wavefront6targetE0EEEvS10_.num_agpr, 0
	.set _ZN7rocprim17ROCPRIM_400000_NS6detail17trampoline_kernelINS0_14default_configENS1_21merge_config_selectorINS0_5tupleIJyyEEENS0_10empty_typeEEEZNS1_10merge_implIS3_NS0_12zip_iteratorINS5_IJN6thrust23THRUST_200600_302600_NS6detail15normal_iteratorINSC_10device_ptrIKyEEEESI_EEEEESK_NSA_INS5_IJNSE_INSF_IyEEEESM_EEEEEPS7_SP_SP_NSC_11hip_rocprim7__merge17predicate_wrapperIyyNSC_4lessImEEEEEE10hipError_tPvRmT0_T1_T2_T3_T4_T5_mmT6_P12ihipStream_tbEUlT_E_NS1_11comp_targetILNS1_3genE3ELNS1_11target_archE908ELNS1_3gpuE7ELNS1_3repE0EEENS1_30default_config_static_selectorELNS0_4arch9wavefront6targetE0EEEvS10_.numbered_sgpr, 0
	.set _ZN7rocprim17ROCPRIM_400000_NS6detail17trampoline_kernelINS0_14default_configENS1_21merge_config_selectorINS0_5tupleIJyyEEENS0_10empty_typeEEEZNS1_10merge_implIS3_NS0_12zip_iteratorINS5_IJN6thrust23THRUST_200600_302600_NS6detail15normal_iteratorINSC_10device_ptrIKyEEEESI_EEEEESK_NSA_INS5_IJNSE_INSF_IyEEEESM_EEEEEPS7_SP_SP_NSC_11hip_rocprim7__merge17predicate_wrapperIyyNSC_4lessImEEEEEE10hipError_tPvRmT0_T1_T2_T3_T4_T5_mmT6_P12ihipStream_tbEUlT_E_NS1_11comp_targetILNS1_3genE3ELNS1_11target_archE908ELNS1_3gpuE7ELNS1_3repE0EEENS1_30default_config_static_selectorELNS0_4arch9wavefront6targetE0EEEvS10_.num_named_barrier, 0
	.set _ZN7rocprim17ROCPRIM_400000_NS6detail17trampoline_kernelINS0_14default_configENS1_21merge_config_selectorINS0_5tupleIJyyEEENS0_10empty_typeEEEZNS1_10merge_implIS3_NS0_12zip_iteratorINS5_IJN6thrust23THRUST_200600_302600_NS6detail15normal_iteratorINSC_10device_ptrIKyEEEESI_EEEEESK_NSA_INS5_IJNSE_INSF_IyEEEESM_EEEEEPS7_SP_SP_NSC_11hip_rocprim7__merge17predicate_wrapperIyyNSC_4lessImEEEEEE10hipError_tPvRmT0_T1_T2_T3_T4_T5_mmT6_P12ihipStream_tbEUlT_E_NS1_11comp_targetILNS1_3genE3ELNS1_11target_archE908ELNS1_3gpuE7ELNS1_3repE0EEENS1_30default_config_static_selectorELNS0_4arch9wavefront6targetE0EEEvS10_.private_seg_size, 0
	.set _ZN7rocprim17ROCPRIM_400000_NS6detail17trampoline_kernelINS0_14default_configENS1_21merge_config_selectorINS0_5tupleIJyyEEENS0_10empty_typeEEEZNS1_10merge_implIS3_NS0_12zip_iteratorINS5_IJN6thrust23THRUST_200600_302600_NS6detail15normal_iteratorINSC_10device_ptrIKyEEEESI_EEEEESK_NSA_INS5_IJNSE_INSF_IyEEEESM_EEEEEPS7_SP_SP_NSC_11hip_rocprim7__merge17predicate_wrapperIyyNSC_4lessImEEEEEE10hipError_tPvRmT0_T1_T2_T3_T4_T5_mmT6_P12ihipStream_tbEUlT_E_NS1_11comp_targetILNS1_3genE3ELNS1_11target_archE908ELNS1_3gpuE7ELNS1_3repE0EEENS1_30default_config_static_selectorELNS0_4arch9wavefront6targetE0EEEvS10_.uses_vcc, 0
	.set _ZN7rocprim17ROCPRIM_400000_NS6detail17trampoline_kernelINS0_14default_configENS1_21merge_config_selectorINS0_5tupleIJyyEEENS0_10empty_typeEEEZNS1_10merge_implIS3_NS0_12zip_iteratorINS5_IJN6thrust23THRUST_200600_302600_NS6detail15normal_iteratorINSC_10device_ptrIKyEEEESI_EEEEESK_NSA_INS5_IJNSE_INSF_IyEEEESM_EEEEEPS7_SP_SP_NSC_11hip_rocprim7__merge17predicate_wrapperIyyNSC_4lessImEEEEEE10hipError_tPvRmT0_T1_T2_T3_T4_T5_mmT6_P12ihipStream_tbEUlT_E_NS1_11comp_targetILNS1_3genE3ELNS1_11target_archE908ELNS1_3gpuE7ELNS1_3repE0EEENS1_30default_config_static_selectorELNS0_4arch9wavefront6targetE0EEEvS10_.uses_flat_scratch, 0
	.set _ZN7rocprim17ROCPRIM_400000_NS6detail17trampoline_kernelINS0_14default_configENS1_21merge_config_selectorINS0_5tupleIJyyEEENS0_10empty_typeEEEZNS1_10merge_implIS3_NS0_12zip_iteratorINS5_IJN6thrust23THRUST_200600_302600_NS6detail15normal_iteratorINSC_10device_ptrIKyEEEESI_EEEEESK_NSA_INS5_IJNSE_INSF_IyEEEESM_EEEEEPS7_SP_SP_NSC_11hip_rocprim7__merge17predicate_wrapperIyyNSC_4lessImEEEEEE10hipError_tPvRmT0_T1_T2_T3_T4_T5_mmT6_P12ihipStream_tbEUlT_E_NS1_11comp_targetILNS1_3genE3ELNS1_11target_archE908ELNS1_3gpuE7ELNS1_3repE0EEENS1_30default_config_static_selectorELNS0_4arch9wavefront6targetE0EEEvS10_.has_dyn_sized_stack, 0
	.set _ZN7rocprim17ROCPRIM_400000_NS6detail17trampoline_kernelINS0_14default_configENS1_21merge_config_selectorINS0_5tupleIJyyEEENS0_10empty_typeEEEZNS1_10merge_implIS3_NS0_12zip_iteratorINS5_IJN6thrust23THRUST_200600_302600_NS6detail15normal_iteratorINSC_10device_ptrIKyEEEESI_EEEEESK_NSA_INS5_IJNSE_INSF_IyEEEESM_EEEEEPS7_SP_SP_NSC_11hip_rocprim7__merge17predicate_wrapperIyyNSC_4lessImEEEEEE10hipError_tPvRmT0_T1_T2_T3_T4_T5_mmT6_P12ihipStream_tbEUlT_E_NS1_11comp_targetILNS1_3genE3ELNS1_11target_archE908ELNS1_3gpuE7ELNS1_3repE0EEENS1_30default_config_static_selectorELNS0_4arch9wavefront6targetE0EEEvS10_.has_recursion, 0
	.set _ZN7rocprim17ROCPRIM_400000_NS6detail17trampoline_kernelINS0_14default_configENS1_21merge_config_selectorINS0_5tupleIJyyEEENS0_10empty_typeEEEZNS1_10merge_implIS3_NS0_12zip_iteratorINS5_IJN6thrust23THRUST_200600_302600_NS6detail15normal_iteratorINSC_10device_ptrIKyEEEESI_EEEEESK_NSA_INS5_IJNSE_INSF_IyEEEESM_EEEEEPS7_SP_SP_NSC_11hip_rocprim7__merge17predicate_wrapperIyyNSC_4lessImEEEEEE10hipError_tPvRmT0_T1_T2_T3_T4_T5_mmT6_P12ihipStream_tbEUlT_E_NS1_11comp_targetILNS1_3genE3ELNS1_11target_archE908ELNS1_3gpuE7ELNS1_3repE0EEENS1_30default_config_static_selectorELNS0_4arch9wavefront6targetE0EEEvS10_.has_indirect_call, 0
	.section	.AMDGPU.csdata,"",@progbits
; Kernel info:
; codeLenInByte = 0
; TotalNumSgprs: 0
; NumVgprs: 0
; ScratchSize: 0
; MemoryBound: 0
; FloatMode: 240
; IeeeMode: 1
; LDSByteSize: 0 bytes/workgroup (compile time only)
; SGPRBlocks: 0
; VGPRBlocks: 0
; NumSGPRsForWavesPerEU: 1
; NumVGPRsForWavesPerEU: 1
; Occupancy: 16
; WaveLimiterHint : 0
; COMPUTE_PGM_RSRC2:SCRATCH_EN: 0
; COMPUTE_PGM_RSRC2:USER_SGPR: 6
; COMPUTE_PGM_RSRC2:TRAP_HANDLER: 0
; COMPUTE_PGM_RSRC2:TGID_X_EN: 1
; COMPUTE_PGM_RSRC2:TGID_Y_EN: 0
; COMPUTE_PGM_RSRC2:TGID_Z_EN: 0
; COMPUTE_PGM_RSRC2:TIDIG_COMP_CNT: 0
	.section	.text._ZN7rocprim17ROCPRIM_400000_NS6detail17trampoline_kernelINS0_14default_configENS1_21merge_config_selectorINS0_5tupleIJyyEEENS0_10empty_typeEEEZNS1_10merge_implIS3_NS0_12zip_iteratorINS5_IJN6thrust23THRUST_200600_302600_NS6detail15normal_iteratorINSC_10device_ptrIKyEEEESI_EEEEESK_NSA_INS5_IJNSE_INSF_IyEEEESM_EEEEEPS7_SP_SP_NSC_11hip_rocprim7__merge17predicate_wrapperIyyNSC_4lessImEEEEEE10hipError_tPvRmT0_T1_T2_T3_T4_T5_mmT6_P12ihipStream_tbEUlT_E_NS1_11comp_targetILNS1_3genE2ELNS1_11target_archE906ELNS1_3gpuE6ELNS1_3repE0EEENS1_30default_config_static_selectorELNS0_4arch9wavefront6targetE0EEEvS10_,"axG",@progbits,_ZN7rocprim17ROCPRIM_400000_NS6detail17trampoline_kernelINS0_14default_configENS1_21merge_config_selectorINS0_5tupleIJyyEEENS0_10empty_typeEEEZNS1_10merge_implIS3_NS0_12zip_iteratorINS5_IJN6thrust23THRUST_200600_302600_NS6detail15normal_iteratorINSC_10device_ptrIKyEEEESI_EEEEESK_NSA_INS5_IJNSE_INSF_IyEEEESM_EEEEEPS7_SP_SP_NSC_11hip_rocprim7__merge17predicate_wrapperIyyNSC_4lessImEEEEEE10hipError_tPvRmT0_T1_T2_T3_T4_T5_mmT6_P12ihipStream_tbEUlT_E_NS1_11comp_targetILNS1_3genE2ELNS1_11target_archE906ELNS1_3gpuE6ELNS1_3repE0EEENS1_30default_config_static_selectorELNS0_4arch9wavefront6targetE0EEEvS10_,comdat
	.protected	_ZN7rocprim17ROCPRIM_400000_NS6detail17trampoline_kernelINS0_14default_configENS1_21merge_config_selectorINS0_5tupleIJyyEEENS0_10empty_typeEEEZNS1_10merge_implIS3_NS0_12zip_iteratorINS5_IJN6thrust23THRUST_200600_302600_NS6detail15normal_iteratorINSC_10device_ptrIKyEEEESI_EEEEESK_NSA_INS5_IJNSE_INSF_IyEEEESM_EEEEEPS7_SP_SP_NSC_11hip_rocprim7__merge17predicate_wrapperIyyNSC_4lessImEEEEEE10hipError_tPvRmT0_T1_T2_T3_T4_T5_mmT6_P12ihipStream_tbEUlT_E_NS1_11comp_targetILNS1_3genE2ELNS1_11target_archE906ELNS1_3gpuE6ELNS1_3repE0EEENS1_30default_config_static_selectorELNS0_4arch9wavefront6targetE0EEEvS10_ ; -- Begin function _ZN7rocprim17ROCPRIM_400000_NS6detail17trampoline_kernelINS0_14default_configENS1_21merge_config_selectorINS0_5tupleIJyyEEENS0_10empty_typeEEEZNS1_10merge_implIS3_NS0_12zip_iteratorINS5_IJN6thrust23THRUST_200600_302600_NS6detail15normal_iteratorINSC_10device_ptrIKyEEEESI_EEEEESK_NSA_INS5_IJNSE_INSF_IyEEEESM_EEEEEPS7_SP_SP_NSC_11hip_rocprim7__merge17predicate_wrapperIyyNSC_4lessImEEEEEE10hipError_tPvRmT0_T1_T2_T3_T4_T5_mmT6_P12ihipStream_tbEUlT_E_NS1_11comp_targetILNS1_3genE2ELNS1_11target_archE906ELNS1_3gpuE6ELNS1_3repE0EEENS1_30default_config_static_selectorELNS0_4arch9wavefront6targetE0EEEvS10_
	.globl	_ZN7rocprim17ROCPRIM_400000_NS6detail17trampoline_kernelINS0_14default_configENS1_21merge_config_selectorINS0_5tupleIJyyEEENS0_10empty_typeEEEZNS1_10merge_implIS3_NS0_12zip_iteratorINS5_IJN6thrust23THRUST_200600_302600_NS6detail15normal_iteratorINSC_10device_ptrIKyEEEESI_EEEEESK_NSA_INS5_IJNSE_INSF_IyEEEESM_EEEEEPS7_SP_SP_NSC_11hip_rocprim7__merge17predicate_wrapperIyyNSC_4lessImEEEEEE10hipError_tPvRmT0_T1_T2_T3_T4_T5_mmT6_P12ihipStream_tbEUlT_E_NS1_11comp_targetILNS1_3genE2ELNS1_11target_archE906ELNS1_3gpuE6ELNS1_3repE0EEENS1_30default_config_static_selectorELNS0_4arch9wavefront6targetE0EEEvS10_
	.p2align	8
	.type	_ZN7rocprim17ROCPRIM_400000_NS6detail17trampoline_kernelINS0_14default_configENS1_21merge_config_selectorINS0_5tupleIJyyEEENS0_10empty_typeEEEZNS1_10merge_implIS3_NS0_12zip_iteratorINS5_IJN6thrust23THRUST_200600_302600_NS6detail15normal_iteratorINSC_10device_ptrIKyEEEESI_EEEEESK_NSA_INS5_IJNSE_INSF_IyEEEESM_EEEEEPS7_SP_SP_NSC_11hip_rocprim7__merge17predicate_wrapperIyyNSC_4lessImEEEEEE10hipError_tPvRmT0_T1_T2_T3_T4_T5_mmT6_P12ihipStream_tbEUlT_E_NS1_11comp_targetILNS1_3genE2ELNS1_11target_archE906ELNS1_3gpuE6ELNS1_3repE0EEENS1_30default_config_static_selectorELNS0_4arch9wavefront6targetE0EEEvS10_,@function
_ZN7rocprim17ROCPRIM_400000_NS6detail17trampoline_kernelINS0_14default_configENS1_21merge_config_selectorINS0_5tupleIJyyEEENS0_10empty_typeEEEZNS1_10merge_implIS3_NS0_12zip_iteratorINS5_IJN6thrust23THRUST_200600_302600_NS6detail15normal_iteratorINSC_10device_ptrIKyEEEESI_EEEEESK_NSA_INS5_IJNSE_INSF_IyEEEESM_EEEEEPS7_SP_SP_NSC_11hip_rocprim7__merge17predicate_wrapperIyyNSC_4lessImEEEEEE10hipError_tPvRmT0_T1_T2_T3_T4_T5_mmT6_P12ihipStream_tbEUlT_E_NS1_11comp_targetILNS1_3genE2ELNS1_11target_archE906ELNS1_3gpuE6ELNS1_3repE0EEENS1_30default_config_static_selectorELNS0_4arch9wavefront6targetE0EEEvS10_: ; @_ZN7rocprim17ROCPRIM_400000_NS6detail17trampoline_kernelINS0_14default_configENS1_21merge_config_selectorINS0_5tupleIJyyEEENS0_10empty_typeEEEZNS1_10merge_implIS3_NS0_12zip_iteratorINS5_IJN6thrust23THRUST_200600_302600_NS6detail15normal_iteratorINSC_10device_ptrIKyEEEESI_EEEEESK_NSA_INS5_IJNSE_INSF_IyEEEESM_EEEEEPS7_SP_SP_NSC_11hip_rocprim7__merge17predicate_wrapperIyyNSC_4lessImEEEEEE10hipError_tPvRmT0_T1_T2_T3_T4_T5_mmT6_P12ihipStream_tbEUlT_E_NS1_11comp_targetILNS1_3genE2ELNS1_11target_archE906ELNS1_3gpuE6ELNS1_3repE0EEENS1_30default_config_static_selectorELNS0_4arch9wavefront6targetE0EEEvS10_
; %bb.0:
	.section	.rodata,"a",@progbits
	.p2align	6, 0x0
	.amdhsa_kernel _ZN7rocprim17ROCPRIM_400000_NS6detail17trampoline_kernelINS0_14default_configENS1_21merge_config_selectorINS0_5tupleIJyyEEENS0_10empty_typeEEEZNS1_10merge_implIS3_NS0_12zip_iteratorINS5_IJN6thrust23THRUST_200600_302600_NS6detail15normal_iteratorINSC_10device_ptrIKyEEEESI_EEEEESK_NSA_INS5_IJNSE_INSF_IyEEEESM_EEEEEPS7_SP_SP_NSC_11hip_rocprim7__merge17predicate_wrapperIyyNSC_4lessImEEEEEE10hipError_tPvRmT0_T1_T2_T3_T4_T5_mmT6_P12ihipStream_tbEUlT_E_NS1_11comp_targetILNS1_3genE2ELNS1_11target_archE906ELNS1_3gpuE6ELNS1_3repE0EEENS1_30default_config_static_selectorELNS0_4arch9wavefront6targetE0EEEvS10_
		.amdhsa_group_segment_fixed_size 0
		.amdhsa_private_segment_fixed_size 0
		.amdhsa_kernarg_size 64
		.amdhsa_user_sgpr_count 6
		.amdhsa_user_sgpr_private_segment_buffer 1
		.amdhsa_user_sgpr_dispatch_ptr 0
		.amdhsa_user_sgpr_queue_ptr 0
		.amdhsa_user_sgpr_kernarg_segment_ptr 1
		.amdhsa_user_sgpr_dispatch_id 0
		.amdhsa_user_sgpr_flat_scratch_init 0
		.amdhsa_user_sgpr_private_segment_size 0
		.amdhsa_wavefront_size32 1
		.amdhsa_uses_dynamic_stack 0
		.amdhsa_system_sgpr_private_segment_wavefront_offset 0
		.amdhsa_system_sgpr_workgroup_id_x 1
		.amdhsa_system_sgpr_workgroup_id_y 0
		.amdhsa_system_sgpr_workgroup_id_z 0
		.amdhsa_system_sgpr_workgroup_info 0
		.amdhsa_system_vgpr_workitem_id 0
		.amdhsa_next_free_vgpr 1
		.amdhsa_next_free_sgpr 1
		.amdhsa_reserve_vcc 0
		.amdhsa_reserve_flat_scratch 0
		.amdhsa_float_round_mode_32 0
		.amdhsa_float_round_mode_16_64 0
		.amdhsa_float_denorm_mode_32 3
		.amdhsa_float_denorm_mode_16_64 3
		.amdhsa_dx10_clamp 1
		.amdhsa_ieee_mode 1
		.amdhsa_fp16_overflow 0
		.amdhsa_workgroup_processor_mode 1
		.amdhsa_memory_ordered 1
		.amdhsa_forward_progress 1
		.amdhsa_shared_vgpr_count 0
		.amdhsa_exception_fp_ieee_invalid_op 0
		.amdhsa_exception_fp_denorm_src 0
		.amdhsa_exception_fp_ieee_div_zero 0
		.amdhsa_exception_fp_ieee_overflow 0
		.amdhsa_exception_fp_ieee_underflow 0
		.amdhsa_exception_fp_ieee_inexact 0
		.amdhsa_exception_int_div_zero 0
	.end_amdhsa_kernel
	.section	.text._ZN7rocprim17ROCPRIM_400000_NS6detail17trampoline_kernelINS0_14default_configENS1_21merge_config_selectorINS0_5tupleIJyyEEENS0_10empty_typeEEEZNS1_10merge_implIS3_NS0_12zip_iteratorINS5_IJN6thrust23THRUST_200600_302600_NS6detail15normal_iteratorINSC_10device_ptrIKyEEEESI_EEEEESK_NSA_INS5_IJNSE_INSF_IyEEEESM_EEEEEPS7_SP_SP_NSC_11hip_rocprim7__merge17predicate_wrapperIyyNSC_4lessImEEEEEE10hipError_tPvRmT0_T1_T2_T3_T4_T5_mmT6_P12ihipStream_tbEUlT_E_NS1_11comp_targetILNS1_3genE2ELNS1_11target_archE906ELNS1_3gpuE6ELNS1_3repE0EEENS1_30default_config_static_selectorELNS0_4arch9wavefront6targetE0EEEvS10_,"axG",@progbits,_ZN7rocprim17ROCPRIM_400000_NS6detail17trampoline_kernelINS0_14default_configENS1_21merge_config_selectorINS0_5tupleIJyyEEENS0_10empty_typeEEEZNS1_10merge_implIS3_NS0_12zip_iteratorINS5_IJN6thrust23THRUST_200600_302600_NS6detail15normal_iteratorINSC_10device_ptrIKyEEEESI_EEEEESK_NSA_INS5_IJNSE_INSF_IyEEEESM_EEEEEPS7_SP_SP_NSC_11hip_rocprim7__merge17predicate_wrapperIyyNSC_4lessImEEEEEE10hipError_tPvRmT0_T1_T2_T3_T4_T5_mmT6_P12ihipStream_tbEUlT_E_NS1_11comp_targetILNS1_3genE2ELNS1_11target_archE906ELNS1_3gpuE6ELNS1_3repE0EEENS1_30default_config_static_selectorELNS0_4arch9wavefront6targetE0EEEvS10_,comdat
.Lfunc_end465:
	.size	_ZN7rocprim17ROCPRIM_400000_NS6detail17trampoline_kernelINS0_14default_configENS1_21merge_config_selectorINS0_5tupleIJyyEEENS0_10empty_typeEEEZNS1_10merge_implIS3_NS0_12zip_iteratorINS5_IJN6thrust23THRUST_200600_302600_NS6detail15normal_iteratorINSC_10device_ptrIKyEEEESI_EEEEESK_NSA_INS5_IJNSE_INSF_IyEEEESM_EEEEEPS7_SP_SP_NSC_11hip_rocprim7__merge17predicate_wrapperIyyNSC_4lessImEEEEEE10hipError_tPvRmT0_T1_T2_T3_T4_T5_mmT6_P12ihipStream_tbEUlT_E_NS1_11comp_targetILNS1_3genE2ELNS1_11target_archE906ELNS1_3gpuE6ELNS1_3repE0EEENS1_30default_config_static_selectorELNS0_4arch9wavefront6targetE0EEEvS10_, .Lfunc_end465-_ZN7rocprim17ROCPRIM_400000_NS6detail17trampoline_kernelINS0_14default_configENS1_21merge_config_selectorINS0_5tupleIJyyEEENS0_10empty_typeEEEZNS1_10merge_implIS3_NS0_12zip_iteratorINS5_IJN6thrust23THRUST_200600_302600_NS6detail15normal_iteratorINSC_10device_ptrIKyEEEESI_EEEEESK_NSA_INS5_IJNSE_INSF_IyEEEESM_EEEEEPS7_SP_SP_NSC_11hip_rocprim7__merge17predicate_wrapperIyyNSC_4lessImEEEEEE10hipError_tPvRmT0_T1_T2_T3_T4_T5_mmT6_P12ihipStream_tbEUlT_E_NS1_11comp_targetILNS1_3genE2ELNS1_11target_archE906ELNS1_3gpuE6ELNS1_3repE0EEENS1_30default_config_static_selectorELNS0_4arch9wavefront6targetE0EEEvS10_
                                        ; -- End function
	.set _ZN7rocprim17ROCPRIM_400000_NS6detail17trampoline_kernelINS0_14default_configENS1_21merge_config_selectorINS0_5tupleIJyyEEENS0_10empty_typeEEEZNS1_10merge_implIS3_NS0_12zip_iteratorINS5_IJN6thrust23THRUST_200600_302600_NS6detail15normal_iteratorINSC_10device_ptrIKyEEEESI_EEEEESK_NSA_INS5_IJNSE_INSF_IyEEEESM_EEEEEPS7_SP_SP_NSC_11hip_rocprim7__merge17predicate_wrapperIyyNSC_4lessImEEEEEE10hipError_tPvRmT0_T1_T2_T3_T4_T5_mmT6_P12ihipStream_tbEUlT_E_NS1_11comp_targetILNS1_3genE2ELNS1_11target_archE906ELNS1_3gpuE6ELNS1_3repE0EEENS1_30default_config_static_selectorELNS0_4arch9wavefront6targetE0EEEvS10_.num_vgpr, 0
	.set _ZN7rocprim17ROCPRIM_400000_NS6detail17trampoline_kernelINS0_14default_configENS1_21merge_config_selectorINS0_5tupleIJyyEEENS0_10empty_typeEEEZNS1_10merge_implIS3_NS0_12zip_iteratorINS5_IJN6thrust23THRUST_200600_302600_NS6detail15normal_iteratorINSC_10device_ptrIKyEEEESI_EEEEESK_NSA_INS5_IJNSE_INSF_IyEEEESM_EEEEEPS7_SP_SP_NSC_11hip_rocprim7__merge17predicate_wrapperIyyNSC_4lessImEEEEEE10hipError_tPvRmT0_T1_T2_T3_T4_T5_mmT6_P12ihipStream_tbEUlT_E_NS1_11comp_targetILNS1_3genE2ELNS1_11target_archE906ELNS1_3gpuE6ELNS1_3repE0EEENS1_30default_config_static_selectorELNS0_4arch9wavefront6targetE0EEEvS10_.num_agpr, 0
	.set _ZN7rocprim17ROCPRIM_400000_NS6detail17trampoline_kernelINS0_14default_configENS1_21merge_config_selectorINS0_5tupleIJyyEEENS0_10empty_typeEEEZNS1_10merge_implIS3_NS0_12zip_iteratorINS5_IJN6thrust23THRUST_200600_302600_NS6detail15normal_iteratorINSC_10device_ptrIKyEEEESI_EEEEESK_NSA_INS5_IJNSE_INSF_IyEEEESM_EEEEEPS7_SP_SP_NSC_11hip_rocprim7__merge17predicate_wrapperIyyNSC_4lessImEEEEEE10hipError_tPvRmT0_T1_T2_T3_T4_T5_mmT6_P12ihipStream_tbEUlT_E_NS1_11comp_targetILNS1_3genE2ELNS1_11target_archE906ELNS1_3gpuE6ELNS1_3repE0EEENS1_30default_config_static_selectorELNS0_4arch9wavefront6targetE0EEEvS10_.numbered_sgpr, 0
	.set _ZN7rocprim17ROCPRIM_400000_NS6detail17trampoline_kernelINS0_14default_configENS1_21merge_config_selectorINS0_5tupleIJyyEEENS0_10empty_typeEEEZNS1_10merge_implIS3_NS0_12zip_iteratorINS5_IJN6thrust23THRUST_200600_302600_NS6detail15normal_iteratorINSC_10device_ptrIKyEEEESI_EEEEESK_NSA_INS5_IJNSE_INSF_IyEEEESM_EEEEEPS7_SP_SP_NSC_11hip_rocprim7__merge17predicate_wrapperIyyNSC_4lessImEEEEEE10hipError_tPvRmT0_T1_T2_T3_T4_T5_mmT6_P12ihipStream_tbEUlT_E_NS1_11comp_targetILNS1_3genE2ELNS1_11target_archE906ELNS1_3gpuE6ELNS1_3repE0EEENS1_30default_config_static_selectorELNS0_4arch9wavefront6targetE0EEEvS10_.num_named_barrier, 0
	.set _ZN7rocprim17ROCPRIM_400000_NS6detail17trampoline_kernelINS0_14default_configENS1_21merge_config_selectorINS0_5tupleIJyyEEENS0_10empty_typeEEEZNS1_10merge_implIS3_NS0_12zip_iteratorINS5_IJN6thrust23THRUST_200600_302600_NS6detail15normal_iteratorINSC_10device_ptrIKyEEEESI_EEEEESK_NSA_INS5_IJNSE_INSF_IyEEEESM_EEEEEPS7_SP_SP_NSC_11hip_rocprim7__merge17predicate_wrapperIyyNSC_4lessImEEEEEE10hipError_tPvRmT0_T1_T2_T3_T4_T5_mmT6_P12ihipStream_tbEUlT_E_NS1_11comp_targetILNS1_3genE2ELNS1_11target_archE906ELNS1_3gpuE6ELNS1_3repE0EEENS1_30default_config_static_selectorELNS0_4arch9wavefront6targetE0EEEvS10_.private_seg_size, 0
	.set _ZN7rocprim17ROCPRIM_400000_NS6detail17trampoline_kernelINS0_14default_configENS1_21merge_config_selectorINS0_5tupleIJyyEEENS0_10empty_typeEEEZNS1_10merge_implIS3_NS0_12zip_iteratorINS5_IJN6thrust23THRUST_200600_302600_NS6detail15normal_iteratorINSC_10device_ptrIKyEEEESI_EEEEESK_NSA_INS5_IJNSE_INSF_IyEEEESM_EEEEEPS7_SP_SP_NSC_11hip_rocprim7__merge17predicate_wrapperIyyNSC_4lessImEEEEEE10hipError_tPvRmT0_T1_T2_T3_T4_T5_mmT6_P12ihipStream_tbEUlT_E_NS1_11comp_targetILNS1_3genE2ELNS1_11target_archE906ELNS1_3gpuE6ELNS1_3repE0EEENS1_30default_config_static_selectorELNS0_4arch9wavefront6targetE0EEEvS10_.uses_vcc, 0
	.set _ZN7rocprim17ROCPRIM_400000_NS6detail17trampoline_kernelINS0_14default_configENS1_21merge_config_selectorINS0_5tupleIJyyEEENS0_10empty_typeEEEZNS1_10merge_implIS3_NS0_12zip_iteratorINS5_IJN6thrust23THRUST_200600_302600_NS6detail15normal_iteratorINSC_10device_ptrIKyEEEESI_EEEEESK_NSA_INS5_IJNSE_INSF_IyEEEESM_EEEEEPS7_SP_SP_NSC_11hip_rocprim7__merge17predicate_wrapperIyyNSC_4lessImEEEEEE10hipError_tPvRmT0_T1_T2_T3_T4_T5_mmT6_P12ihipStream_tbEUlT_E_NS1_11comp_targetILNS1_3genE2ELNS1_11target_archE906ELNS1_3gpuE6ELNS1_3repE0EEENS1_30default_config_static_selectorELNS0_4arch9wavefront6targetE0EEEvS10_.uses_flat_scratch, 0
	.set _ZN7rocprim17ROCPRIM_400000_NS6detail17trampoline_kernelINS0_14default_configENS1_21merge_config_selectorINS0_5tupleIJyyEEENS0_10empty_typeEEEZNS1_10merge_implIS3_NS0_12zip_iteratorINS5_IJN6thrust23THRUST_200600_302600_NS6detail15normal_iteratorINSC_10device_ptrIKyEEEESI_EEEEESK_NSA_INS5_IJNSE_INSF_IyEEEESM_EEEEEPS7_SP_SP_NSC_11hip_rocprim7__merge17predicate_wrapperIyyNSC_4lessImEEEEEE10hipError_tPvRmT0_T1_T2_T3_T4_T5_mmT6_P12ihipStream_tbEUlT_E_NS1_11comp_targetILNS1_3genE2ELNS1_11target_archE906ELNS1_3gpuE6ELNS1_3repE0EEENS1_30default_config_static_selectorELNS0_4arch9wavefront6targetE0EEEvS10_.has_dyn_sized_stack, 0
	.set _ZN7rocprim17ROCPRIM_400000_NS6detail17trampoline_kernelINS0_14default_configENS1_21merge_config_selectorINS0_5tupleIJyyEEENS0_10empty_typeEEEZNS1_10merge_implIS3_NS0_12zip_iteratorINS5_IJN6thrust23THRUST_200600_302600_NS6detail15normal_iteratorINSC_10device_ptrIKyEEEESI_EEEEESK_NSA_INS5_IJNSE_INSF_IyEEEESM_EEEEEPS7_SP_SP_NSC_11hip_rocprim7__merge17predicate_wrapperIyyNSC_4lessImEEEEEE10hipError_tPvRmT0_T1_T2_T3_T4_T5_mmT6_P12ihipStream_tbEUlT_E_NS1_11comp_targetILNS1_3genE2ELNS1_11target_archE906ELNS1_3gpuE6ELNS1_3repE0EEENS1_30default_config_static_selectorELNS0_4arch9wavefront6targetE0EEEvS10_.has_recursion, 0
	.set _ZN7rocprim17ROCPRIM_400000_NS6detail17trampoline_kernelINS0_14default_configENS1_21merge_config_selectorINS0_5tupleIJyyEEENS0_10empty_typeEEEZNS1_10merge_implIS3_NS0_12zip_iteratorINS5_IJN6thrust23THRUST_200600_302600_NS6detail15normal_iteratorINSC_10device_ptrIKyEEEESI_EEEEESK_NSA_INS5_IJNSE_INSF_IyEEEESM_EEEEEPS7_SP_SP_NSC_11hip_rocprim7__merge17predicate_wrapperIyyNSC_4lessImEEEEEE10hipError_tPvRmT0_T1_T2_T3_T4_T5_mmT6_P12ihipStream_tbEUlT_E_NS1_11comp_targetILNS1_3genE2ELNS1_11target_archE906ELNS1_3gpuE6ELNS1_3repE0EEENS1_30default_config_static_selectorELNS0_4arch9wavefront6targetE0EEEvS10_.has_indirect_call, 0
	.section	.AMDGPU.csdata,"",@progbits
; Kernel info:
; codeLenInByte = 0
; TotalNumSgprs: 0
; NumVgprs: 0
; ScratchSize: 0
; MemoryBound: 0
; FloatMode: 240
; IeeeMode: 1
; LDSByteSize: 0 bytes/workgroup (compile time only)
; SGPRBlocks: 0
; VGPRBlocks: 0
; NumSGPRsForWavesPerEU: 1
; NumVGPRsForWavesPerEU: 1
; Occupancy: 16
; WaveLimiterHint : 0
; COMPUTE_PGM_RSRC2:SCRATCH_EN: 0
; COMPUTE_PGM_RSRC2:USER_SGPR: 6
; COMPUTE_PGM_RSRC2:TRAP_HANDLER: 0
; COMPUTE_PGM_RSRC2:TGID_X_EN: 1
; COMPUTE_PGM_RSRC2:TGID_Y_EN: 0
; COMPUTE_PGM_RSRC2:TGID_Z_EN: 0
; COMPUTE_PGM_RSRC2:TIDIG_COMP_CNT: 0
	.section	.text._ZN7rocprim17ROCPRIM_400000_NS6detail17trampoline_kernelINS0_14default_configENS1_21merge_config_selectorINS0_5tupleIJyyEEENS0_10empty_typeEEEZNS1_10merge_implIS3_NS0_12zip_iteratorINS5_IJN6thrust23THRUST_200600_302600_NS6detail15normal_iteratorINSC_10device_ptrIKyEEEESI_EEEEESK_NSA_INS5_IJNSE_INSF_IyEEEESM_EEEEEPS7_SP_SP_NSC_11hip_rocprim7__merge17predicate_wrapperIyyNSC_4lessImEEEEEE10hipError_tPvRmT0_T1_T2_T3_T4_T5_mmT6_P12ihipStream_tbEUlT_E_NS1_11comp_targetILNS1_3genE10ELNS1_11target_archE1201ELNS1_3gpuE5ELNS1_3repE0EEENS1_30default_config_static_selectorELNS0_4arch9wavefront6targetE0EEEvS10_,"axG",@progbits,_ZN7rocprim17ROCPRIM_400000_NS6detail17trampoline_kernelINS0_14default_configENS1_21merge_config_selectorINS0_5tupleIJyyEEENS0_10empty_typeEEEZNS1_10merge_implIS3_NS0_12zip_iteratorINS5_IJN6thrust23THRUST_200600_302600_NS6detail15normal_iteratorINSC_10device_ptrIKyEEEESI_EEEEESK_NSA_INS5_IJNSE_INSF_IyEEEESM_EEEEEPS7_SP_SP_NSC_11hip_rocprim7__merge17predicate_wrapperIyyNSC_4lessImEEEEEE10hipError_tPvRmT0_T1_T2_T3_T4_T5_mmT6_P12ihipStream_tbEUlT_E_NS1_11comp_targetILNS1_3genE10ELNS1_11target_archE1201ELNS1_3gpuE5ELNS1_3repE0EEENS1_30default_config_static_selectorELNS0_4arch9wavefront6targetE0EEEvS10_,comdat
	.protected	_ZN7rocprim17ROCPRIM_400000_NS6detail17trampoline_kernelINS0_14default_configENS1_21merge_config_selectorINS0_5tupleIJyyEEENS0_10empty_typeEEEZNS1_10merge_implIS3_NS0_12zip_iteratorINS5_IJN6thrust23THRUST_200600_302600_NS6detail15normal_iteratorINSC_10device_ptrIKyEEEESI_EEEEESK_NSA_INS5_IJNSE_INSF_IyEEEESM_EEEEEPS7_SP_SP_NSC_11hip_rocprim7__merge17predicate_wrapperIyyNSC_4lessImEEEEEE10hipError_tPvRmT0_T1_T2_T3_T4_T5_mmT6_P12ihipStream_tbEUlT_E_NS1_11comp_targetILNS1_3genE10ELNS1_11target_archE1201ELNS1_3gpuE5ELNS1_3repE0EEENS1_30default_config_static_selectorELNS0_4arch9wavefront6targetE0EEEvS10_ ; -- Begin function _ZN7rocprim17ROCPRIM_400000_NS6detail17trampoline_kernelINS0_14default_configENS1_21merge_config_selectorINS0_5tupleIJyyEEENS0_10empty_typeEEEZNS1_10merge_implIS3_NS0_12zip_iteratorINS5_IJN6thrust23THRUST_200600_302600_NS6detail15normal_iteratorINSC_10device_ptrIKyEEEESI_EEEEESK_NSA_INS5_IJNSE_INSF_IyEEEESM_EEEEEPS7_SP_SP_NSC_11hip_rocprim7__merge17predicate_wrapperIyyNSC_4lessImEEEEEE10hipError_tPvRmT0_T1_T2_T3_T4_T5_mmT6_P12ihipStream_tbEUlT_E_NS1_11comp_targetILNS1_3genE10ELNS1_11target_archE1201ELNS1_3gpuE5ELNS1_3repE0EEENS1_30default_config_static_selectorELNS0_4arch9wavefront6targetE0EEEvS10_
	.globl	_ZN7rocprim17ROCPRIM_400000_NS6detail17trampoline_kernelINS0_14default_configENS1_21merge_config_selectorINS0_5tupleIJyyEEENS0_10empty_typeEEEZNS1_10merge_implIS3_NS0_12zip_iteratorINS5_IJN6thrust23THRUST_200600_302600_NS6detail15normal_iteratorINSC_10device_ptrIKyEEEESI_EEEEESK_NSA_INS5_IJNSE_INSF_IyEEEESM_EEEEEPS7_SP_SP_NSC_11hip_rocprim7__merge17predicate_wrapperIyyNSC_4lessImEEEEEE10hipError_tPvRmT0_T1_T2_T3_T4_T5_mmT6_P12ihipStream_tbEUlT_E_NS1_11comp_targetILNS1_3genE10ELNS1_11target_archE1201ELNS1_3gpuE5ELNS1_3repE0EEENS1_30default_config_static_selectorELNS0_4arch9wavefront6targetE0EEEvS10_
	.p2align	8
	.type	_ZN7rocprim17ROCPRIM_400000_NS6detail17trampoline_kernelINS0_14default_configENS1_21merge_config_selectorINS0_5tupleIJyyEEENS0_10empty_typeEEEZNS1_10merge_implIS3_NS0_12zip_iteratorINS5_IJN6thrust23THRUST_200600_302600_NS6detail15normal_iteratorINSC_10device_ptrIKyEEEESI_EEEEESK_NSA_INS5_IJNSE_INSF_IyEEEESM_EEEEEPS7_SP_SP_NSC_11hip_rocprim7__merge17predicate_wrapperIyyNSC_4lessImEEEEEE10hipError_tPvRmT0_T1_T2_T3_T4_T5_mmT6_P12ihipStream_tbEUlT_E_NS1_11comp_targetILNS1_3genE10ELNS1_11target_archE1201ELNS1_3gpuE5ELNS1_3repE0EEENS1_30default_config_static_selectorELNS0_4arch9wavefront6targetE0EEEvS10_,@function
_ZN7rocprim17ROCPRIM_400000_NS6detail17trampoline_kernelINS0_14default_configENS1_21merge_config_selectorINS0_5tupleIJyyEEENS0_10empty_typeEEEZNS1_10merge_implIS3_NS0_12zip_iteratorINS5_IJN6thrust23THRUST_200600_302600_NS6detail15normal_iteratorINSC_10device_ptrIKyEEEESI_EEEEESK_NSA_INS5_IJNSE_INSF_IyEEEESM_EEEEEPS7_SP_SP_NSC_11hip_rocprim7__merge17predicate_wrapperIyyNSC_4lessImEEEEEE10hipError_tPvRmT0_T1_T2_T3_T4_T5_mmT6_P12ihipStream_tbEUlT_E_NS1_11comp_targetILNS1_3genE10ELNS1_11target_archE1201ELNS1_3gpuE5ELNS1_3repE0EEENS1_30default_config_static_selectorELNS0_4arch9wavefront6targetE0EEEvS10_: ; @_ZN7rocprim17ROCPRIM_400000_NS6detail17trampoline_kernelINS0_14default_configENS1_21merge_config_selectorINS0_5tupleIJyyEEENS0_10empty_typeEEEZNS1_10merge_implIS3_NS0_12zip_iteratorINS5_IJN6thrust23THRUST_200600_302600_NS6detail15normal_iteratorINSC_10device_ptrIKyEEEESI_EEEEESK_NSA_INS5_IJNSE_INSF_IyEEEESM_EEEEEPS7_SP_SP_NSC_11hip_rocprim7__merge17predicate_wrapperIyyNSC_4lessImEEEEEE10hipError_tPvRmT0_T1_T2_T3_T4_T5_mmT6_P12ihipStream_tbEUlT_E_NS1_11comp_targetILNS1_3genE10ELNS1_11target_archE1201ELNS1_3gpuE5ELNS1_3repE0EEENS1_30default_config_static_selectorELNS0_4arch9wavefront6targetE0EEEvS10_
; %bb.0:
	.section	.rodata,"a",@progbits
	.p2align	6, 0x0
	.amdhsa_kernel _ZN7rocprim17ROCPRIM_400000_NS6detail17trampoline_kernelINS0_14default_configENS1_21merge_config_selectorINS0_5tupleIJyyEEENS0_10empty_typeEEEZNS1_10merge_implIS3_NS0_12zip_iteratorINS5_IJN6thrust23THRUST_200600_302600_NS6detail15normal_iteratorINSC_10device_ptrIKyEEEESI_EEEEESK_NSA_INS5_IJNSE_INSF_IyEEEESM_EEEEEPS7_SP_SP_NSC_11hip_rocprim7__merge17predicate_wrapperIyyNSC_4lessImEEEEEE10hipError_tPvRmT0_T1_T2_T3_T4_T5_mmT6_P12ihipStream_tbEUlT_E_NS1_11comp_targetILNS1_3genE10ELNS1_11target_archE1201ELNS1_3gpuE5ELNS1_3repE0EEENS1_30default_config_static_selectorELNS0_4arch9wavefront6targetE0EEEvS10_
		.amdhsa_group_segment_fixed_size 0
		.amdhsa_private_segment_fixed_size 0
		.amdhsa_kernarg_size 64
		.amdhsa_user_sgpr_count 6
		.amdhsa_user_sgpr_private_segment_buffer 1
		.amdhsa_user_sgpr_dispatch_ptr 0
		.amdhsa_user_sgpr_queue_ptr 0
		.amdhsa_user_sgpr_kernarg_segment_ptr 1
		.amdhsa_user_sgpr_dispatch_id 0
		.amdhsa_user_sgpr_flat_scratch_init 0
		.amdhsa_user_sgpr_private_segment_size 0
		.amdhsa_wavefront_size32 1
		.amdhsa_uses_dynamic_stack 0
		.amdhsa_system_sgpr_private_segment_wavefront_offset 0
		.amdhsa_system_sgpr_workgroup_id_x 1
		.amdhsa_system_sgpr_workgroup_id_y 0
		.amdhsa_system_sgpr_workgroup_id_z 0
		.amdhsa_system_sgpr_workgroup_info 0
		.amdhsa_system_vgpr_workitem_id 0
		.amdhsa_next_free_vgpr 1
		.amdhsa_next_free_sgpr 1
		.amdhsa_reserve_vcc 0
		.amdhsa_reserve_flat_scratch 0
		.amdhsa_float_round_mode_32 0
		.amdhsa_float_round_mode_16_64 0
		.amdhsa_float_denorm_mode_32 3
		.amdhsa_float_denorm_mode_16_64 3
		.amdhsa_dx10_clamp 1
		.amdhsa_ieee_mode 1
		.amdhsa_fp16_overflow 0
		.amdhsa_workgroup_processor_mode 1
		.amdhsa_memory_ordered 1
		.amdhsa_forward_progress 1
		.amdhsa_shared_vgpr_count 0
		.amdhsa_exception_fp_ieee_invalid_op 0
		.amdhsa_exception_fp_denorm_src 0
		.amdhsa_exception_fp_ieee_div_zero 0
		.amdhsa_exception_fp_ieee_overflow 0
		.amdhsa_exception_fp_ieee_underflow 0
		.amdhsa_exception_fp_ieee_inexact 0
		.amdhsa_exception_int_div_zero 0
	.end_amdhsa_kernel
	.section	.text._ZN7rocprim17ROCPRIM_400000_NS6detail17trampoline_kernelINS0_14default_configENS1_21merge_config_selectorINS0_5tupleIJyyEEENS0_10empty_typeEEEZNS1_10merge_implIS3_NS0_12zip_iteratorINS5_IJN6thrust23THRUST_200600_302600_NS6detail15normal_iteratorINSC_10device_ptrIKyEEEESI_EEEEESK_NSA_INS5_IJNSE_INSF_IyEEEESM_EEEEEPS7_SP_SP_NSC_11hip_rocprim7__merge17predicate_wrapperIyyNSC_4lessImEEEEEE10hipError_tPvRmT0_T1_T2_T3_T4_T5_mmT6_P12ihipStream_tbEUlT_E_NS1_11comp_targetILNS1_3genE10ELNS1_11target_archE1201ELNS1_3gpuE5ELNS1_3repE0EEENS1_30default_config_static_selectorELNS0_4arch9wavefront6targetE0EEEvS10_,"axG",@progbits,_ZN7rocprim17ROCPRIM_400000_NS6detail17trampoline_kernelINS0_14default_configENS1_21merge_config_selectorINS0_5tupleIJyyEEENS0_10empty_typeEEEZNS1_10merge_implIS3_NS0_12zip_iteratorINS5_IJN6thrust23THRUST_200600_302600_NS6detail15normal_iteratorINSC_10device_ptrIKyEEEESI_EEEEESK_NSA_INS5_IJNSE_INSF_IyEEEESM_EEEEEPS7_SP_SP_NSC_11hip_rocprim7__merge17predicate_wrapperIyyNSC_4lessImEEEEEE10hipError_tPvRmT0_T1_T2_T3_T4_T5_mmT6_P12ihipStream_tbEUlT_E_NS1_11comp_targetILNS1_3genE10ELNS1_11target_archE1201ELNS1_3gpuE5ELNS1_3repE0EEENS1_30default_config_static_selectorELNS0_4arch9wavefront6targetE0EEEvS10_,comdat
.Lfunc_end466:
	.size	_ZN7rocprim17ROCPRIM_400000_NS6detail17trampoline_kernelINS0_14default_configENS1_21merge_config_selectorINS0_5tupleIJyyEEENS0_10empty_typeEEEZNS1_10merge_implIS3_NS0_12zip_iteratorINS5_IJN6thrust23THRUST_200600_302600_NS6detail15normal_iteratorINSC_10device_ptrIKyEEEESI_EEEEESK_NSA_INS5_IJNSE_INSF_IyEEEESM_EEEEEPS7_SP_SP_NSC_11hip_rocprim7__merge17predicate_wrapperIyyNSC_4lessImEEEEEE10hipError_tPvRmT0_T1_T2_T3_T4_T5_mmT6_P12ihipStream_tbEUlT_E_NS1_11comp_targetILNS1_3genE10ELNS1_11target_archE1201ELNS1_3gpuE5ELNS1_3repE0EEENS1_30default_config_static_selectorELNS0_4arch9wavefront6targetE0EEEvS10_, .Lfunc_end466-_ZN7rocprim17ROCPRIM_400000_NS6detail17trampoline_kernelINS0_14default_configENS1_21merge_config_selectorINS0_5tupleIJyyEEENS0_10empty_typeEEEZNS1_10merge_implIS3_NS0_12zip_iteratorINS5_IJN6thrust23THRUST_200600_302600_NS6detail15normal_iteratorINSC_10device_ptrIKyEEEESI_EEEEESK_NSA_INS5_IJNSE_INSF_IyEEEESM_EEEEEPS7_SP_SP_NSC_11hip_rocprim7__merge17predicate_wrapperIyyNSC_4lessImEEEEEE10hipError_tPvRmT0_T1_T2_T3_T4_T5_mmT6_P12ihipStream_tbEUlT_E_NS1_11comp_targetILNS1_3genE10ELNS1_11target_archE1201ELNS1_3gpuE5ELNS1_3repE0EEENS1_30default_config_static_selectorELNS0_4arch9wavefront6targetE0EEEvS10_
                                        ; -- End function
	.set _ZN7rocprim17ROCPRIM_400000_NS6detail17trampoline_kernelINS0_14default_configENS1_21merge_config_selectorINS0_5tupleIJyyEEENS0_10empty_typeEEEZNS1_10merge_implIS3_NS0_12zip_iteratorINS5_IJN6thrust23THRUST_200600_302600_NS6detail15normal_iteratorINSC_10device_ptrIKyEEEESI_EEEEESK_NSA_INS5_IJNSE_INSF_IyEEEESM_EEEEEPS7_SP_SP_NSC_11hip_rocprim7__merge17predicate_wrapperIyyNSC_4lessImEEEEEE10hipError_tPvRmT0_T1_T2_T3_T4_T5_mmT6_P12ihipStream_tbEUlT_E_NS1_11comp_targetILNS1_3genE10ELNS1_11target_archE1201ELNS1_3gpuE5ELNS1_3repE0EEENS1_30default_config_static_selectorELNS0_4arch9wavefront6targetE0EEEvS10_.num_vgpr, 0
	.set _ZN7rocprim17ROCPRIM_400000_NS6detail17trampoline_kernelINS0_14default_configENS1_21merge_config_selectorINS0_5tupleIJyyEEENS0_10empty_typeEEEZNS1_10merge_implIS3_NS0_12zip_iteratorINS5_IJN6thrust23THRUST_200600_302600_NS6detail15normal_iteratorINSC_10device_ptrIKyEEEESI_EEEEESK_NSA_INS5_IJNSE_INSF_IyEEEESM_EEEEEPS7_SP_SP_NSC_11hip_rocprim7__merge17predicate_wrapperIyyNSC_4lessImEEEEEE10hipError_tPvRmT0_T1_T2_T3_T4_T5_mmT6_P12ihipStream_tbEUlT_E_NS1_11comp_targetILNS1_3genE10ELNS1_11target_archE1201ELNS1_3gpuE5ELNS1_3repE0EEENS1_30default_config_static_selectorELNS0_4arch9wavefront6targetE0EEEvS10_.num_agpr, 0
	.set _ZN7rocprim17ROCPRIM_400000_NS6detail17trampoline_kernelINS0_14default_configENS1_21merge_config_selectorINS0_5tupleIJyyEEENS0_10empty_typeEEEZNS1_10merge_implIS3_NS0_12zip_iteratorINS5_IJN6thrust23THRUST_200600_302600_NS6detail15normal_iteratorINSC_10device_ptrIKyEEEESI_EEEEESK_NSA_INS5_IJNSE_INSF_IyEEEESM_EEEEEPS7_SP_SP_NSC_11hip_rocprim7__merge17predicate_wrapperIyyNSC_4lessImEEEEEE10hipError_tPvRmT0_T1_T2_T3_T4_T5_mmT6_P12ihipStream_tbEUlT_E_NS1_11comp_targetILNS1_3genE10ELNS1_11target_archE1201ELNS1_3gpuE5ELNS1_3repE0EEENS1_30default_config_static_selectorELNS0_4arch9wavefront6targetE0EEEvS10_.numbered_sgpr, 0
	.set _ZN7rocprim17ROCPRIM_400000_NS6detail17trampoline_kernelINS0_14default_configENS1_21merge_config_selectorINS0_5tupleIJyyEEENS0_10empty_typeEEEZNS1_10merge_implIS3_NS0_12zip_iteratorINS5_IJN6thrust23THRUST_200600_302600_NS6detail15normal_iteratorINSC_10device_ptrIKyEEEESI_EEEEESK_NSA_INS5_IJNSE_INSF_IyEEEESM_EEEEEPS7_SP_SP_NSC_11hip_rocprim7__merge17predicate_wrapperIyyNSC_4lessImEEEEEE10hipError_tPvRmT0_T1_T2_T3_T4_T5_mmT6_P12ihipStream_tbEUlT_E_NS1_11comp_targetILNS1_3genE10ELNS1_11target_archE1201ELNS1_3gpuE5ELNS1_3repE0EEENS1_30default_config_static_selectorELNS0_4arch9wavefront6targetE0EEEvS10_.num_named_barrier, 0
	.set _ZN7rocprim17ROCPRIM_400000_NS6detail17trampoline_kernelINS0_14default_configENS1_21merge_config_selectorINS0_5tupleIJyyEEENS0_10empty_typeEEEZNS1_10merge_implIS3_NS0_12zip_iteratorINS5_IJN6thrust23THRUST_200600_302600_NS6detail15normal_iteratorINSC_10device_ptrIKyEEEESI_EEEEESK_NSA_INS5_IJNSE_INSF_IyEEEESM_EEEEEPS7_SP_SP_NSC_11hip_rocprim7__merge17predicate_wrapperIyyNSC_4lessImEEEEEE10hipError_tPvRmT0_T1_T2_T3_T4_T5_mmT6_P12ihipStream_tbEUlT_E_NS1_11comp_targetILNS1_3genE10ELNS1_11target_archE1201ELNS1_3gpuE5ELNS1_3repE0EEENS1_30default_config_static_selectorELNS0_4arch9wavefront6targetE0EEEvS10_.private_seg_size, 0
	.set _ZN7rocprim17ROCPRIM_400000_NS6detail17trampoline_kernelINS0_14default_configENS1_21merge_config_selectorINS0_5tupleIJyyEEENS0_10empty_typeEEEZNS1_10merge_implIS3_NS0_12zip_iteratorINS5_IJN6thrust23THRUST_200600_302600_NS6detail15normal_iteratorINSC_10device_ptrIKyEEEESI_EEEEESK_NSA_INS5_IJNSE_INSF_IyEEEESM_EEEEEPS7_SP_SP_NSC_11hip_rocprim7__merge17predicate_wrapperIyyNSC_4lessImEEEEEE10hipError_tPvRmT0_T1_T2_T3_T4_T5_mmT6_P12ihipStream_tbEUlT_E_NS1_11comp_targetILNS1_3genE10ELNS1_11target_archE1201ELNS1_3gpuE5ELNS1_3repE0EEENS1_30default_config_static_selectorELNS0_4arch9wavefront6targetE0EEEvS10_.uses_vcc, 0
	.set _ZN7rocprim17ROCPRIM_400000_NS6detail17trampoline_kernelINS0_14default_configENS1_21merge_config_selectorINS0_5tupleIJyyEEENS0_10empty_typeEEEZNS1_10merge_implIS3_NS0_12zip_iteratorINS5_IJN6thrust23THRUST_200600_302600_NS6detail15normal_iteratorINSC_10device_ptrIKyEEEESI_EEEEESK_NSA_INS5_IJNSE_INSF_IyEEEESM_EEEEEPS7_SP_SP_NSC_11hip_rocprim7__merge17predicate_wrapperIyyNSC_4lessImEEEEEE10hipError_tPvRmT0_T1_T2_T3_T4_T5_mmT6_P12ihipStream_tbEUlT_E_NS1_11comp_targetILNS1_3genE10ELNS1_11target_archE1201ELNS1_3gpuE5ELNS1_3repE0EEENS1_30default_config_static_selectorELNS0_4arch9wavefront6targetE0EEEvS10_.uses_flat_scratch, 0
	.set _ZN7rocprim17ROCPRIM_400000_NS6detail17trampoline_kernelINS0_14default_configENS1_21merge_config_selectorINS0_5tupleIJyyEEENS0_10empty_typeEEEZNS1_10merge_implIS3_NS0_12zip_iteratorINS5_IJN6thrust23THRUST_200600_302600_NS6detail15normal_iteratorINSC_10device_ptrIKyEEEESI_EEEEESK_NSA_INS5_IJNSE_INSF_IyEEEESM_EEEEEPS7_SP_SP_NSC_11hip_rocprim7__merge17predicate_wrapperIyyNSC_4lessImEEEEEE10hipError_tPvRmT0_T1_T2_T3_T4_T5_mmT6_P12ihipStream_tbEUlT_E_NS1_11comp_targetILNS1_3genE10ELNS1_11target_archE1201ELNS1_3gpuE5ELNS1_3repE0EEENS1_30default_config_static_selectorELNS0_4arch9wavefront6targetE0EEEvS10_.has_dyn_sized_stack, 0
	.set _ZN7rocprim17ROCPRIM_400000_NS6detail17trampoline_kernelINS0_14default_configENS1_21merge_config_selectorINS0_5tupleIJyyEEENS0_10empty_typeEEEZNS1_10merge_implIS3_NS0_12zip_iteratorINS5_IJN6thrust23THRUST_200600_302600_NS6detail15normal_iteratorINSC_10device_ptrIKyEEEESI_EEEEESK_NSA_INS5_IJNSE_INSF_IyEEEESM_EEEEEPS7_SP_SP_NSC_11hip_rocprim7__merge17predicate_wrapperIyyNSC_4lessImEEEEEE10hipError_tPvRmT0_T1_T2_T3_T4_T5_mmT6_P12ihipStream_tbEUlT_E_NS1_11comp_targetILNS1_3genE10ELNS1_11target_archE1201ELNS1_3gpuE5ELNS1_3repE0EEENS1_30default_config_static_selectorELNS0_4arch9wavefront6targetE0EEEvS10_.has_recursion, 0
	.set _ZN7rocprim17ROCPRIM_400000_NS6detail17trampoline_kernelINS0_14default_configENS1_21merge_config_selectorINS0_5tupleIJyyEEENS0_10empty_typeEEEZNS1_10merge_implIS3_NS0_12zip_iteratorINS5_IJN6thrust23THRUST_200600_302600_NS6detail15normal_iteratorINSC_10device_ptrIKyEEEESI_EEEEESK_NSA_INS5_IJNSE_INSF_IyEEEESM_EEEEEPS7_SP_SP_NSC_11hip_rocprim7__merge17predicate_wrapperIyyNSC_4lessImEEEEEE10hipError_tPvRmT0_T1_T2_T3_T4_T5_mmT6_P12ihipStream_tbEUlT_E_NS1_11comp_targetILNS1_3genE10ELNS1_11target_archE1201ELNS1_3gpuE5ELNS1_3repE0EEENS1_30default_config_static_selectorELNS0_4arch9wavefront6targetE0EEEvS10_.has_indirect_call, 0
	.section	.AMDGPU.csdata,"",@progbits
; Kernel info:
; codeLenInByte = 0
; TotalNumSgprs: 0
; NumVgprs: 0
; ScratchSize: 0
; MemoryBound: 0
; FloatMode: 240
; IeeeMode: 1
; LDSByteSize: 0 bytes/workgroup (compile time only)
; SGPRBlocks: 0
; VGPRBlocks: 0
; NumSGPRsForWavesPerEU: 1
; NumVGPRsForWavesPerEU: 1
; Occupancy: 16
; WaveLimiterHint : 0
; COMPUTE_PGM_RSRC2:SCRATCH_EN: 0
; COMPUTE_PGM_RSRC2:USER_SGPR: 6
; COMPUTE_PGM_RSRC2:TRAP_HANDLER: 0
; COMPUTE_PGM_RSRC2:TGID_X_EN: 1
; COMPUTE_PGM_RSRC2:TGID_Y_EN: 0
; COMPUTE_PGM_RSRC2:TGID_Z_EN: 0
; COMPUTE_PGM_RSRC2:TIDIG_COMP_CNT: 0
	.section	.text._ZN7rocprim17ROCPRIM_400000_NS6detail17trampoline_kernelINS0_14default_configENS1_21merge_config_selectorINS0_5tupleIJyyEEENS0_10empty_typeEEEZNS1_10merge_implIS3_NS0_12zip_iteratorINS5_IJN6thrust23THRUST_200600_302600_NS6detail15normal_iteratorINSC_10device_ptrIKyEEEESI_EEEEESK_NSA_INS5_IJNSE_INSF_IyEEEESM_EEEEEPS7_SP_SP_NSC_11hip_rocprim7__merge17predicate_wrapperIyyNSC_4lessImEEEEEE10hipError_tPvRmT0_T1_T2_T3_T4_T5_mmT6_P12ihipStream_tbEUlT_E_NS1_11comp_targetILNS1_3genE10ELNS1_11target_archE1200ELNS1_3gpuE4ELNS1_3repE0EEENS1_30default_config_static_selectorELNS0_4arch9wavefront6targetE0EEEvS10_,"axG",@progbits,_ZN7rocprim17ROCPRIM_400000_NS6detail17trampoline_kernelINS0_14default_configENS1_21merge_config_selectorINS0_5tupleIJyyEEENS0_10empty_typeEEEZNS1_10merge_implIS3_NS0_12zip_iteratorINS5_IJN6thrust23THRUST_200600_302600_NS6detail15normal_iteratorINSC_10device_ptrIKyEEEESI_EEEEESK_NSA_INS5_IJNSE_INSF_IyEEEESM_EEEEEPS7_SP_SP_NSC_11hip_rocprim7__merge17predicate_wrapperIyyNSC_4lessImEEEEEE10hipError_tPvRmT0_T1_T2_T3_T4_T5_mmT6_P12ihipStream_tbEUlT_E_NS1_11comp_targetILNS1_3genE10ELNS1_11target_archE1200ELNS1_3gpuE4ELNS1_3repE0EEENS1_30default_config_static_selectorELNS0_4arch9wavefront6targetE0EEEvS10_,comdat
	.protected	_ZN7rocprim17ROCPRIM_400000_NS6detail17trampoline_kernelINS0_14default_configENS1_21merge_config_selectorINS0_5tupleIJyyEEENS0_10empty_typeEEEZNS1_10merge_implIS3_NS0_12zip_iteratorINS5_IJN6thrust23THRUST_200600_302600_NS6detail15normal_iteratorINSC_10device_ptrIKyEEEESI_EEEEESK_NSA_INS5_IJNSE_INSF_IyEEEESM_EEEEEPS7_SP_SP_NSC_11hip_rocprim7__merge17predicate_wrapperIyyNSC_4lessImEEEEEE10hipError_tPvRmT0_T1_T2_T3_T4_T5_mmT6_P12ihipStream_tbEUlT_E_NS1_11comp_targetILNS1_3genE10ELNS1_11target_archE1200ELNS1_3gpuE4ELNS1_3repE0EEENS1_30default_config_static_selectorELNS0_4arch9wavefront6targetE0EEEvS10_ ; -- Begin function _ZN7rocprim17ROCPRIM_400000_NS6detail17trampoline_kernelINS0_14default_configENS1_21merge_config_selectorINS0_5tupleIJyyEEENS0_10empty_typeEEEZNS1_10merge_implIS3_NS0_12zip_iteratorINS5_IJN6thrust23THRUST_200600_302600_NS6detail15normal_iteratorINSC_10device_ptrIKyEEEESI_EEEEESK_NSA_INS5_IJNSE_INSF_IyEEEESM_EEEEEPS7_SP_SP_NSC_11hip_rocprim7__merge17predicate_wrapperIyyNSC_4lessImEEEEEE10hipError_tPvRmT0_T1_T2_T3_T4_T5_mmT6_P12ihipStream_tbEUlT_E_NS1_11comp_targetILNS1_3genE10ELNS1_11target_archE1200ELNS1_3gpuE4ELNS1_3repE0EEENS1_30default_config_static_selectorELNS0_4arch9wavefront6targetE0EEEvS10_
	.globl	_ZN7rocprim17ROCPRIM_400000_NS6detail17trampoline_kernelINS0_14default_configENS1_21merge_config_selectorINS0_5tupleIJyyEEENS0_10empty_typeEEEZNS1_10merge_implIS3_NS0_12zip_iteratorINS5_IJN6thrust23THRUST_200600_302600_NS6detail15normal_iteratorINSC_10device_ptrIKyEEEESI_EEEEESK_NSA_INS5_IJNSE_INSF_IyEEEESM_EEEEEPS7_SP_SP_NSC_11hip_rocprim7__merge17predicate_wrapperIyyNSC_4lessImEEEEEE10hipError_tPvRmT0_T1_T2_T3_T4_T5_mmT6_P12ihipStream_tbEUlT_E_NS1_11comp_targetILNS1_3genE10ELNS1_11target_archE1200ELNS1_3gpuE4ELNS1_3repE0EEENS1_30default_config_static_selectorELNS0_4arch9wavefront6targetE0EEEvS10_
	.p2align	8
	.type	_ZN7rocprim17ROCPRIM_400000_NS6detail17trampoline_kernelINS0_14default_configENS1_21merge_config_selectorINS0_5tupleIJyyEEENS0_10empty_typeEEEZNS1_10merge_implIS3_NS0_12zip_iteratorINS5_IJN6thrust23THRUST_200600_302600_NS6detail15normal_iteratorINSC_10device_ptrIKyEEEESI_EEEEESK_NSA_INS5_IJNSE_INSF_IyEEEESM_EEEEEPS7_SP_SP_NSC_11hip_rocprim7__merge17predicate_wrapperIyyNSC_4lessImEEEEEE10hipError_tPvRmT0_T1_T2_T3_T4_T5_mmT6_P12ihipStream_tbEUlT_E_NS1_11comp_targetILNS1_3genE10ELNS1_11target_archE1200ELNS1_3gpuE4ELNS1_3repE0EEENS1_30default_config_static_selectorELNS0_4arch9wavefront6targetE0EEEvS10_,@function
_ZN7rocprim17ROCPRIM_400000_NS6detail17trampoline_kernelINS0_14default_configENS1_21merge_config_selectorINS0_5tupleIJyyEEENS0_10empty_typeEEEZNS1_10merge_implIS3_NS0_12zip_iteratorINS5_IJN6thrust23THRUST_200600_302600_NS6detail15normal_iteratorINSC_10device_ptrIKyEEEESI_EEEEESK_NSA_INS5_IJNSE_INSF_IyEEEESM_EEEEEPS7_SP_SP_NSC_11hip_rocprim7__merge17predicate_wrapperIyyNSC_4lessImEEEEEE10hipError_tPvRmT0_T1_T2_T3_T4_T5_mmT6_P12ihipStream_tbEUlT_E_NS1_11comp_targetILNS1_3genE10ELNS1_11target_archE1200ELNS1_3gpuE4ELNS1_3repE0EEENS1_30default_config_static_selectorELNS0_4arch9wavefront6targetE0EEEvS10_: ; @_ZN7rocprim17ROCPRIM_400000_NS6detail17trampoline_kernelINS0_14default_configENS1_21merge_config_selectorINS0_5tupleIJyyEEENS0_10empty_typeEEEZNS1_10merge_implIS3_NS0_12zip_iteratorINS5_IJN6thrust23THRUST_200600_302600_NS6detail15normal_iteratorINSC_10device_ptrIKyEEEESI_EEEEESK_NSA_INS5_IJNSE_INSF_IyEEEESM_EEEEEPS7_SP_SP_NSC_11hip_rocprim7__merge17predicate_wrapperIyyNSC_4lessImEEEEEE10hipError_tPvRmT0_T1_T2_T3_T4_T5_mmT6_P12ihipStream_tbEUlT_E_NS1_11comp_targetILNS1_3genE10ELNS1_11target_archE1200ELNS1_3gpuE4ELNS1_3repE0EEENS1_30default_config_static_selectorELNS0_4arch9wavefront6targetE0EEEvS10_
; %bb.0:
	.section	.rodata,"a",@progbits
	.p2align	6, 0x0
	.amdhsa_kernel _ZN7rocprim17ROCPRIM_400000_NS6detail17trampoline_kernelINS0_14default_configENS1_21merge_config_selectorINS0_5tupleIJyyEEENS0_10empty_typeEEEZNS1_10merge_implIS3_NS0_12zip_iteratorINS5_IJN6thrust23THRUST_200600_302600_NS6detail15normal_iteratorINSC_10device_ptrIKyEEEESI_EEEEESK_NSA_INS5_IJNSE_INSF_IyEEEESM_EEEEEPS7_SP_SP_NSC_11hip_rocprim7__merge17predicate_wrapperIyyNSC_4lessImEEEEEE10hipError_tPvRmT0_T1_T2_T3_T4_T5_mmT6_P12ihipStream_tbEUlT_E_NS1_11comp_targetILNS1_3genE10ELNS1_11target_archE1200ELNS1_3gpuE4ELNS1_3repE0EEENS1_30default_config_static_selectorELNS0_4arch9wavefront6targetE0EEEvS10_
		.amdhsa_group_segment_fixed_size 0
		.amdhsa_private_segment_fixed_size 0
		.amdhsa_kernarg_size 64
		.amdhsa_user_sgpr_count 6
		.amdhsa_user_sgpr_private_segment_buffer 1
		.amdhsa_user_sgpr_dispatch_ptr 0
		.amdhsa_user_sgpr_queue_ptr 0
		.amdhsa_user_sgpr_kernarg_segment_ptr 1
		.amdhsa_user_sgpr_dispatch_id 0
		.amdhsa_user_sgpr_flat_scratch_init 0
		.amdhsa_user_sgpr_private_segment_size 0
		.amdhsa_wavefront_size32 1
		.amdhsa_uses_dynamic_stack 0
		.amdhsa_system_sgpr_private_segment_wavefront_offset 0
		.amdhsa_system_sgpr_workgroup_id_x 1
		.amdhsa_system_sgpr_workgroup_id_y 0
		.amdhsa_system_sgpr_workgroup_id_z 0
		.amdhsa_system_sgpr_workgroup_info 0
		.amdhsa_system_vgpr_workitem_id 0
		.amdhsa_next_free_vgpr 1
		.amdhsa_next_free_sgpr 1
		.amdhsa_reserve_vcc 0
		.amdhsa_reserve_flat_scratch 0
		.amdhsa_float_round_mode_32 0
		.amdhsa_float_round_mode_16_64 0
		.amdhsa_float_denorm_mode_32 3
		.amdhsa_float_denorm_mode_16_64 3
		.amdhsa_dx10_clamp 1
		.amdhsa_ieee_mode 1
		.amdhsa_fp16_overflow 0
		.amdhsa_workgroup_processor_mode 1
		.amdhsa_memory_ordered 1
		.amdhsa_forward_progress 1
		.amdhsa_shared_vgpr_count 0
		.amdhsa_exception_fp_ieee_invalid_op 0
		.amdhsa_exception_fp_denorm_src 0
		.amdhsa_exception_fp_ieee_div_zero 0
		.amdhsa_exception_fp_ieee_overflow 0
		.amdhsa_exception_fp_ieee_underflow 0
		.amdhsa_exception_fp_ieee_inexact 0
		.amdhsa_exception_int_div_zero 0
	.end_amdhsa_kernel
	.section	.text._ZN7rocprim17ROCPRIM_400000_NS6detail17trampoline_kernelINS0_14default_configENS1_21merge_config_selectorINS0_5tupleIJyyEEENS0_10empty_typeEEEZNS1_10merge_implIS3_NS0_12zip_iteratorINS5_IJN6thrust23THRUST_200600_302600_NS6detail15normal_iteratorINSC_10device_ptrIKyEEEESI_EEEEESK_NSA_INS5_IJNSE_INSF_IyEEEESM_EEEEEPS7_SP_SP_NSC_11hip_rocprim7__merge17predicate_wrapperIyyNSC_4lessImEEEEEE10hipError_tPvRmT0_T1_T2_T3_T4_T5_mmT6_P12ihipStream_tbEUlT_E_NS1_11comp_targetILNS1_3genE10ELNS1_11target_archE1200ELNS1_3gpuE4ELNS1_3repE0EEENS1_30default_config_static_selectorELNS0_4arch9wavefront6targetE0EEEvS10_,"axG",@progbits,_ZN7rocprim17ROCPRIM_400000_NS6detail17trampoline_kernelINS0_14default_configENS1_21merge_config_selectorINS0_5tupleIJyyEEENS0_10empty_typeEEEZNS1_10merge_implIS3_NS0_12zip_iteratorINS5_IJN6thrust23THRUST_200600_302600_NS6detail15normal_iteratorINSC_10device_ptrIKyEEEESI_EEEEESK_NSA_INS5_IJNSE_INSF_IyEEEESM_EEEEEPS7_SP_SP_NSC_11hip_rocprim7__merge17predicate_wrapperIyyNSC_4lessImEEEEEE10hipError_tPvRmT0_T1_T2_T3_T4_T5_mmT6_P12ihipStream_tbEUlT_E_NS1_11comp_targetILNS1_3genE10ELNS1_11target_archE1200ELNS1_3gpuE4ELNS1_3repE0EEENS1_30default_config_static_selectorELNS0_4arch9wavefront6targetE0EEEvS10_,comdat
.Lfunc_end467:
	.size	_ZN7rocprim17ROCPRIM_400000_NS6detail17trampoline_kernelINS0_14default_configENS1_21merge_config_selectorINS0_5tupleIJyyEEENS0_10empty_typeEEEZNS1_10merge_implIS3_NS0_12zip_iteratorINS5_IJN6thrust23THRUST_200600_302600_NS6detail15normal_iteratorINSC_10device_ptrIKyEEEESI_EEEEESK_NSA_INS5_IJNSE_INSF_IyEEEESM_EEEEEPS7_SP_SP_NSC_11hip_rocprim7__merge17predicate_wrapperIyyNSC_4lessImEEEEEE10hipError_tPvRmT0_T1_T2_T3_T4_T5_mmT6_P12ihipStream_tbEUlT_E_NS1_11comp_targetILNS1_3genE10ELNS1_11target_archE1200ELNS1_3gpuE4ELNS1_3repE0EEENS1_30default_config_static_selectorELNS0_4arch9wavefront6targetE0EEEvS10_, .Lfunc_end467-_ZN7rocprim17ROCPRIM_400000_NS6detail17trampoline_kernelINS0_14default_configENS1_21merge_config_selectorINS0_5tupleIJyyEEENS0_10empty_typeEEEZNS1_10merge_implIS3_NS0_12zip_iteratorINS5_IJN6thrust23THRUST_200600_302600_NS6detail15normal_iteratorINSC_10device_ptrIKyEEEESI_EEEEESK_NSA_INS5_IJNSE_INSF_IyEEEESM_EEEEEPS7_SP_SP_NSC_11hip_rocprim7__merge17predicate_wrapperIyyNSC_4lessImEEEEEE10hipError_tPvRmT0_T1_T2_T3_T4_T5_mmT6_P12ihipStream_tbEUlT_E_NS1_11comp_targetILNS1_3genE10ELNS1_11target_archE1200ELNS1_3gpuE4ELNS1_3repE0EEENS1_30default_config_static_selectorELNS0_4arch9wavefront6targetE0EEEvS10_
                                        ; -- End function
	.set _ZN7rocprim17ROCPRIM_400000_NS6detail17trampoline_kernelINS0_14default_configENS1_21merge_config_selectorINS0_5tupleIJyyEEENS0_10empty_typeEEEZNS1_10merge_implIS3_NS0_12zip_iteratorINS5_IJN6thrust23THRUST_200600_302600_NS6detail15normal_iteratorINSC_10device_ptrIKyEEEESI_EEEEESK_NSA_INS5_IJNSE_INSF_IyEEEESM_EEEEEPS7_SP_SP_NSC_11hip_rocprim7__merge17predicate_wrapperIyyNSC_4lessImEEEEEE10hipError_tPvRmT0_T1_T2_T3_T4_T5_mmT6_P12ihipStream_tbEUlT_E_NS1_11comp_targetILNS1_3genE10ELNS1_11target_archE1200ELNS1_3gpuE4ELNS1_3repE0EEENS1_30default_config_static_selectorELNS0_4arch9wavefront6targetE0EEEvS10_.num_vgpr, 0
	.set _ZN7rocprim17ROCPRIM_400000_NS6detail17trampoline_kernelINS0_14default_configENS1_21merge_config_selectorINS0_5tupleIJyyEEENS0_10empty_typeEEEZNS1_10merge_implIS3_NS0_12zip_iteratorINS5_IJN6thrust23THRUST_200600_302600_NS6detail15normal_iteratorINSC_10device_ptrIKyEEEESI_EEEEESK_NSA_INS5_IJNSE_INSF_IyEEEESM_EEEEEPS7_SP_SP_NSC_11hip_rocprim7__merge17predicate_wrapperIyyNSC_4lessImEEEEEE10hipError_tPvRmT0_T1_T2_T3_T4_T5_mmT6_P12ihipStream_tbEUlT_E_NS1_11comp_targetILNS1_3genE10ELNS1_11target_archE1200ELNS1_3gpuE4ELNS1_3repE0EEENS1_30default_config_static_selectorELNS0_4arch9wavefront6targetE0EEEvS10_.num_agpr, 0
	.set _ZN7rocprim17ROCPRIM_400000_NS6detail17trampoline_kernelINS0_14default_configENS1_21merge_config_selectorINS0_5tupleIJyyEEENS0_10empty_typeEEEZNS1_10merge_implIS3_NS0_12zip_iteratorINS5_IJN6thrust23THRUST_200600_302600_NS6detail15normal_iteratorINSC_10device_ptrIKyEEEESI_EEEEESK_NSA_INS5_IJNSE_INSF_IyEEEESM_EEEEEPS7_SP_SP_NSC_11hip_rocprim7__merge17predicate_wrapperIyyNSC_4lessImEEEEEE10hipError_tPvRmT0_T1_T2_T3_T4_T5_mmT6_P12ihipStream_tbEUlT_E_NS1_11comp_targetILNS1_3genE10ELNS1_11target_archE1200ELNS1_3gpuE4ELNS1_3repE0EEENS1_30default_config_static_selectorELNS0_4arch9wavefront6targetE0EEEvS10_.numbered_sgpr, 0
	.set _ZN7rocprim17ROCPRIM_400000_NS6detail17trampoline_kernelINS0_14default_configENS1_21merge_config_selectorINS0_5tupleIJyyEEENS0_10empty_typeEEEZNS1_10merge_implIS3_NS0_12zip_iteratorINS5_IJN6thrust23THRUST_200600_302600_NS6detail15normal_iteratorINSC_10device_ptrIKyEEEESI_EEEEESK_NSA_INS5_IJNSE_INSF_IyEEEESM_EEEEEPS7_SP_SP_NSC_11hip_rocprim7__merge17predicate_wrapperIyyNSC_4lessImEEEEEE10hipError_tPvRmT0_T1_T2_T3_T4_T5_mmT6_P12ihipStream_tbEUlT_E_NS1_11comp_targetILNS1_3genE10ELNS1_11target_archE1200ELNS1_3gpuE4ELNS1_3repE0EEENS1_30default_config_static_selectorELNS0_4arch9wavefront6targetE0EEEvS10_.num_named_barrier, 0
	.set _ZN7rocprim17ROCPRIM_400000_NS6detail17trampoline_kernelINS0_14default_configENS1_21merge_config_selectorINS0_5tupleIJyyEEENS0_10empty_typeEEEZNS1_10merge_implIS3_NS0_12zip_iteratorINS5_IJN6thrust23THRUST_200600_302600_NS6detail15normal_iteratorINSC_10device_ptrIKyEEEESI_EEEEESK_NSA_INS5_IJNSE_INSF_IyEEEESM_EEEEEPS7_SP_SP_NSC_11hip_rocprim7__merge17predicate_wrapperIyyNSC_4lessImEEEEEE10hipError_tPvRmT0_T1_T2_T3_T4_T5_mmT6_P12ihipStream_tbEUlT_E_NS1_11comp_targetILNS1_3genE10ELNS1_11target_archE1200ELNS1_3gpuE4ELNS1_3repE0EEENS1_30default_config_static_selectorELNS0_4arch9wavefront6targetE0EEEvS10_.private_seg_size, 0
	.set _ZN7rocprim17ROCPRIM_400000_NS6detail17trampoline_kernelINS0_14default_configENS1_21merge_config_selectorINS0_5tupleIJyyEEENS0_10empty_typeEEEZNS1_10merge_implIS3_NS0_12zip_iteratorINS5_IJN6thrust23THRUST_200600_302600_NS6detail15normal_iteratorINSC_10device_ptrIKyEEEESI_EEEEESK_NSA_INS5_IJNSE_INSF_IyEEEESM_EEEEEPS7_SP_SP_NSC_11hip_rocprim7__merge17predicate_wrapperIyyNSC_4lessImEEEEEE10hipError_tPvRmT0_T1_T2_T3_T4_T5_mmT6_P12ihipStream_tbEUlT_E_NS1_11comp_targetILNS1_3genE10ELNS1_11target_archE1200ELNS1_3gpuE4ELNS1_3repE0EEENS1_30default_config_static_selectorELNS0_4arch9wavefront6targetE0EEEvS10_.uses_vcc, 0
	.set _ZN7rocprim17ROCPRIM_400000_NS6detail17trampoline_kernelINS0_14default_configENS1_21merge_config_selectorINS0_5tupleIJyyEEENS0_10empty_typeEEEZNS1_10merge_implIS3_NS0_12zip_iteratorINS5_IJN6thrust23THRUST_200600_302600_NS6detail15normal_iteratorINSC_10device_ptrIKyEEEESI_EEEEESK_NSA_INS5_IJNSE_INSF_IyEEEESM_EEEEEPS7_SP_SP_NSC_11hip_rocprim7__merge17predicate_wrapperIyyNSC_4lessImEEEEEE10hipError_tPvRmT0_T1_T2_T3_T4_T5_mmT6_P12ihipStream_tbEUlT_E_NS1_11comp_targetILNS1_3genE10ELNS1_11target_archE1200ELNS1_3gpuE4ELNS1_3repE0EEENS1_30default_config_static_selectorELNS0_4arch9wavefront6targetE0EEEvS10_.uses_flat_scratch, 0
	.set _ZN7rocprim17ROCPRIM_400000_NS6detail17trampoline_kernelINS0_14default_configENS1_21merge_config_selectorINS0_5tupleIJyyEEENS0_10empty_typeEEEZNS1_10merge_implIS3_NS0_12zip_iteratorINS5_IJN6thrust23THRUST_200600_302600_NS6detail15normal_iteratorINSC_10device_ptrIKyEEEESI_EEEEESK_NSA_INS5_IJNSE_INSF_IyEEEESM_EEEEEPS7_SP_SP_NSC_11hip_rocprim7__merge17predicate_wrapperIyyNSC_4lessImEEEEEE10hipError_tPvRmT0_T1_T2_T3_T4_T5_mmT6_P12ihipStream_tbEUlT_E_NS1_11comp_targetILNS1_3genE10ELNS1_11target_archE1200ELNS1_3gpuE4ELNS1_3repE0EEENS1_30default_config_static_selectorELNS0_4arch9wavefront6targetE0EEEvS10_.has_dyn_sized_stack, 0
	.set _ZN7rocprim17ROCPRIM_400000_NS6detail17trampoline_kernelINS0_14default_configENS1_21merge_config_selectorINS0_5tupleIJyyEEENS0_10empty_typeEEEZNS1_10merge_implIS3_NS0_12zip_iteratorINS5_IJN6thrust23THRUST_200600_302600_NS6detail15normal_iteratorINSC_10device_ptrIKyEEEESI_EEEEESK_NSA_INS5_IJNSE_INSF_IyEEEESM_EEEEEPS7_SP_SP_NSC_11hip_rocprim7__merge17predicate_wrapperIyyNSC_4lessImEEEEEE10hipError_tPvRmT0_T1_T2_T3_T4_T5_mmT6_P12ihipStream_tbEUlT_E_NS1_11comp_targetILNS1_3genE10ELNS1_11target_archE1200ELNS1_3gpuE4ELNS1_3repE0EEENS1_30default_config_static_selectorELNS0_4arch9wavefront6targetE0EEEvS10_.has_recursion, 0
	.set _ZN7rocprim17ROCPRIM_400000_NS6detail17trampoline_kernelINS0_14default_configENS1_21merge_config_selectorINS0_5tupleIJyyEEENS0_10empty_typeEEEZNS1_10merge_implIS3_NS0_12zip_iteratorINS5_IJN6thrust23THRUST_200600_302600_NS6detail15normal_iteratorINSC_10device_ptrIKyEEEESI_EEEEESK_NSA_INS5_IJNSE_INSF_IyEEEESM_EEEEEPS7_SP_SP_NSC_11hip_rocprim7__merge17predicate_wrapperIyyNSC_4lessImEEEEEE10hipError_tPvRmT0_T1_T2_T3_T4_T5_mmT6_P12ihipStream_tbEUlT_E_NS1_11comp_targetILNS1_3genE10ELNS1_11target_archE1200ELNS1_3gpuE4ELNS1_3repE0EEENS1_30default_config_static_selectorELNS0_4arch9wavefront6targetE0EEEvS10_.has_indirect_call, 0
	.section	.AMDGPU.csdata,"",@progbits
; Kernel info:
; codeLenInByte = 0
; TotalNumSgprs: 0
; NumVgprs: 0
; ScratchSize: 0
; MemoryBound: 0
; FloatMode: 240
; IeeeMode: 1
; LDSByteSize: 0 bytes/workgroup (compile time only)
; SGPRBlocks: 0
; VGPRBlocks: 0
; NumSGPRsForWavesPerEU: 1
; NumVGPRsForWavesPerEU: 1
; Occupancy: 16
; WaveLimiterHint : 0
; COMPUTE_PGM_RSRC2:SCRATCH_EN: 0
; COMPUTE_PGM_RSRC2:USER_SGPR: 6
; COMPUTE_PGM_RSRC2:TRAP_HANDLER: 0
; COMPUTE_PGM_RSRC2:TGID_X_EN: 1
; COMPUTE_PGM_RSRC2:TGID_Y_EN: 0
; COMPUTE_PGM_RSRC2:TGID_Z_EN: 0
; COMPUTE_PGM_RSRC2:TIDIG_COMP_CNT: 0
	.section	.text._ZN7rocprim17ROCPRIM_400000_NS6detail17trampoline_kernelINS0_14default_configENS1_21merge_config_selectorINS0_5tupleIJyyEEENS0_10empty_typeEEEZNS1_10merge_implIS3_NS0_12zip_iteratorINS5_IJN6thrust23THRUST_200600_302600_NS6detail15normal_iteratorINSC_10device_ptrIKyEEEESI_EEEEESK_NSA_INS5_IJNSE_INSF_IyEEEESM_EEEEEPS7_SP_SP_NSC_11hip_rocprim7__merge17predicate_wrapperIyyNSC_4lessImEEEEEE10hipError_tPvRmT0_T1_T2_T3_T4_T5_mmT6_P12ihipStream_tbEUlT_E_NS1_11comp_targetILNS1_3genE9ELNS1_11target_archE1100ELNS1_3gpuE3ELNS1_3repE0EEENS1_30default_config_static_selectorELNS0_4arch9wavefront6targetE0EEEvS10_,"axG",@progbits,_ZN7rocprim17ROCPRIM_400000_NS6detail17trampoline_kernelINS0_14default_configENS1_21merge_config_selectorINS0_5tupleIJyyEEENS0_10empty_typeEEEZNS1_10merge_implIS3_NS0_12zip_iteratorINS5_IJN6thrust23THRUST_200600_302600_NS6detail15normal_iteratorINSC_10device_ptrIKyEEEESI_EEEEESK_NSA_INS5_IJNSE_INSF_IyEEEESM_EEEEEPS7_SP_SP_NSC_11hip_rocprim7__merge17predicate_wrapperIyyNSC_4lessImEEEEEE10hipError_tPvRmT0_T1_T2_T3_T4_T5_mmT6_P12ihipStream_tbEUlT_E_NS1_11comp_targetILNS1_3genE9ELNS1_11target_archE1100ELNS1_3gpuE3ELNS1_3repE0EEENS1_30default_config_static_selectorELNS0_4arch9wavefront6targetE0EEEvS10_,comdat
	.protected	_ZN7rocprim17ROCPRIM_400000_NS6detail17trampoline_kernelINS0_14default_configENS1_21merge_config_selectorINS0_5tupleIJyyEEENS0_10empty_typeEEEZNS1_10merge_implIS3_NS0_12zip_iteratorINS5_IJN6thrust23THRUST_200600_302600_NS6detail15normal_iteratorINSC_10device_ptrIKyEEEESI_EEEEESK_NSA_INS5_IJNSE_INSF_IyEEEESM_EEEEEPS7_SP_SP_NSC_11hip_rocprim7__merge17predicate_wrapperIyyNSC_4lessImEEEEEE10hipError_tPvRmT0_T1_T2_T3_T4_T5_mmT6_P12ihipStream_tbEUlT_E_NS1_11comp_targetILNS1_3genE9ELNS1_11target_archE1100ELNS1_3gpuE3ELNS1_3repE0EEENS1_30default_config_static_selectorELNS0_4arch9wavefront6targetE0EEEvS10_ ; -- Begin function _ZN7rocprim17ROCPRIM_400000_NS6detail17trampoline_kernelINS0_14default_configENS1_21merge_config_selectorINS0_5tupleIJyyEEENS0_10empty_typeEEEZNS1_10merge_implIS3_NS0_12zip_iteratorINS5_IJN6thrust23THRUST_200600_302600_NS6detail15normal_iteratorINSC_10device_ptrIKyEEEESI_EEEEESK_NSA_INS5_IJNSE_INSF_IyEEEESM_EEEEEPS7_SP_SP_NSC_11hip_rocprim7__merge17predicate_wrapperIyyNSC_4lessImEEEEEE10hipError_tPvRmT0_T1_T2_T3_T4_T5_mmT6_P12ihipStream_tbEUlT_E_NS1_11comp_targetILNS1_3genE9ELNS1_11target_archE1100ELNS1_3gpuE3ELNS1_3repE0EEENS1_30default_config_static_selectorELNS0_4arch9wavefront6targetE0EEEvS10_
	.globl	_ZN7rocprim17ROCPRIM_400000_NS6detail17trampoline_kernelINS0_14default_configENS1_21merge_config_selectorINS0_5tupleIJyyEEENS0_10empty_typeEEEZNS1_10merge_implIS3_NS0_12zip_iteratorINS5_IJN6thrust23THRUST_200600_302600_NS6detail15normal_iteratorINSC_10device_ptrIKyEEEESI_EEEEESK_NSA_INS5_IJNSE_INSF_IyEEEESM_EEEEEPS7_SP_SP_NSC_11hip_rocprim7__merge17predicate_wrapperIyyNSC_4lessImEEEEEE10hipError_tPvRmT0_T1_T2_T3_T4_T5_mmT6_P12ihipStream_tbEUlT_E_NS1_11comp_targetILNS1_3genE9ELNS1_11target_archE1100ELNS1_3gpuE3ELNS1_3repE0EEENS1_30default_config_static_selectorELNS0_4arch9wavefront6targetE0EEEvS10_
	.p2align	8
	.type	_ZN7rocprim17ROCPRIM_400000_NS6detail17trampoline_kernelINS0_14default_configENS1_21merge_config_selectorINS0_5tupleIJyyEEENS0_10empty_typeEEEZNS1_10merge_implIS3_NS0_12zip_iteratorINS5_IJN6thrust23THRUST_200600_302600_NS6detail15normal_iteratorINSC_10device_ptrIKyEEEESI_EEEEESK_NSA_INS5_IJNSE_INSF_IyEEEESM_EEEEEPS7_SP_SP_NSC_11hip_rocprim7__merge17predicate_wrapperIyyNSC_4lessImEEEEEE10hipError_tPvRmT0_T1_T2_T3_T4_T5_mmT6_P12ihipStream_tbEUlT_E_NS1_11comp_targetILNS1_3genE9ELNS1_11target_archE1100ELNS1_3gpuE3ELNS1_3repE0EEENS1_30default_config_static_selectorELNS0_4arch9wavefront6targetE0EEEvS10_,@function
_ZN7rocprim17ROCPRIM_400000_NS6detail17trampoline_kernelINS0_14default_configENS1_21merge_config_selectorINS0_5tupleIJyyEEENS0_10empty_typeEEEZNS1_10merge_implIS3_NS0_12zip_iteratorINS5_IJN6thrust23THRUST_200600_302600_NS6detail15normal_iteratorINSC_10device_ptrIKyEEEESI_EEEEESK_NSA_INS5_IJNSE_INSF_IyEEEESM_EEEEEPS7_SP_SP_NSC_11hip_rocprim7__merge17predicate_wrapperIyyNSC_4lessImEEEEEE10hipError_tPvRmT0_T1_T2_T3_T4_T5_mmT6_P12ihipStream_tbEUlT_E_NS1_11comp_targetILNS1_3genE9ELNS1_11target_archE1100ELNS1_3gpuE3ELNS1_3repE0EEENS1_30default_config_static_selectorELNS0_4arch9wavefront6targetE0EEEvS10_: ; @_ZN7rocprim17ROCPRIM_400000_NS6detail17trampoline_kernelINS0_14default_configENS1_21merge_config_selectorINS0_5tupleIJyyEEENS0_10empty_typeEEEZNS1_10merge_implIS3_NS0_12zip_iteratorINS5_IJN6thrust23THRUST_200600_302600_NS6detail15normal_iteratorINSC_10device_ptrIKyEEEESI_EEEEESK_NSA_INS5_IJNSE_INSF_IyEEEESM_EEEEEPS7_SP_SP_NSC_11hip_rocprim7__merge17predicate_wrapperIyyNSC_4lessImEEEEEE10hipError_tPvRmT0_T1_T2_T3_T4_T5_mmT6_P12ihipStream_tbEUlT_E_NS1_11comp_targetILNS1_3genE9ELNS1_11target_archE1100ELNS1_3gpuE3ELNS1_3repE0EEENS1_30default_config_static_selectorELNS0_4arch9wavefront6targetE0EEEvS10_
; %bb.0:
	.section	.rodata,"a",@progbits
	.p2align	6, 0x0
	.amdhsa_kernel _ZN7rocprim17ROCPRIM_400000_NS6detail17trampoline_kernelINS0_14default_configENS1_21merge_config_selectorINS0_5tupleIJyyEEENS0_10empty_typeEEEZNS1_10merge_implIS3_NS0_12zip_iteratorINS5_IJN6thrust23THRUST_200600_302600_NS6detail15normal_iteratorINSC_10device_ptrIKyEEEESI_EEEEESK_NSA_INS5_IJNSE_INSF_IyEEEESM_EEEEEPS7_SP_SP_NSC_11hip_rocprim7__merge17predicate_wrapperIyyNSC_4lessImEEEEEE10hipError_tPvRmT0_T1_T2_T3_T4_T5_mmT6_P12ihipStream_tbEUlT_E_NS1_11comp_targetILNS1_3genE9ELNS1_11target_archE1100ELNS1_3gpuE3ELNS1_3repE0EEENS1_30default_config_static_selectorELNS0_4arch9wavefront6targetE0EEEvS10_
		.amdhsa_group_segment_fixed_size 0
		.amdhsa_private_segment_fixed_size 0
		.amdhsa_kernarg_size 64
		.amdhsa_user_sgpr_count 6
		.amdhsa_user_sgpr_private_segment_buffer 1
		.amdhsa_user_sgpr_dispatch_ptr 0
		.amdhsa_user_sgpr_queue_ptr 0
		.amdhsa_user_sgpr_kernarg_segment_ptr 1
		.amdhsa_user_sgpr_dispatch_id 0
		.amdhsa_user_sgpr_flat_scratch_init 0
		.amdhsa_user_sgpr_private_segment_size 0
		.amdhsa_wavefront_size32 1
		.amdhsa_uses_dynamic_stack 0
		.amdhsa_system_sgpr_private_segment_wavefront_offset 0
		.amdhsa_system_sgpr_workgroup_id_x 1
		.amdhsa_system_sgpr_workgroup_id_y 0
		.amdhsa_system_sgpr_workgroup_id_z 0
		.amdhsa_system_sgpr_workgroup_info 0
		.amdhsa_system_vgpr_workitem_id 0
		.amdhsa_next_free_vgpr 1
		.amdhsa_next_free_sgpr 1
		.amdhsa_reserve_vcc 0
		.amdhsa_reserve_flat_scratch 0
		.amdhsa_float_round_mode_32 0
		.amdhsa_float_round_mode_16_64 0
		.amdhsa_float_denorm_mode_32 3
		.amdhsa_float_denorm_mode_16_64 3
		.amdhsa_dx10_clamp 1
		.amdhsa_ieee_mode 1
		.amdhsa_fp16_overflow 0
		.amdhsa_workgroup_processor_mode 1
		.amdhsa_memory_ordered 1
		.amdhsa_forward_progress 1
		.amdhsa_shared_vgpr_count 0
		.amdhsa_exception_fp_ieee_invalid_op 0
		.amdhsa_exception_fp_denorm_src 0
		.amdhsa_exception_fp_ieee_div_zero 0
		.amdhsa_exception_fp_ieee_overflow 0
		.amdhsa_exception_fp_ieee_underflow 0
		.amdhsa_exception_fp_ieee_inexact 0
		.amdhsa_exception_int_div_zero 0
	.end_amdhsa_kernel
	.section	.text._ZN7rocprim17ROCPRIM_400000_NS6detail17trampoline_kernelINS0_14default_configENS1_21merge_config_selectorINS0_5tupleIJyyEEENS0_10empty_typeEEEZNS1_10merge_implIS3_NS0_12zip_iteratorINS5_IJN6thrust23THRUST_200600_302600_NS6detail15normal_iteratorINSC_10device_ptrIKyEEEESI_EEEEESK_NSA_INS5_IJNSE_INSF_IyEEEESM_EEEEEPS7_SP_SP_NSC_11hip_rocprim7__merge17predicate_wrapperIyyNSC_4lessImEEEEEE10hipError_tPvRmT0_T1_T2_T3_T4_T5_mmT6_P12ihipStream_tbEUlT_E_NS1_11comp_targetILNS1_3genE9ELNS1_11target_archE1100ELNS1_3gpuE3ELNS1_3repE0EEENS1_30default_config_static_selectorELNS0_4arch9wavefront6targetE0EEEvS10_,"axG",@progbits,_ZN7rocprim17ROCPRIM_400000_NS6detail17trampoline_kernelINS0_14default_configENS1_21merge_config_selectorINS0_5tupleIJyyEEENS0_10empty_typeEEEZNS1_10merge_implIS3_NS0_12zip_iteratorINS5_IJN6thrust23THRUST_200600_302600_NS6detail15normal_iteratorINSC_10device_ptrIKyEEEESI_EEEEESK_NSA_INS5_IJNSE_INSF_IyEEEESM_EEEEEPS7_SP_SP_NSC_11hip_rocprim7__merge17predicate_wrapperIyyNSC_4lessImEEEEEE10hipError_tPvRmT0_T1_T2_T3_T4_T5_mmT6_P12ihipStream_tbEUlT_E_NS1_11comp_targetILNS1_3genE9ELNS1_11target_archE1100ELNS1_3gpuE3ELNS1_3repE0EEENS1_30default_config_static_selectorELNS0_4arch9wavefront6targetE0EEEvS10_,comdat
.Lfunc_end468:
	.size	_ZN7rocprim17ROCPRIM_400000_NS6detail17trampoline_kernelINS0_14default_configENS1_21merge_config_selectorINS0_5tupleIJyyEEENS0_10empty_typeEEEZNS1_10merge_implIS3_NS0_12zip_iteratorINS5_IJN6thrust23THRUST_200600_302600_NS6detail15normal_iteratorINSC_10device_ptrIKyEEEESI_EEEEESK_NSA_INS5_IJNSE_INSF_IyEEEESM_EEEEEPS7_SP_SP_NSC_11hip_rocprim7__merge17predicate_wrapperIyyNSC_4lessImEEEEEE10hipError_tPvRmT0_T1_T2_T3_T4_T5_mmT6_P12ihipStream_tbEUlT_E_NS1_11comp_targetILNS1_3genE9ELNS1_11target_archE1100ELNS1_3gpuE3ELNS1_3repE0EEENS1_30default_config_static_selectorELNS0_4arch9wavefront6targetE0EEEvS10_, .Lfunc_end468-_ZN7rocprim17ROCPRIM_400000_NS6detail17trampoline_kernelINS0_14default_configENS1_21merge_config_selectorINS0_5tupleIJyyEEENS0_10empty_typeEEEZNS1_10merge_implIS3_NS0_12zip_iteratorINS5_IJN6thrust23THRUST_200600_302600_NS6detail15normal_iteratorINSC_10device_ptrIKyEEEESI_EEEEESK_NSA_INS5_IJNSE_INSF_IyEEEESM_EEEEEPS7_SP_SP_NSC_11hip_rocprim7__merge17predicate_wrapperIyyNSC_4lessImEEEEEE10hipError_tPvRmT0_T1_T2_T3_T4_T5_mmT6_P12ihipStream_tbEUlT_E_NS1_11comp_targetILNS1_3genE9ELNS1_11target_archE1100ELNS1_3gpuE3ELNS1_3repE0EEENS1_30default_config_static_selectorELNS0_4arch9wavefront6targetE0EEEvS10_
                                        ; -- End function
	.set _ZN7rocprim17ROCPRIM_400000_NS6detail17trampoline_kernelINS0_14default_configENS1_21merge_config_selectorINS0_5tupleIJyyEEENS0_10empty_typeEEEZNS1_10merge_implIS3_NS0_12zip_iteratorINS5_IJN6thrust23THRUST_200600_302600_NS6detail15normal_iteratorINSC_10device_ptrIKyEEEESI_EEEEESK_NSA_INS5_IJNSE_INSF_IyEEEESM_EEEEEPS7_SP_SP_NSC_11hip_rocprim7__merge17predicate_wrapperIyyNSC_4lessImEEEEEE10hipError_tPvRmT0_T1_T2_T3_T4_T5_mmT6_P12ihipStream_tbEUlT_E_NS1_11comp_targetILNS1_3genE9ELNS1_11target_archE1100ELNS1_3gpuE3ELNS1_3repE0EEENS1_30default_config_static_selectorELNS0_4arch9wavefront6targetE0EEEvS10_.num_vgpr, 0
	.set _ZN7rocprim17ROCPRIM_400000_NS6detail17trampoline_kernelINS0_14default_configENS1_21merge_config_selectorINS0_5tupleIJyyEEENS0_10empty_typeEEEZNS1_10merge_implIS3_NS0_12zip_iteratorINS5_IJN6thrust23THRUST_200600_302600_NS6detail15normal_iteratorINSC_10device_ptrIKyEEEESI_EEEEESK_NSA_INS5_IJNSE_INSF_IyEEEESM_EEEEEPS7_SP_SP_NSC_11hip_rocprim7__merge17predicate_wrapperIyyNSC_4lessImEEEEEE10hipError_tPvRmT0_T1_T2_T3_T4_T5_mmT6_P12ihipStream_tbEUlT_E_NS1_11comp_targetILNS1_3genE9ELNS1_11target_archE1100ELNS1_3gpuE3ELNS1_3repE0EEENS1_30default_config_static_selectorELNS0_4arch9wavefront6targetE0EEEvS10_.num_agpr, 0
	.set _ZN7rocprim17ROCPRIM_400000_NS6detail17trampoline_kernelINS0_14default_configENS1_21merge_config_selectorINS0_5tupleIJyyEEENS0_10empty_typeEEEZNS1_10merge_implIS3_NS0_12zip_iteratorINS5_IJN6thrust23THRUST_200600_302600_NS6detail15normal_iteratorINSC_10device_ptrIKyEEEESI_EEEEESK_NSA_INS5_IJNSE_INSF_IyEEEESM_EEEEEPS7_SP_SP_NSC_11hip_rocprim7__merge17predicate_wrapperIyyNSC_4lessImEEEEEE10hipError_tPvRmT0_T1_T2_T3_T4_T5_mmT6_P12ihipStream_tbEUlT_E_NS1_11comp_targetILNS1_3genE9ELNS1_11target_archE1100ELNS1_3gpuE3ELNS1_3repE0EEENS1_30default_config_static_selectorELNS0_4arch9wavefront6targetE0EEEvS10_.numbered_sgpr, 0
	.set _ZN7rocprim17ROCPRIM_400000_NS6detail17trampoline_kernelINS0_14default_configENS1_21merge_config_selectorINS0_5tupleIJyyEEENS0_10empty_typeEEEZNS1_10merge_implIS3_NS0_12zip_iteratorINS5_IJN6thrust23THRUST_200600_302600_NS6detail15normal_iteratorINSC_10device_ptrIKyEEEESI_EEEEESK_NSA_INS5_IJNSE_INSF_IyEEEESM_EEEEEPS7_SP_SP_NSC_11hip_rocprim7__merge17predicate_wrapperIyyNSC_4lessImEEEEEE10hipError_tPvRmT0_T1_T2_T3_T4_T5_mmT6_P12ihipStream_tbEUlT_E_NS1_11comp_targetILNS1_3genE9ELNS1_11target_archE1100ELNS1_3gpuE3ELNS1_3repE0EEENS1_30default_config_static_selectorELNS0_4arch9wavefront6targetE0EEEvS10_.num_named_barrier, 0
	.set _ZN7rocprim17ROCPRIM_400000_NS6detail17trampoline_kernelINS0_14default_configENS1_21merge_config_selectorINS0_5tupleIJyyEEENS0_10empty_typeEEEZNS1_10merge_implIS3_NS0_12zip_iteratorINS5_IJN6thrust23THRUST_200600_302600_NS6detail15normal_iteratorINSC_10device_ptrIKyEEEESI_EEEEESK_NSA_INS5_IJNSE_INSF_IyEEEESM_EEEEEPS7_SP_SP_NSC_11hip_rocprim7__merge17predicate_wrapperIyyNSC_4lessImEEEEEE10hipError_tPvRmT0_T1_T2_T3_T4_T5_mmT6_P12ihipStream_tbEUlT_E_NS1_11comp_targetILNS1_3genE9ELNS1_11target_archE1100ELNS1_3gpuE3ELNS1_3repE0EEENS1_30default_config_static_selectorELNS0_4arch9wavefront6targetE0EEEvS10_.private_seg_size, 0
	.set _ZN7rocprim17ROCPRIM_400000_NS6detail17trampoline_kernelINS0_14default_configENS1_21merge_config_selectorINS0_5tupleIJyyEEENS0_10empty_typeEEEZNS1_10merge_implIS3_NS0_12zip_iteratorINS5_IJN6thrust23THRUST_200600_302600_NS6detail15normal_iteratorINSC_10device_ptrIKyEEEESI_EEEEESK_NSA_INS5_IJNSE_INSF_IyEEEESM_EEEEEPS7_SP_SP_NSC_11hip_rocprim7__merge17predicate_wrapperIyyNSC_4lessImEEEEEE10hipError_tPvRmT0_T1_T2_T3_T4_T5_mmT6_P12ihipStream_tbEUlT_E_NS1_11comp_targetILNS1_3genE9ELNS1_11target_archE1100ELNS1_3gpuE3ELNS1_3repE0EEENS1_30default_config_static_selectorELNS0_4arch9wavefront6targetE0EEEvS10_.uses_vcc, 0
	.set _ZN7rocprim17ROCPRIM_400000_NS6detail17trampoline_kernelINS0_14default_configENS1_21merge_config_selectorINS0_5tupleIJyyEEENS0_10empty_typeEEEZNS1_10merge_implIS3_NS0_12zip_iteratorINS5_IJN6thrust23THRUST_200600_302600_NS6detail15normal_iteratorINSC_10device_ptrIKyEEEESI_EEEEESK_NSA_INS5_IJNSE_INSF_IyEEEESM_EEEEEPS7_SP_SP_NSC_11hip_rocprim7__merge17predicate_wrapperIyyNSC_4lessImEEEEEE10hipError_tPvRmT0_T1_T2_T3_T4_T5_mmT6_P12ihipStream_tbEUlT_E_NS1_11comp_targetILNS1_3genE9ELNS1_11target_archE1100ELNS1_3gpuE3ELNS1_3repE0EEENS1_30default_config_static_selectorELNS0_4arch9wavefront6targetE0EEEvS10_.uses_flat_scratch, 0
	.set _ZN7rocprim17ROCPRIM_400000_NS6detail17trampoline_kernelINS0_14default_configENS1_21merge_config_selectorINS0_5tupleIJyyEEENS0_10empty_typeEEEZNS1_10merge_implIS3_NS0_12zip_iteratorINS5_IJN6thrust23THRUST_200600_302600_NS6detail15normal_iteratorINSC_10device_ptrIKyEEEESI_EEEEESK_NSA_INS5_IJNSE_INSF_IyEEEESM_EEEEEPS7_SP_SP_NSC_11hip_rocprim7__merge17predicate_wrapperIyyNSC_4lessImEEEEEE10hipError_tPvRmT0_T1_T2_T3_T4_T5_mmT6_P12ihipStream_tbEUlT_E_NS1_11comp_targetILNS1_3genE9ELNS1_11target_archE1100ELNS1_3gpuE3ELNS1_3repE0EEENS1_30default_config_static_selectorELNS0_4arch9wavefront6targetE0EEEvS10_.has_dyn_sized_stack, 0
	.set _ZN7rocprim17ROCPRIM_400000_NS6detail17trampoline_kernelINS0_14default_configENS1_21merge_config_selectorINS0_5tupleIJyyEEENS0_10empty_typeEEEZNS1_10merge_implIS3_NS0_12zip_iteratorINS5_IJN6thrust23THRUST_200600_302600_NS6detail15normal_iteratorINSC_10device_ptrIKyEEEESI_EEEEESK_NSA_INS5_IJNSE_INSF_IyEEEESM_EEEEEPS7_SP_SP_NSC_11hip_rocprim7__merge17predicate_wrapperIyyNSC_4lessImEEEEEE10hipError_tPvRmT0_T1_T2_T3_T4_T5_mmT6_P12ihipStream_tbEUlT_E_NS1_11comp_targetILNS1_3genE9ELNS1_11target_archE1100ELNS1_3gpuE3ELNS1_3repE0EEENS1_30default_config_static_selectorELNS0_4arch9wavefront6targetE0EEEvS10_.has_recursion, 0
	.set _ZN7rocprim17ROCPRIM_400000_NS6detail17trampoline_kernelINS0_14default_configENS1_21merge_config_selectorINS0_5tupleIJyyEEENS0_10empty_typeEEEZNS1_10merge_implIS3_NS0_12zip_iteratorINS5_IJN6thrust23THRUST_200600_302600_NS6detail15normal_iteratorINSC_10device_ptrIKyEEEESI_EEEEESK_NSA_INS5_IJNSE_INSF_IyEEEESM_EEEEEPS7_SP_SP_NSC_11hip_rocprim7__merge17predicate_wrapperIyyNSC_4lessImEEEEEE10hipError_tPvRmT0_T1_T2_T3_T4_T5_mmT6_P12ihipStream_tbEUlT_E_NS1_11comp_targetILNS1_3genE9ELNS1_11target_archE1100ELNS1_3gpuE3ELNS1_3repE0EEENS1_30default_config_static_selectorELNS0_4arch9wavefront6targetE0EEEvS10_.has_indirect_call, 0
	.section	.AMDGPU.csdata,"",@progbits
; Kernel info:
; codeLenInByte = 0
; TotalNumSgprs: 0
; NumVgprs: 0
; ScratchSize: 0
; MemoryBound: 0
; FloatMode: 240
; IeeeMode: 1
; LDSByteSize: 0 bytes/workgroup (compile time only)
; SGPRBlocks: 0
; VGPRBlocks: 0
; NumSGPRsForWavesPerEU: 1
; NumVGPRsForWavesPerEU: 1
; Occupancy: 16
; WaveLimiterHint : 0
; COMPUTE_PGM_RSRC2:SCRATCH_EN: 0
; COMPUTE_PGM_RSRC2:USER_SGPR: 6
; COMPUTE_PGM_RSRC2:TRAP_HANDLER: 0
; COMPUTE_PGM_RSRC2:TGID_X_EN: 1
; COMPUTE_PGM_RSRC2:TGID_Y_EN: 0
; COMPUTE_PGM_RSRC2:TGID_Z_EN: 0
; COMPUTE_PGM_RSRC2:TIDIG_COMP_CNT: 0
	.section	.text._ZN7rocprim17ROCPRIM_400000_NS6detail17trampoline_kernelINS0_14default_configENS1_21merge_config_selectorINS0_5tupleIJyyEEENS0_10empty_typeEEEZNS1_10merge_implIS3_NS0_12zip_iteratorINS5_IJN6thrust23THRUST_200600_302600_NS6detail15normal_iteratorINSC_10device_ptrIKyEEEESI_EEEEESK_NSA_INS5_IJNSE_INSF_IyEEEESM_EEEEEPS7_SP_SP_NSC_11hip_rocprim7__merge17predicate_wrapperIyyNSC_4lessImEEEEEE10hipError_tPvRmT0_T1_T2_T3_T4_T5_mmT6_P12ihipStream_tbEUlT_E_NS1_11comp_targetILNS1_3genE8ELNS1_11target_archE1030ELNS1_3gpuE2ELNS1_3repE0EEENS1_30default_config_static_selectorELNS0_4arch9wavefront6targetE0EEEvS10_,"axG",@progbits,_ZN7rocprim17ROCPRIM_400000_NS6detail17trampoline_kernelINS0_14default_configENS1_21merge_config_selectorINS0_5tupleIJyyEEENS0_10empty_typeEEEZNS1_10merge_implIS3_NS0_12zip_iteratorINS5_IJN6thrust23THRUST_200600_302600_NS6detail15normal_iteratorINSC_10device_ptrIKyEEEESI_EEEEESK_NSA_INS5_IJNSE_INSF_IyEEEESM_EEEEEPS7_SP_SP_NSC_11hip_rocprim7__merge17predicate_wrapperIyyNSC_4lessImEEEEEE10hipError_tPvRmT0_T1_T2_T3_T4_T5_mmT6_P12ihipStream_tbEUlT_E_NS1_11comp_targetILNS1_3genE8ELNS1_11target_archE1030ELNS1_3gpuE2ELNS1_3repE0EEENS1_30default_config_static_selectorELNS0_4arch9wavefront6targetE0EEEvS10_,comdat
	.protected	_ZN7rocprim17ROCPRIM_400000_NS6detail17trampoline_kernelINS0_14default_configENS1_21merge_config_selectorINS0_5tupleIJyyEEENS0_10empty_typeEEEZNS1_10merge_implIS3_NS0_12zip_iteratorINS5_IJN6thrust23THRUST_200600_302600_NS6detail15normal_iteratorINSC_10device_ptrIKyEEEESI_EEEEESK_NSA_INS5_IJNSE_INSF_IyEEEESM_EEEEEPS7_SP_SP_NSC_11hip_rocprim7__merge17predicate_wrapperIyyNSC_4lessImEEEEEE10hipError_tPvRmT0_T1_T2_T3_T4_T5_mmT6_P12ihipStream_tbEUlT_E_NS1_11comp_targetILNS1_3genE8ELNS1_11target_archE1030ELNS1_3gpuE2ELNS1_3repE0EEENS1_30default_config_static_selectorELNS0_4arch9wavefront6targetE0EEEvS10_ ; -- Begin function _ZN7rocprim17ROCPRIM_400000_NS6detail17trampoline_kernelINS0_14default_configENS1_21merge_config_selectorINS0_5tupleIJyyEEENS0_10empty_typeEEEZNS1_10merge_implIS3_NS0_12zip_iteratorINS5_IJN6thrust23THRUST_200600_302600_NS6detail15normal_iteratorINSC_10device_ptrIKyEEEESI_EEEEESK_NSA_INS5_IJNSE_INSF_IyEEEESM_EEEEEPS7_SP_SP_NSC_11hip_rocprim7__merge17predicate_wrapperIyyNSC_4lessImEEEEEE10hipError_tPvRmT0_T1_T2_T3_T4_T5_mmT6_P12ihipStream_tbEUlT_E_NS1_11comp_targetILNS1_3genE8ELNS1_11target_archE1030ELNS1_3gpuE2ELNS1_3repE0EEENS1_30default_config_static_selectorELNS0_4arch9wavefront6targetE0EEEvS10_
	.globl	_ZN7rocprim17ROCPRIM_400000_NS6detail17trampoline_kernelINS0_14default_configENS1_21merge_config_selectorINS0_5tupleIJyyEEENS0_10empty_typeEEEZNS1_10merge_implIS3_NS0_12zip_iteratorINS5_IJN6thrust23THRUST_200600_302600_NS6detail15normal_iteratorINSC_10device_ptrIKyEEEESI_EEEEESK_NSA_INS5_IJNSE_INSF_IyEEEESM_EEEEEPS7_SP_SP_NSC_11hip_rocprim7__merge17predicate_wrapperIyyNSC_4lessImEEEEEE10hipError_tPvRmT0_T1_T2_T3_T4_T5_mmT6_P12ihipStream_tbEUlT_E_NS1_11comp_targetILNS1_3genE8ELNS1_11target_archE1030ELNS1_3gpuE2ELNS1_3repE0EEENS1_30default_config_static_selectorELNS0_4arch9wavefront6targetE0EEEvS10_
	.p2align	8
	.type	_ZN7rocprim17ROCPRIM_400000_NS6detail17trampoline_kernelINS0_14default_configENS1_21merge_config_selectorINS0_5tupleIJyyEEENS0_10empty_typeEEEZNS1_10merge_implIS3_NS0_12zip_iteratorINS5_IJN6thrust23THRUST_200600_302600_NS6detail15normal_iteratorINSC_10device_ptrIKyEEEESI_EEEEESK_NSA_INS5_IJNSE_INSF_IyEEEESM_EEEEEPS7_SP_SP_NSC_11hip_rocprim7__merge17predicate_wrapperIyyNSC_4lessImEEEEEE10hipError_tPvRmT0_T1_T2_T3_T4_T5_mmT6_P12ihipStream_tbEUlT_E_NS1_11comp_targetILNS1_3genE8ELNS1_11target_archE1030ELNS1_3gpuE2ELNS1_3repE0EEENS1_30default_config_static_selectorELNS0_4arch9wavefront6targetE0EEEvS10_,@function
_ZN7rocprim17ROCPRIM_400000_NS6detail17trampoline_kernelINS0_14default_configENS1_21merge_config_selectorINS0_5tupleIJyyEEENS0_10empty_typeEEEZNS1_10merge_implIS3_NS0_12zip_iteratorINS5_IJN6thrust23THRUST_200600_302600_NS6detail15normal_iteratorINSC_10device_ptrIKyEEEESI_EEEEESK_NSA_INS5_IJNSE_INSF_IyEEEESM_EEEEEPS7_SP_SP_NSC_11hip_rocprim7__merge17predicate_wrapperIyyNSC_4lessImEEEEEE10hipError_tPvRmT0_T1_T2_T3_T4_T5_mmT6_P12ihipStream_tbEUlT_E_NS1_11comp_targetILNS1_3genE8ELNS1_11target_archE1030ELNS1_3gpuE2ELNS1_3repE0EEENS1_30default_config_static_selectorELNS0_4arch9wavefront6targetE0EEEvS10_: ; @_ZN7rocprim17ROCPRIM_400000_NS6detail17trampoline_kernelINS0_14default_configENS1_21merge_config_selectorINS0_5tupleIJyyEEENS0_10empty_typeEEEZNS1_10merge_implIS3_NS0_12zip_iteratorINS5_IJN6thrust23THRUST_200600_302600_NS6detail15normal_iteratorINSC_10device_ptrIKyEEEESI_EEEEESK_NSA_INS5_IJNSE_INSF_IyEEEESM_EEEEEPS7_SP_SP_NSC_11hip_rocprim7__merge17predicate_wrapperIyyNSC_4lessImEEEEEE10hipError_tPvRmT0_T1_T2_T3_T4_T5_mmT6_P12ihipStream_tbEUlT_E_NS1_11comp_targetILNS1_3genE8ELNS1_11target_archE1030ELNS1_3gpuE2ELNS1_3repE0EEENS1_30default_config_static_selectorELNS0_4arch9wavefront6targetE0EEEvS10_
; %bb.0:
	s_clause 0x2
	s_load_dword s2, s[4:5], 0x38
	s_load_dword s0, s[4:5], 0x4c
	s_load_dwordx4 s[12:15], s[4:5], 0x28
	s_waitcnt lgkmcnt(0)
	v_cvt_f32_u32_e32 v1, s2
	s_and_b32 s3, s0, 0xffff
	s_add_u32 s0, s14, s12
	s_addc_u32 s1, s15, s13
	s_sub_i32 s8, 0, s2
	v_rcp_iflag_f32_e32 v1, v1
	s_add_i32 s9, s2, s0
	s_add_i32 s9, s9, -1
	v_mul_f32_e32 v1, 0x4f7ffffe, v1
	v_cvt_u32_f32_e32 v1, v1
	v_readfirstlane_b32 s7, v1
	v_mad_u64_u32 v[0:1], null, s6, s3, v[0:1]
	s_mul_i32 s8, s8, s7
	s_mul_hi_u32 s8, s7, s8
	s_add_i32 s7, s7, s8
	s_mul_hi_u32 s7, s9, s7
	s_mul_i32 s8, s7, s2
	s_sub_i32 s8, s9, s8
	s_add_i32 s9, s7, 1
	s_sub_i32 s10, s8, s2
	s_cmp_ge_u32 s8, s2
	s_cselect_b32 s3, s9, s7
	s_cselect_b32 s6, s10, s8
	s_add_i32 s7, s3, 1
	s_cmp_ge_u32 s6, s2
	s_cselect_b32 s3, s7, s3
	v_cmp_ge_u32_e32 vcc_lo, s3, v0
	s_and_saveexec_b32 s3, vcc_lo
	s_cbranch_execz .LBB469_6
; %bb.1:
	v_mul_lo_u32 v1, v0, s2
	v_mov_b32_e32 v2, 0
	s_load_dwordx4 s[8:11], s[4:5], 0x0
	v_cmp_gt_u64_e32 vcc_lo, s[0:1], v[1:2]
	v_cndmask_b32_e32 v6, s0, v1, vcc_lo
	v_cndmask_b32_e64 v7, s1, 0, vcc_lo
	s_mov_b32 s1, exec_lo
	v_sub_co_u32 v1, vcc_lo, v6, s14
	v_subrev_co_ci_u32_e64 v2, null, s15, v7, vcc_lo
	v_cmp_gt_u64_e64 s0, s[12:13], v[6:7]
	v_cmp_gt_u64_e32 vcc_lo, v[1:2], v[6:7]
	v_cndmask_b32_e64 v5, s13, v7, s0
	v_cndmask_b32_e64 v4, s12, v6, s0
	v_cndmask_b32_e64 v3, v2, 0, vcc_lo
	v_cndmask_b32_e64 v2, v1, 0, vcc_lo
	v_cmpx_lt_u64_e64 v[2:3], v[4:5]
	s_cbranch_execz .LBB469_5
; %bb.2:
	s_load_dwordx2 s[2:3], s[4:5], 0x18
	v_lshlrev_b64 v[6:7], 3, v[6:7]
	s_waitcnt lgkmcnt(0)
	v_add_co_u32 v1, vcc_lo, s2, v6
	v_add_co_ci_u32_e64 v6, null, s3, v7, vcc_lo
	s_mov_b32 s2, 0
	s_inst_prefetch 0x1
	.p2align	6
.LBB469_3:                              ; =>This Inner Loop Header: Depth=1
	v_add_co_u32 v7, vcc_lo, v4, v2
	v_add_co_ci_u32_e64 v8, null, v5, v3, vcc_lo
	v_lshrrev_b64 v[7:8], 1, v[7:8]
	v_lshlrev_b64 v[9:10], 3, v[7:8]
	v_xor_b32_e32 v11, -8, v9
	v_xor_b32_e32 v12, -1, v10
	v_add_co_u32 v9, vcc_lo, s10, v9
	v_add_co_ci_u32_e64 v10, null, s11, v10, vcc_lo
	v_add_co_u32 v11, vcc_lo, v1, v11
	v_add_co_ci_u32_e64 v12, null, v6, v12, vcc_lo
	v_add_co_u32 v13, vcc_lo, v7, 1
	global_load_dwordx2 v[9:10], v[9:10], off
	global_load_dwordx2 v[11:12], v[11:12], off
	s_waitcnt vmcnt(0)
	v_cmp_lt_u64_e64 s0, v[11:12], v[9:10]
	v_add_co_ci_u32_e64 v9, null, 0, v8, vcc_lo
	v_cndmask_b32_e64 v5, v5, v8, s0
	v_cndmask_b32_e64 v4, v4, v7, s0
	;; [unrolled: 1-line block ×4, first 2 shown]
	v_cmp_ge_u64_e32 vcc_lo, v[2:3], v[4:5]
	s_or_b32 s2, vcc_lo, s2
	s_andn2_b32 exec_lo, exec_lo, s2
	s_cbranch_execnz .LBB469_3
; %bb.4:
	s_inst_prefetch 0x2
	s_or_b32 exec_lo, exec_lo, s2
.LBB469_5:
	s_or_b32 exec_lo, exec_lo, s1
	v_mov_b32_e32 v1, 0
	v_lshlrev_b64 v[0:1], 2, v[0:1]
	s_waitcnt lgkmcnt(0)
	v_add_co_u32 v0, vcc_lo, s8, v0
	v_add_co_ci_u32_e64 v1, null, s9, v1, vcc_lo
	global_store_dword v[0:1], v2, off
.LBB469_6:
	s_endpgm
	.section	.rodata,"a",@progbits
	.p2align	6, 0x0
	.amdhsa_kernel _ZN7rocprim17ROCPRIM_400000_NS6detail17trampoline_kernelINS0_14default_configENS1_21merge_config_selectorINS0_5tupleIJyyEEENS0_10empty_typeEEEZNS1_10merge_implIS3_NS0_12zip_iteratorINS5_IJN6thrust23THRUST_200600_302600_NS6detail15normal_iteratorINSC_10device_ptrIKyEEEESI_EEEEESK_NSA_INS5_IJNSE_INSF_IyEEEESM_EEEEEPS7_SP_SP_NSC_11hip_rocprim7__merge17predicate_wrapperIyyNSC_4lessImEEEEEE10hipError_tPvRmT0_T1_T2_T3_T4_T5_mmT6_P12ihipStream_tbEUlT_E_NS1_11comp_targetILNS1_3genE8ELNS1_11target_archE1030ELNS1_3gpuE2ELNS1_3repE0EEENS1_30default_config_static_selectorELNS0_4arch9wavefront6targetE0EEEvS10_
		.amdhsa_group_segment_fixed_size 0
		.amdhsa_private_segment_fixed_size 0
		.amdhsa_kernarg_size 320
		.amdhsa_user_sgpr_count 6
		.amdhsa_user_sgpr_private_segment_buffer 1
		.amdhsa_user_sgpr_dispatch_ptr 0
		.amdhsa_user_sgpr_queue_ptr 0
		.amdhsa_user_sgpr_kernarg_segment_ptr 1
		.amdhsa_user_sgpr_dispatch_id 0
		.amdhsa_user_sgpr_flat_scratch_init 0
		.amdhsa_user_sgpr_private_segment_size 0
		.amdhsa_wavefront_size32 1
		.amdhsa_uses_dynamic_stack 0
		.amdhsa_system_sgpr_private_segment_wavefront_offset 0
		.amdhsa_system_sgpr_workgroup_id_x 1
		.amdhsa_system_sgpr_workgroup_id_y 0
		.amdhsa_system_sgpr_workgroup_id_z 0
		.amdhsa_system_sgpr_workgroup_info 0
		.amdhsa_system_vgpr_workitem_id 0
		.amdhsa_next_free_vgpr 14
		.amdhsa_next_free_sgpr 16
		.amdhsa_reserve_vcc 1
		.amdhsa_reserve_flat_scratch 0
		.amdhsa_float_round_mode_32 0
		.amdhsa_float_round_mode_16_64 0
		.amdhsa_float_denorm_mode_32 3
		.amdhsa_float_denorm_mode_16_64 3
		.amdhsa_dx10_clamp 1
		.amdhsa_ieee_mode 1
		.amdhsa_fp16_overflow 0
		.amdhsa_workgroup_processor_mode 1
		.amdhsa_memory_ordered 1
		.amdhsa_forward_progress 1
		.amdhsa_shared_vgpr_count 0
		.amdhsa_exception_fp_ieee_invalid_op 0
		.amdhsa_exception_fp_denorm_src 0
		.amdhsa_exception_fp_ieee_div_zero 0
		.amdhsa_exception_fp_ieee_overflow 0
		.amdhsa_exception_fp_ieee_underflow 0
		.amdhsa_exception_fp_ieee_inexact 0
		.amdhsa_exception_int_div_zero 0
	.end_amdhsa_kernel
	.section	.text._ZN7rocprim17ROCPRIM_400000_NS6detail17trampoline_kernelINS0_14default_configENS1_21merge_config_selectorINS0_5tupleIJyyEEENS0_10empty_typeEEEZNS1_10merge_implIS3_NS0_12zip_iteratorINS5_IJN6thrust23THRUST_200600_302600_NS6detail15normal_iteratorINSC_10device_ptrIKyEEEESI_EEEEESK_NSA_INS5_IJNSE_INSF_IyEEEESM_EEEEEPS7_SP_SP_NSC_11hip_rocprim7__merge17predicate_wrapperIyyNSC_4lessImEEEEEE10hipError_tPvRmT0_T1_T2_T3_T4_T5_mmT6_P12ihipStream_tbEUlT_E_NS1_11comp_targetILNS1_3genE8ELNS1_11target_archE1030ELNS1_3gpuE2ELNS1_3repE0EEENS1_30default_config_static_selectorELNS0_4arch9wavefront6targetE0EEEvS10_,"axG",@progbits,_ZN7rocprim17ROCPRIM_400000_NS6detail17trampoline_kernelINS0_14default_configENS1_21merge_config_selectorINS0_5tupleIJyyEEENS0_10empty_typeEEEZNS1_10merge_implIS3_NS0_12zip_iteratorINS5_IJN6thrust23THRUST_200600_302600_NS6detail15normal_iteratorINSC_10device_ptrIKyEEEESI_EEEEESK_NSA_INS5_IJNSE_INSF_IyEEEESM_EEEEEPS7_SP_SP_NSC_11hip_rocprim7__merge17predicate_wrapperIyyNSC_4lessImEEEEEE10hipError_tPvRmT0_T1_T2_T3_T4_T5_mmT6_P12ihipStream_tbEUlT_E_NS1_11comp_targetILNS1_3genE8ELNS1_11target_archE1030ELNS1_3gpuE2ELNS1_3repE0EEENS1_30default_config_static_selectorELNS0_4arch9wavefront6targetE0EEEvS10_,comdat
.Lfunc_end469:
	.size	_ZN7rocprim17ROCPRIM_400000_NS6detail17trampoline_kernelINS0_14default_configENS1_21merge_config_selectorINS0_5tupleIJyyEEENS0_10empty_typeEEEZNS1_10merge_implIS3_NS0_12zip_iteratorINS5_IJN6thrust23THRUST_200600_302600_NS6detail15normal_iteratorINSC_10device_ptrIKyEEEESI_EEEEESK_NSA_INS5_IJNSE_INSF_IyEEEESM_EEEEEPS7_SP_SP_NSC_11hip_rocprim7__merge17predicate_wrapperIyyNSC_4lessImEEEEEE10hipError_tPvRmT0_T1_T2_T3_T4_T5_mmT6_P12ihipStream_tbEUlT_E_NS1_11comp_targetILNS1_3genE8ELNS1_11target_archE1030ELNS1_3gpuE2ELNS1_3repE0EEENS1_30default_config_static_selectorELNS0_4arch9wavefront6targetE0EEEvS10_, .Lfunc_end469-_ZN7rocprim17ROCPRIM_400000_NS6detail17trampoline_kernelINS0_14default_configENS1_21merge_config_selectorINS0_5tupleIJyyEEENS0_10empty_typeEEEZNS1_10merge_implIS3_NS0_12zip_iteratorINS5_IJN6thrust23THRUST_200600_302600_NS6detail15normal_iteratorINSC_10device_ptrIKyEEEESI_EEEEESK_NSA_INS5_IJNSE_INSF_IyEEEESM_EEEEEPS7_SP_SP_NSC_11hip_rocprim7__merge17predicate_wrapperIyyNSC_4lessImEEEEEE10hipError_tPvRmT0_T1_T2_T3_T4_T5_mmT6_P12ihipStream_tbEUlT_E_NS1_11comp_targetILNS1_3genE8ELNS1_11target_archE1030ELNS1_3gpuE2ELNS1_3repE0EEENS1_30default_config_static_selectorELNS0_4arch9wavefront6targetE0EEEvS10_
                                        ; -- End function
	.set _ZN7rocprim17ROCPRIM_400000_NS6detail17trampoline_kernelINS0_14default_configENS1_21merge_config_selectorINS0_5tupleIJyyEEENS0_10empty_typeEEEZNS1_10merge_implIS3_NS0_12zip_iteratorINS5_IJN6thrust23THRUST_200600_302600_NS6detail15normal_iteratorINSC_10device_ptrIKyEEEESI_EEEEESK_NSA_INS5_IJNSE_INSF_IyEEEESM_EEEEEPS7_SP_SP_NSC_11hip_rocprim7__merge17predicate_wrapperIyyNSC_4lessImEEEEEE10hipError_tPvRmT0_T1_T2_T3_T4_T5_mmT6_P12ihipStream_tbEUlT_E_NS1_11comp_targetILNS1_3genE8ELNS1_11target_archE1030ELNS1_3gpuE2ELNS1_3repE0EEENS1_30default_config_static_selectorELNS0_4arch9wavefront6targetE0EEEvS10_.num_vgpr, 14
	.set _ZN7rocprim17ROCPRIM_400000_NS6detail17trampoline_kernelINS0_14default_configENS1_21merge_config_selectorINS0_5tupleIJyyEEENS0_10empty_typeEEEZNS1_10merge_implIS3_NS0_12zip_iteratorINS5_IJN6thrust23THRUST_200600_302600_NS6detail15normal_iteratorINSC_10device_ptrIKyEEEESI_EEEEESK_NSA_INS5_IJNSE_INSF_IyEEEESM_EEEEEPS7_SP_SP_NSC_11hip_rocprim7__merge17predicate_wrapperIyyNSC_4lessImEEEEEE10hipError_tPvRmT0_T1_T2_T3_T4_T5_mmT6_P12ihipStream_tbEUlT_E_NS1_11comp_targetILNS1_3genE8ELNS1_11target_archE1030ELNS1_3gpuE2ELNS1_3repE0EEENS1_30default_config_static_selectorELNS0_4arch9wavefront6targetE0EEEvS10_.num_agpr, 0
	.set _ZN7rocprim17ROCPRIM_400000_NS6detail17trampoline_kernelINS0_14default_configENS1_21merge_config_selectorINS0_5tupleIJyyEEENS0_10empty_typeEEEZNS1_10merge_implIS3_NS0_12zip_iteratorINS5_IJN6thrust23THRUST_200600_302600_NS6detail15normal_iteratorINSC_10device_ptrIKyEEEESI_EEEEESK_NSA_INS5_IJNSE_INSF_IyEEEESM_EEEEEPS7_SP_SP_NSC_11hip_rocprim7__merge17predicate_wrapperIyyNSC_4lessImEEEEEE10hipError_tPvRmT0_T1_T2_T3_T4_T5_mmT6_P12ihipStream_tbEUlT_E_NS1_11comp_targetILNS1_3genE8ELNS1_11target_archE1030ELNS1_3gpuE2ELNS1_3repE0EEENS1_30default_config_static_selectorELNS0_4arch9wavefront6targetE0EEEvS10_.numbered_sgpr, 16
	.set _ZN7rocprim17ROCPRIM_400000_NS6detail17trampoline_kernelINS0_14default_configENS1_21merge_config_selectorINS0_5tupleIJyyEEENS0_10empty_typeEEEZNS1_10merge_implIS3_NS0_12zip_iteratorINS5_IJN6thrust23THRUST_200600_302600_NS6detail15normal_iteratorINSC_10device_ptrIKyEEEESI_EEEEESK_NSA_INS5_IJNSE_INSF_IyEEEESM_EEEEEPS7_SP_SP_NSC_11hip_rocprim7__merge17predicate_wrapperIyyNSC_4lessImEEEEEE10hipError_tPvRmT0_T1_T2_T3_T4_T5_mmT6_P12ihipStream_tbEUlT_E_NS1_11comp_targetILNS1_3genE8ELNS1_11target_archE1030ELNS1_3gpuE2ELNS1_3repE0EEENS1_30default_config_static_selectorELNS0_4arch9wavefront6targetE0EEEvS10_.num_named_barrier, 0
	.set _ZN7rocprim17ROCPRIM_400000_NS6detail17trampoline_kernelINS0_14default_configENS1_21merge_config_selectorINS0_5tupleIJyyEEENS0_10empty_typeEEEZNS1_10merge_implIS3_NS0_12zip_iteratorINS5_IJN6thrust23THRUST_200600_302600_NS6detail15normal_iteratorINSC_10device_ptrIKyEEEESI_EEEEESK_NSA_INS5_IJNSE_INSF_IyEEEESM_EEEEEPS7_SP_SP_NSC_11hip_rocprim7__merge17predicate_wrapperIyyNSC_4lessImEEEEEE10hipError_tPvRmT0_T1_T2_T3_T4_T5_mmT6_P12ihipStream_tbEUlT_E_NS1_11comp_targetILNS1_3genE8ELNS1_11target_archE1030ELNS1_3gpuE2ELNS1_3repE0EEENS1_30default_config_static_selectorELNS0_4arch9wavefront6targetE0EEEvS10_.private_seg_size, 0
	.set _ZN7rocprim17ROCPRIM_400000_NS6detail17trampoline_kernelINS0_14default_configENS1_21merge_config_selectorINS0_5tupleIJyyEEENS0_10empty_typeEEEZNS1_10merge_implIS3_NS0_12zip_iteratorINS5_IJN6thrust23THRUST_200600_302600_NS6detail15normal_iteratorINSC_10device_ptrIKyEEEESI_EEEEESK_NSA_INS5_IJNSE_INSF_IyEEEESM_EEEEEPS7_SP_SP_NSC_11hip_rocprim7__merge17predicate_wrapperIyyNSC_4lessImEEEEEE10hipError_tPvRmT0_T1_T2_T3_T4_T5_mmT6_P12ihipStream_tbEUlT_E_NS1_11comp_targetILNS1_3genE8ELNS1_11target_archE1030ELNS1_3gpuE2ELNS1_3repE0EEENS1_30default_config_static_selectorELNS0_4arch9wavefront6targetE0EEEvS10_.uses_vcc, 1
	.set _ZN7rocprim17ROCPRIM_400000_NS6detail17trampoline_kernelINS0_14default_configENS1_21merge_config_selectorINS0_5tupleIJyyEEENS0_10empty_typeEEEZNS1_10merge_implIS3_NS0_12zip_iteratorINS5_IJN6thrust23THRUST_200600_302600_NS6detail15normal_iteratorINSC_10device_ptrIKyEEEESI_EEEEESK_NSA_INS5_IJNSE_INSF_IyEEEESM_EEEEEPS7_SP_SP_NSC_11hip_rocprim7__merge17predicate_wrapperIyyNSC_4lessImEEEEEE10hipError_tPvRmT0_T1_T2_T3_T4_T5_mmT6_P12ihipStream_tbEUlT_E_NS1_11comp_targetILNS1_3genE8ELNS1_11target_archE1030ELNS1_3gpuE2ELNS1_3repE0EEENS1_30default_config_static_selectorELNS0_4arch9wavefront6targetE0EEEvS10_.uses_flat_scratch, 0
	.set _ZN7rocprim17ROCPRIM_400000_NS6detail17trampoline_kernelINS0_14default_configENS1_21merge_config_selectorINS0_5tupleIJyyEEENS0_10empty_typeEEEZNS1_10merge_implIS3_NS0_12zip_iteratorINS5_IJN6thrust23THRUST_200600_302600_NS6detail15normal_iteratorINSC_10device_ptrIKyEEEESI_EEEEESK_NSA_INS5_IJNSE_INSF_IyEEEESM_EEEEEPS7_SP_SP_NSC_11hip_rocprim7__merge17predicate_wrapperIyyNSC_4lessImEEEEEE10hipError_tPvRmT0_T1_T2_T3_T4_T5_mmT6_P12ihipStream_tbEUlT_E_NS1_11comp_targetILNS1_3genE8ELNS1_11target_archE1030ELNS1_3gpuE2ELNS1_3repE0EEENS1_30default_config_static_selectorELNS0_4arch9wavefront6targetE0EEEvS10_.has_dyn_sized_stack, 0
	.set _ZN7rocprim17ROCPRIM_400000_NS6detail17trampoline_kernelINS0_14default_configENS1_21merge_config_selectorINS0_5tupleIJyyEEENS0_10empty_typeEEEZNS1_10merge_implIS3_NS0_12zip_iteratorINS5_IJN6thrust23THRUST_200600_302600_NS6detail15normal_iteratorINSC_10device_ptrIKyEEEESI_EEEEESK_NSA_INS5_IJNSE_INSF_IyEEEESM_EEEEEPS7_SP_SP_NSC_11hip_rocprim7__merge17predicate_wrapperIyyNSC_4lessImEEEEEE10hipError_tPvRmT0_T1_T2_T3_T4_T5_mmT6_P12ihipStream_tbEUlT_E_NS1_11comp_targetILNS1_3genE8ELNS1_11target_archE1030ELNS1_3gpuE2ELNS1_3repE0EEENS1_30default_config_static_selectorELNS0_4arch9wavefront6targetE0EEEvS10_.has_recursion, 0
	.set _ZN7rocprim17ROCPRIM_400000_NS6detail17trampoline_kernelINS0_14default_configENS1_21merge_config_selectorINS0_5tupleIJyyEEENS0_10empty_typeEEEZNS1_10merge_implIS3_NS0_12zip_iteratorINS5_IJN6thrust23THRUST_200600_302600_NS6detail15normal_iteratorINSC_10device_ptrIKyEEEESI_EEEEESK_NSA_INS5_IJNSE_INSF_IyEEEESM_EEEEEPS7_SP_SP_NSC_11hip_rocprim7__merge17predicate_wrapperIyyNSC_4lessImEEEEEE10hipError_tPvRmT0_T1_T2_T3_T4_T5_mmT6_P12ihipStream_tbEUlT_E_NS1_11comp_targetILNS1_3genE8ELNS1_11target_archE1030ELNS1_3gpuE2ELNS1_3repE0EEENS1_30default_config_static_selectorELNS0_4arch9wavefront6targetE0EEEvS10_.has_indirect_call, 0
	.section	.AMDGPU.csdata,"",@progbits
; Kernel info:
; codeLenInByte = 540
; TotalNumSgprs: 18
; NumVgprs: 14
; ScratchSize: 0
; MemoryBound: 0
; FloatMode: 240
; IeeeMode: 1
; LDSByteSize: 0 bytes/workgroup (compile time only)
; SGPRBlocks: 0
; VGPRBlocks: 1
; NumSGPRsForWavesPerEU: 18
; NumVGPRsForWavesPerEU: 14
; Occupancy: 16
; WaveLimiterHint : 0
; COMPUTE_PGM_RSRC2:SCRATCH_EN: 0
; COMPUTE_PGM_RSRC2:USER_SGPR: 6
; COMPUTE_PGM_RSRC2:TRAP_HANDLER: 0
; COMPUTE_PGM_RSRC2:TGID_X_EN: 1
; COMPUTE_PGM_RSRC2:TGID_Y_EN: 0
; COMPUTE_PGM_RSRC2:TGID_Z_EN: 0
; COMPUTE_PGM_RSRC2:TIDIG_COMP_CNT: 0
	.section	.text._ZN7rocprim17ROCPRIM_400000_NS6detail17trampoline_kernelINS0_14default_configENS1_21merge_config_selectorINS0_5tupleIJyyEEENS0_10empty_typeEEEZNS1_10merge_implIS3_NS0_12zip_iteratorINS5_IJN6thrust23THRUST_200600_302600_NS6detail15normal_iteratorINSC_10device_ptrIKyEEEESI_EEEEESK_NSA_INS5_IJNSE_INSF_IyEEEESM_EEEEEPS7_SP_SP_NSC_11hip_rocprim7__merge17predicate_wrapperIyyNSC_4lessImEEEEEE10hipError_tPvRmT0_T1_T2_T3_T4_T5_mmT6_P12ihipStream_tbEUlT_E0_NS1_11comp_targetILNS1_3genE0ELNS1_11target_archE4294967295ELNS1_3gpuE0ELNS1_3repE0EEENS1_30default_config_static_selectorELNS0_4arch9wavefront6targetE0EEEvS10_,"axG",@progbits,_ZN7rocprim17ROCPRIM_400000_NS6detail17trampoline_kernelINS0_14default_configENS1_21merge_config_selectorINS0_5tupleIJyyEEENS0_10empty_typeEEEZNS1_10merge_implIS3_NS0_12zip_iteratorINS5_IJN6thrust23THRUST_200600_302600_NS6detail15normal_iteratorINSC_10device_ptrIKyEEEESI_EEEEESK_NSA_INS5_IJNSE_INSF_IyEEEESM_EEEEEPS7_SP_SP_NSC_11hip_rocprim7__merge17predicate_wrapperIyyNSC_4lessImEEEEEE10hipError_tPvRmT0_T1_T2_T3_T4_T5_mmT6_P12ihipStream_tbEUlT_E0_NS1_11comp_targetILNS1_3genE0ELNS1_11target_archE4294967295ELNS1_3gpuE0ELNS1_3repE0EEENS1_30default_config_static_selectorELNS0_4arch9wavefront6targetE0EEEvS10_,comdat
	.protected	_ZN7rocprim17ROCPRIM_400000_NS6detail17trampoline_kernelINS0_14default_configENS1_21merge_config_selectorINS0_5tupleIJyyEEENS0_10empty_typeEEEZNS1_10merge_implIS3_NS0_12zip_iteratorINS5_IJN6thrust23THRUST_200600_302600_NS6detail15normal_iteratorINSC_10device_ptrIKyEEEESI_EEEEESK_NSA_INS5_IJNSE_INSF_IyEEEESM_EEEEEPS7_SP_SP_NSC_11hip_rocprim7__merge17predicate_wrapperIyyNSC_4lessImEEEEEE10hipError_tPvRmT0_T1_T2_T3_T4_T5_mmT6_P12ihipStream_tbEUlT_E0_NS1_11comp_targetILNS1_3genE0ELNS1_11target_archE4294967295ELNS1_3gpuE0ELNS1_3repE0EEENS1_30default_config_static_selectorELNS0_4arch9wavefront6targetE0EEEvS10_ ; -- Begin function _ZN7rocprim17ROCPRIM_400000_NS6detail17trampoline_kernelINS0_14default_configENS1_21merge_config_selectorINS0_5tupleIJyyEEENS0_10empty_typeEEEZNS1_10merge_implIS3_NS0_12zip_iteratorINS5_IJN6thrust23THRUST_200600_302600_NS6detail15normal_iteratorINSC_10device_ptrIKyEEEESI_EEEEESK_NSA_INS5_IJNSE_INSF_IyEEEESM_EEEEEPS7_SP_SP_NSC_11hip_rocprim7__merge17predicate_wrapperIyyNSC_4lessImEEEEEE10hipError_tPvRmT0_T1_T2_T3_T4_T5_mmT6_P12ihipStream_tbEUlT_E0_NS1_11comp_targetILNS1_3genE0ELNS1_11target_archE4294967295ELNS1_3gpuE0ELNS1_3repE0EEENS1_30default_config_static_selectorELNS0_4arch9wavefront6targetE0EEEvS10_
	.globl	_ZN7rocprim17ROCPRIM_400000_NS6detail17trampoline_kernelINS0_14default_configENS1_21merge_config_selectorINS0_5tupleIJyyEEENS0_10empty_typeEEEZNS1_10merge_implIS3_NS0_12zip_iteratorINS5_IJN6thrust23THRUST_200600_302600_NS6detail15normal_iteratorINSC_10device_ptrIKyEEEESI_EEEEESK_NSA_INS5_IJNSE_INSF_IyEEEESM_EEEEEPS7_SP_SP_NSC_11hip_rocprim7__merge17predicate_wrapperIyyNSC_4lessImEEEEEE10hipError_tPvRmT0_T1_T2_T3_T4_T5_mmT6_P12ihipStream_tbEUlT_E0_NS1_11comp_targetILNS1_3genE0ELNS1_11target_archE4294967295ELNS1_3gpuE0ELNS1_3repE0EEENS1_30default_config_static_selectorELNS0_4arch9wavefront6targetE0EEEvS10_
	.p2align	8
	.type	_ZN7rocprim17ROCPRIM_400000_NS6detail17trampoline_kernelINS0_14default_configENS1_21merge_config_selectorINS0_5tupleIJyyEEENS0_10empty_typeEEEZNS1_10merge_implIS3_NS0_12zip_iteratorINS5_IJN6thrust23THRUST_200600_302600_NS6detail15normal_iteratorINSC_10device_ptrIKyEEEESI_EEEEESK_NSA_INS5_IJNSE_INSF_IyEEEESM_EEEEEPS7_SP_SP_NSC_11hip_rocprim7__merge17predicate_wrapperIyyNSC_4lessImEEEEEE10hipError_tPvRmT0_T1_T2_T3_T4_T5_mmT6_P12ihipStream_tbEUlT_E0_NS1_11comp_targetILNS1_3genE0ELNS1_11target_archE4294967295ELNS1_3gpuE0ELNS1_3repE0EEENS1_30default_config_static_selectorELNS0_4arch9wavefront6targetE0EEEvS10_,@function
_ZN7rocprim17ROCPRIM_400000_NS6detail17trampoline_kernelINS0_14default_configENS1_21merge_config_selectorINS0_5tupleIJyyEEENS0_10empty_typeEEEZNS1_10merge_implIS3_NS0_12zip_iteratorINS5_IJN6thrust23THRUST_200600_302600_NS6detail15normal_iteratorINSC_10device_ptrIKyEEEESI_EEEEESK_NSA_INS5_IJNSE_INSF_IyEEEESM_EEEEEPS7_SP_SP_NSC_11hip_rocprim7__merge17predicate_wrapperIyyNSC_4lessImEEEEEE10hipError_tPvRmT0_T1_T2_T3_T4_T5_mmT6_P12ihipStream_tbEUlT_E0_NS1_11comp_targetILNS1_3genE0ELNS1_11target_archE4294967295ELNS1_3gpuE0ELNS1_3repE0EEENS1_30default_config_static_selectorELNS0_4arch9wavefront6targetE0EEEvS10_: ; @_ZN7rocprim17ROCPRIM_400000_NS6detail17trampoline_kernelINS0_14default_configENS1_21merge_config_selectorINS0_5tupleIJyyEEENS0_10empty_typeEEEZNS1_10merge_implIS3_NS0_12zip_iteratorINS5_IJN6thrust23THRUST_200600_302600_NS6detail15normal_iteratorINSC_10device_ptrIKyEEEESI_EEEEESK_NSA_INS5_IJNSE_INSF_IyEEEESM_EEEEEPS7_SP_SP_NSC_11hip_rocprim7__merge17predicate_wrapperIyyNSC_4lessImEEEEEE10hipError_tPvRmT0_T1_T2_T3_T4_T5_mmT6_P12ihipStream_tbEUlT_E0_NS1_11comp_targetILNS1_3genE0ELNS1_11target_archE4294967295ELNS1_3gpuE0ELNS1_3repE0EEENS1_30default_config_static_selectorELNS0_4arch9wavefront6targetE0EEEvS10_
; %bb.0:
	.section	.rodata,"a",@progbits
	.p2align	6, 0x0
	.amdhsa_kernel _ZN7rocprim17ROCPRIM_400000_NS6detail17trampoline_kernelINS0_14default_configENS1_21merge_config_selectorINS0_5tupleIJyyEEENS0_10empty_typeEEEZNS1_10merge_implIS3_NS0_12zip_iteratorINS5_IJN6thrust23THRUST_200600_302600_NS6detail15normal_iteratorINSC_10device_ptrIKyEEEESI_EEEEESK_NSA_INS5_IJNSE_INSF_IyEEEESM_EEEEEPS7_SP_SP_NSC_11hip_rocprim7__merge17predicate_wrapperIyyNSC_4lessImEEEEEE10hipError_tPvRmT0_T1_T2_T3_T4_T5_mmT6_P12ihipStream_tbEUlT_E0_NS1_11comp_targetILNS1_3genE0ELNS1_11target_archE4294967295ELNS1_3gpuE0ELNS1_3repE0EEENS1_30default_config_static_selectorELNS0_4arch9wavefront6targetE0EEEvS10_
		.amdhsa_group_segment_fixed_size 0
		.amdhsa_private_segment_fixed_size 0
		.amdhsa_kernarg_size 112
		.amdhsa_user_sgpr_count 6
		.amdhsa_user_sgpr_private_segment_buffer 1
		.amdhsa_user_sgpr_dispatch_ptr 0
		.amdhsa_user_sgpr_queue_ptr 0
		.amdhsa_user_sgpr_kernarg_segment_ptr 1
		.amdhsa_user_sgpr_dispatch_id 0
		.amdhsa_user_sgpr_flat_scratch_init 0
		.amdhsa_user_sgpr_private_segment_size 0
		.amdhsa_wavefront_size32 1
		.amdhsa_uses_dynamic_stack 0
		.amdhsa_system_sgpr_private_segment_wavefront_offset 0
		.amdhsa_system_sgpr_workgroup_id_x 1
		.amdhsa_system_sgpr_workgroup_id_y 0
		.amdhsa_system_sgpr_workgroup_id_z 0
		.amdhsa_system_sgpr_workgroup_info 0
		.amdhsa_system_vgpr_workitem_id 0
		.amdhsa_next_free_vgpr 1
		.amdhsa_next_free_sgpr 1
		.amdhsa_reserve_vcc 0
		.amdhsa_reserve_flat_scratch 0
		.amdhsa_float_round_mode_32 0
		.amdhsa_float_round_mode_16_64 0
		.amdhsa_float_denorm_mode_32 3
		.amdhsa_float_denorm_mode_16_64 3
		.amdhsa_dx10_clamp 1
		.amdhsa_ieee_mode 1
		.amdhsa_fp16_overflow 0
		.amdhsa_workgroup_processor_mode 1
		.amdhsa_memory_ordered 1
		.amdhsa_forward_progress 1
		.amdhsa_shared_vgpr_count 0
		.amdhsa_exception_fp_ieee_invalid_op 0
		.amdhsa_exception_fp_denorm_src 0
		.amdhsa_exception_fp_ieee_div_zero 0
		.amdhsa_exception_fp_ieee_overflow 0
		.amdhsa_exception_fp_ieee_underflow 0
		.amdhsa_exception_fp_ieee_inexact 0
		.amdhsa_exception_int_div_zero 0
	.end_amdhsa_kernel
	.section	.text._ZN7rocprim17ROCPRIM_400000_NS6detail17trampoline_kernelINS0_14default_configENS1_21merge_config_selectorINS0_5tupleIJyyEEENS0_10empty_typeEEEZNS1_10merge_implIS3_NS0_12zip_iteratorINS5_IJN6thrust23THRUST_200600_302600_NS6detail15normal_iteratorINSC_10device_ptrIKyEEEESI_EEEEESK_NSA_INS5_IJNSE_INSF_IyEEEESM_EEEEEPS7_SP_SP_NSC_11hip_rocprim7__merge17predicate_wrapperIyyNSC_4lessImEEEEEE10hipError_tPvRmT0_T1_T2_T3_T4_T5_mmT6_P12ihipStream_tbEUlT_E0_NS1_11comp_targetILNS1_3genE0ELNS1_11target_archE4294967295ELNS1_3gpuE0ELNS1_3repE0EEENS1_30default_config_static_selectorELNS0_4arch9wavefront6targetE0EEEvS10_,"axG",@progbits,_ZN7rocprim17ROCPRIM_400000_NS6detail17trampoline_kernelINS0_14default_configENS1_21merge_config_selectorINS0_5tupleIJyyEEENS0_10empty_typeEEEZNS1_10merge_implIS3_NS0_12zip_iteratorINS5_IJN6thrust23THRUST_200600_302600_NS6detail15normal_iteratorINSC_10device_ptrIKyEEEESI_EEEEESK_NSA_INS5_IJNSE_INSF_IyEEEESM_EEEEEPS7_SP_SP_NSC_11hip_rocprim7__merge17predicate_wrapperIyyNSC_4lessImEEEEEE10hipError_tPvRmT0_T1_T2_T3_T4_T5_mmT6_P12ihipStream_tbEUlT_E0_NS1_11comp_targetILNS1_3genE0ELNS1_11target_archE4294967295ELNS1_3gpuE0ELNS1_3repE0EEENS1_30default_config_static_selectorELNS0_4arch9wavefront6targetE0EEEvS10_,comdat
.Lfunc_end470:
	.size	_ZN7rocprim17ROCPRIM_400000_NS6detail17trampoline_kernelINS0_14default_configENS1_21merge_config_selectorINS0_5tupleIJyyEEENS0_10empty_typeEEEZNS1_10merge_implIS3_NS0_12zip_iteratorINS5_IJN6thrust23THRUST_200600_302600_NS6detail15normal_iteratorINSC_10device_ptrIKyEEEESI_EEEEESK_NSA_INS5_IJNSE_INSF_IyEEEESM_EEEEEPS7_SP_SP_NSC_11hip_rocprim7__merge17predicate_wrapperIyyNSC_4lessImEEEEEE10hipError_tPvRmT0_T1_T2_T3_T4_T5_mmT6_P12ihipStream_tbEUlT_E0_NS1_11comp_targetILNS1_3genE0ELNS1_11target_archE4294967295ELNS1_3gpuE0ELNS1_3repE0EEENS1_30default_config_static_selectorELNS0_4arch9wavefront6targetE0EEEvS10_, .Lfunc_end470-_ZN7rocprim17ROCPRIM_400000_NS6detail17trampoline_kernelINS0_14default_configENS1_21merge_config_selectorINS0_5tupleIJyyEEENS0_10empty_typeEEEZNS1_10merge_implIS3_NS0_12zip_iteratorINS5_IJN6thrust23THRUST_200600_302600_NS6detail15normal_iteratorINSC_10device_ptrIKyEEEESI_EEEEESK_NSA_INS5_IJNSE_INSF_IyEEEESM_EEEEEPS7_SP_SP_NSC_11hip_rocprim7__merge17predicate_wrapperIyyNSC_4lessImEEEEEE10hipError_tPvRmT0_T1_T2_T3_T4_T5_mmT6_P12ihipStream_tbEUlT_E0_NS1_11comp_targetILNS1_3genE0ELNS1_11target_archE4294967295ELNS1_3gpuE0ELNS1_3repE0EEENS1_30default_config_static_selectorELNS0_4arch9wavefront6targetE0EEEvS10_
                                        ; -- End function
	.set _ZN7rocprim17ROCPRIM_400000_NS6detail17trampoline_kernelINS0_14default_configENS1_21merge_config_selectorINS0_5tupleIJyyEEENS0_10empty_typeEEEZNS1_10merge_implIS3_NS0_12zip_iteratorINS5_IJN6thrust23THRUST_200600_302600_NS6detail15normal_iteratorINSC_10device_ptrIKyEEEESI_EEEEESK_NSA_INS5_IJNSE_INSF_IyEEEESM_EEEEEPS7_SP_SP_NSC_11hip_rocprim7__merge17predicate_wrapperIyyNSC_4lessImEEEEEE10hipError_tPvRmT0_T1_T2_T3_T4_T5_mmT6_P12ihipStream_tbEUlT_E0_NS1_11comp_targetILNS1_3genE0ELNS1_11target_archE4294967295ELNS1_3gpuE0ELNS1_3repE0EEENS1_30default_config_static_selectorELNS0_4arch9wavefront6targetE0EEEvS10_.num_vgpr, 0
	.set _ZN7rocprim17ROCPRIM_400000_NS6detail17trampoline_kernelINS0_14default_configENS1_21merge_config_selectorINS0_5tupleIJyyEEENS0_10empty_typeEEEZNS1_10merge_implIS3_NS0_12zip_iteratorINS5_IJN6thrust23THRUST_200600_302600_NS6detail15normal_iteratorINSC_10device_ptrIKyEEEESI_EEEEESK_NSA_INS5_IJNSE_INSF_IyEEEESM_EEEEEPS7_SP_SP_NSC_11hip_rocprim7__merge17predicate_wrapperIyyNSC_4lessImEEEEEE10hipError_tPvRmT0_T1_T2_T3_T4_T5_mmT6_P12ihipStream_tbEUlT_E0_NS1_11comp_targetILNS1_3genE0ELNS1_11target_archE4294967295ELNS1_3gpuE0ELNS1_3repE0EEENS1_30default_config_static_selectorELNS0_4arch9wavefront6targetE0EEEvS10_.num_agpr, 0
	.set _ZN7rocprim17ROCPRIM_400000_NS6detail17trampoline_kernelINS0_14default_configENS1_21merge_config_selectorINS0_5tupleIJyyEEENS0_10empty_typeEEEZNS1_10merge_implIS3_NS0_12zip_iteratorINS5_IJN6thrust23THRUST_200600_302600_NS6detail15normal_iteratorINSC_10device_ptrIKyEEEESI_EEEEESK_NSA_INS5_IJNSE_INSF_IyEEEESM_EEEEEPS7_SP_SP_NSC_11hip_rocprim7__merge17predicate_wrapperIyyNSC_4lessImEEEEEE10hipError_tPvRmT0_T1_T2_T3_T4_T5_mmT6_P12ihipStream_tbEUlT_E0_NS1_11comp_targetILNS1_3genE0ELNS1_11target_archE4294967295ELNS1_3gpuE0ELNS1_3repE0EEENS1_30default_config_static_selectorELNS0_4arch9wavefront6targetE0EEEvS10_.numbered_sgpr, 0
	.set _ZN7rocprim17ROCPRIM_400000_NS6detail17trampoline_kernelINS0_14default_configENS1_21merge_config_selectorINS0_5tupleIJyyEEENS0_10empty_typeEEEZNS1_10merge_implIS3_NS0_12zip_iteratorINS5_IJN6thrust23THRUST_200600_302600_NS6detail15normal_iteratorINSC_10device_ptrIKyEEEESI_EEEEESK_NSA_INS5_IJNSE_INSF_IyEEEESM_EEEEEPS7_SP_SP_NSC_11hip_rocprim7__merge17predicate_wrapperIyyNSC_4lessImEEEEEE10hipError_tPvRmT0_T1_T2_T3_T4_T5_mmT6_P12ihipStream_tbEUlT_E0_NS1_11comp_targetILNS1_3genE0ELNS1_11target_archE4294967295ELNS1_3gpuE0ELNS1_3repE0EEENS1_30default_config_static_selectorELNS0_4arch9wavefront6targetE0EEEvS10_.num_named_barrier, 0
	.set _ZN7rocprim17ROCPRIM_400000_NS6detail17trampoline_kernelINS0_14default_configENS1_21merge_config_selectorINS0_5tupleIJyyEEENS0_10empty_typeEEEZNS1_10merge_implIS3_NS0_12zip_iteratorINS5_IJN6thrust23THRUST_200600_302600_NS6detail15normal_iteratorINSC_10device_ptrIKyEEEESI_EEEEESK_NSA_INS5_IJNSE_INSF_IyEEEESM_EEEEEPS7_SP_SP_NSC_11hip_rocprim7__merge17predicate_wrapperIyyNSC_4lessImEEEEEE10hipError_tPvRmT0_T1_T2_T3_T4_T5_mmT6_P12ihipStream_tbEUlT_E0_NS1_11comp_targetILNS1_3genE0ELNS1_11target_archE4294967295ELNS1_3gpuE0ELNS1_3repE0EEENS1_30default_config_static_selectorELNS0_4arch9wavefront6targetE0EEEvS10_.private_seg_size, 0
	.set _ZN7rocprim17ROCPRIM_400000_NS6detail17trampoline_kernelINS0_14default_configENS1_21merge_config_selectorINS0_5tupleIJyyEEENS0_10empty_typeEEEZNS1_10merge_implIS3_NS0_12zip_iteratorINS5_IJN6thrust23THRUST_200600_302600_NS6detail15normal_iteratorINSC_10device_ptrIKyEEEESI_EEEEESK_NSA_INS5_IJNSE_INSF_IyEEEESM_EEEEEPS7_SP_SP_NSC_11hip_rocprim7__merge17predicate_wrapperIyyNSC_4lessImEEEEEE10hipError_tPvRmT0_T1_T2_T3_T4_T5_mmT6_P12ihipStream_tbEUlT_E0_NS1_11comp_targetILNS1_3genE0ELNS1_11target_archE4294967295ELNS1_3gpuE0ELNS1_3repE0EEENS1_30default_config_static_selectorELNS0_4arch9wavefront6targetE0EEEvS10_.uses_vcc, 0
	.set _ZN7rocprim17ROCPRIM_400000_NS6detail17trampoline_kernelINS0_14default_configENS1_21merge_config_selectorINS0_5tupleIJyyEEENS0_10empty_typeEEEZNS1_10merge_implIS3_NS0_12zip_iteratorINS5_IJN6thrust23THRUST_200600_302600_NS6detail15normal_iteratorINSC_10device_ptrIKyEEEESI_EEEEESK_NSA_INS5_IJNSE_INSF_IyEEEESM_EEEEEPS7_SP_SP_NSC_11hip_rocprim7__merge17predicate_wrapperIyyNSC_4lessImEEEEEE10hipError_tPvRmT0_T1_T2_T3_T4_T5_mmT6_P12ihipStream_tbEUlT_E0_NS1_11comp_targetILNS1_3genE0ELNS1_11target_archE4294967295ELNS1_3gpuE0ELNS1_3repE0EEENS1_30default_config_static_selectorELNS0_4arch9wavefront6targetE0EEEvS10_.uses_flat_scratch, 0
	.set _ZN7rocprim17ROCPRIM_400000_NS6detail17trampoline_kernelINS0_14default_configENS1_21merge_config_selectorINS0_5tupleIJyyEEENS0_10empty_typeEEEZNS1_10merge_implIS3_NS0_12zip_iteratorINS5_IJN6thrust23THRUST_200600_302600_NS6detail15normal_iteratorINSC_10device_ptrIKyEEEESI_EEEEESK_NSA_INS5_IJNSE_INSF_IyEEEESM_EEEEEPS7_SP_SP_NSC_11hip_rocprim7__merge17predicate_wrapperIyyNSC_4lessImEEEEEE10hipError_tPvRmT0_T1_T2_T3_T4_T5_mmT6_P12ihipStream_tbEUlT_E0_NS1_11comp_targetILNS1_3genE0ELNS1_11target_archE4294967295ELNS1_3gpuE0ELNS1_3repE0EEENS1_30default_config_static_selectorELNS0_4arch9wavefront6targetE0EEEvS10_.has_dyn_sized_stack, 0
	.set _ZN7rocprim17ROCPRIM_400000_NS6detail17trampoline_kernelINS0_14default_configENS1_21merge_config_selectorINS0_5tupleIJyyEEENS0_10empty_typeEEEZNS1_10merge_implIS3_NS0_12zip_iteratorINS5_IJN6thrust23THRUST_200600_302600_NS6detail15normal_iteratorINSC_10device_ptrIKyEEEESI_EEEEESK_NSA_INS5_IJNSE_INSF_IyEEEESM_EEEEEPS7_SP_SP_NSC_11hip_rocprim7__merge17predicate_wrapperIyyNSC_4lessImEEEEEE10hipError_tPvRmT0_T1_T2_T3_T4_T5_mmT6_P12ihipStream_tbEUlT_E0_NS1_11comp_targetILNS1_3genE0ELNS1_11target_archE4294967295ELNS1_3gpuE0ELNS1_3repE0EEENS1_30default_config_static_selectorELNS0_4arch9wavefront6targetE0EEEvS10_.has_recursion, 0
	.set _ZN7rocprim17ROCPRIM_400000_NS6detail17trampoline_kernelINS0_14default_configENS1_21merge_config_selectorINS0_5tupleIJyyEEENS0_10empty_typeEEEZNS1_10merge_implIS3_NS0_12zip_iteratorINS5_IJN6thrust23THRUST_200600_302600_NS6detail15normal_iteratorINSC_10device_ptrIKyEEEESI_EEEEESK_NSA_INS5_IJNSE_INSF_IyEEEESM_EEEEEPS7_SP_SP_NSC_11hip_rocprim7__merge17predicate_wrapperIyyNSC_4lessImEEEEEE10hipError_tPvRmT0_T1_T2_T3_T4_T5_mmT6_P12ihipStream_tbEUlT_E0_NS1_11comp_targetILNS1_3genE0ELNS1_11target_archE4294967295ELNS1_3gpuE0ELNS1_3repE0EEENS1_30default_config_static_selectorELNS0_4arch9wavefront6targetE0EEEvS10_.has_indirect_call, 0
	.section	.AMDGPU.csdata,"",@progbits
; Kernel info:
; codeLenInByte = 0
; TotalNumSgprs: 0
; NumVgprs: 0
; ScratchSize: 0
; MemoryBound: 0
; FloatMode: 240
; IeeeMode: 1
; LDSByteSize: 0 bytes/workgroup (compile time only)
; SGPRBlocks: 0
; VGPRBlocks: 0
; NumSGPRsForWavesPerEU: 1
; NumVGPRsForWavesPerEU: 1
; Occupancy: 16
; WaveLimiterHint : 0
; COMPUTE_PGM_RSRC2:SCRATCH_EN: 0
; COMPUTE_PGM_RSRC2:USER_SGPR: 6
; COMPUTE_PGM_RSRC2:TRAP_HANDLER: 0
; COMPUTE_PGM_RSRC2:TGID_X_EN: 1
; COMPUTE_PGM_RSRC2:TGID_Y_EN: 0
; COMPUTE_PGM_RSRC2:TGID_Z_EN: 0
; COMPUTE_PGM_RSRC2:TIDIG_COMP_CNT: 0
	.section	.text._ZN7rocprim17ROCPRIM_400000_NS6detail17trampoline_kernelINS0_14default_configENS1_21merge_config_selectorINS0_5tupleIJyyEEENS0_10empty_typeEEEZNS1_10merge_implIS3_NS0_12zip_iteratorINS5_IJN6thrust23THRUST_200600_302600_NS6detail15normal_iteratorINSC_10device_ptrIKyEEEESI_EEEEESK_NSA_INS5_IJNSE_INSF_IyEEEESM_EEEEEPS7_SP_SP_NSC_11hip_rocprim7__merge17predicate_wrapperIyyNSC_4lessImEEEEEE10hipError_tPvRmT0_T1_T2_T3_T4_T5_mmT6_P12ihipStream_tbEUlT_E0_NS1_11comp_targetILNS1_3genE5ELNS1_11target_archE942ELNS1_3gpuE9ELNS1_3repE0EEENS1_30default_config_static_selectorELNS0_4arch9wavefront6targetE0EEEvS10_,"axG",@progbits,_ZN7rocprim17ROCPRIM_400000_NS6detail17trampoline_kernelINS0_14default_configENS1_21merge_config_selectorINS0_5tupleIJyyEEENS0_10empty_typeEEEZNS1_10merge_implIS3_NS0_12zip_iteratorINS5_IJN6thrust23THRUST_200600_302600_NS6detail15normal_iteratorINSC_10device_ptrIKyEEEESI_EEEEESK_NSA_INS5_IJNSE_INSF_IyEEEESM_EEEEEPS7_SP_SP_NSC_11hip_rocprim7__merge17predicate_wrapperIyyNSC_4lessImEEEEEE10hipError_tPvRmT0_T1_T2_T3_T4_T5_mmT6_P12ihipStream_tbEUlT_E0_NS1_11comp_targetILNS1_3genE5ELNS1_11target_archE942ELNS1_3gpuE9ELNS1_3repE0EEENS1_30default_config_static_selectorELNS0_4arch9wavefront6targetE0EEEvS10_,comdat
	.protected	_ZN7rocprim17ROCPRIM_400000_NS6detail17trampoline_kernelINS0_14default_configENS1_21merge_config_selectorINS0_5tupleIJyyEEENS0_10empty_typeEEEZNS1_10merge_implIS3_NS0_12zip_iteratorINS5_IJN6thrust23THRUST_200600_302600_NS6detail15normal_iteratorINSC_10device_ptrIKyEEEESI_EEEEESK_NSA_INS5_IJNSE_INSF_IyEEEESM_EEEEEPS7_SP_SP_NSC_11hip_rocprim7__merge17predicate_wrapperIyyNSC_4lessImEEEEEE10hipError_tPvRmT0_T1_T2_T3_T4_T5_mmT6_P12ihipStream_tbEUlT_E0_NS1_11comp_targetILNS1_3genE5ELNS1_11target_archE942ELNS1_3gpuE9ELNS1_3repE0EEENS1_30default_config_static_selectorELNS0_4arch9wavefront6targetE0EEEvS10_ ; -- Begin function _ZN7rocprim17ROCPRIM_400000_NS6detail17trampoline_kernelINS0_14default_configENS1_21merge_config_selectorINS0_5tupleIJyyEEENS0_10empty_typeEEEZNS1_10merge_implIS3_NS0_12zip_iteratorINS5_IJN6thrust23THRUST_200600_302600_NS6detail15normal_iteratorINSC_10device_ptrIKyEEEESI_EEEEESK_NSA_INS5_IJNSE_INSF_IyEEEESM_EEEEEPS7_SP_SP_NSC_11hip_rocprim7__merge17predicate_wrapperIyyNSC_4lessImEEEEEE10hipError_tPvRmT0_T1_T2_T3_T4_T5_mmT6_P12ihipStream_tbEUlT_E0_NS1_11comp_targetILNS1_3genE5ELNS1_11target_archE942ELNS1_3gpuE9ELNS1_3repE0EEENS1_30default_config_static_selectorELNS0_4arch9wavefront6targetE0EEEvS10_
	.globl	_ZN7rocprim17ROCPRIM_400000_NS6detail17trampoline_kernelINS0_14default_configENS1_21merge_config_selectorINS0_5tupleIJyyEEENS0_10empty_typeEEEZNS1_10merge_implIS3_NS0_12zip_iteratorINS5_IJN6thrust23THRUST_200600_302600_NS6detail15normal_iteratorINSC_10device_ptrIKyEEEESI_EEEEESK_NSA_INS5_IJNSE_INSF_IyEEEESM_EEEEEPS7_SP_SP_NSC_11hip_rocprim7__merge17predicate_wrapperIyyNSC_4lessImEEEEEE10hipError_tPvRmT0_T1_T2_T3_T4_T5_mmT6_P12ihipStream_tbEUlT_E0_NS1_11comp_targetILNS1_3genE5ELNS1_11target_archE942ELNS1_3gpuE9ELNS1_3repE0EEENS1_30default_config_static_selectorELNS0_4arch9wavefront6targetE0EEEvS10_
	.p2align	8
	.type	_ZN7rocprim17ROCPRIM_400000_NS6detail17trampoline_kernelINS0_14default_configENS1_21merge_config_selectorINS0_5tupleIJyyEEENS0_10empty_typeEEEZNS1_10merge_implIS3_NS0_12zip_iteratorINS5_IJN6thrust23THRUST_200600_302600_NS6detail15normal_iteratorINSC_10device_ptrIKyEEEESI_EEEEESK_NSA_INS5_IJNSE_INSF_IyEEEESM_EEEEEPS7_SP_SP_NSC_11hip_rocprim7__merge17predicate_wrapperIyyNSC_4lessImEEEEEE10hipError_tPvRmT0_T1_T2_T3_T4_T5_mmT6_P12ihipStream_tbEUlT_E0_NS1_11comp_targetILNS1_3genE5ELNS1_11target_archE942ELNS1_3gpuE9ELNS1_3repE0EEENS1_30default_config_static_selectorELNS0_4arch9wavefront6targetE0EEEvS10_,@function
_ZN7rocprim17ROCPRIM_400000_NS6detail17trampoline_kernelINS0_14default_configENS1_21merge_config_selectorINS0_5tupleIJyyEEENS0_10empty_typeEEEZNS1_10merge_implIS3_NS0_12zip_iteratorINS5_IJN6thrust23THRUST_200600_302600_NS6detail15normal_iteratorINSC_10device_ptrIKyEEEESI_EEEEESK_NSA_INS5_IJNSE_INSF_IyEEEESM_EEEEEPS7_SP_SP_NSC_11hip_rocprim7__merge17predicate_wrapperIyyNSC_4lessImEEEEEE10hipError_tPvRmT0_T1_T2_T3_T4_T5_mmT6_P12ihipStream_tbEUlT_E0_NS1_11comp_targetILNS1_3genE5ELNS1_11target_archE942ELNS1_3gpuE9ELNS1_3repE0EEENS1_30default_config_static_selectorELNS0_4arch9wavefront6targetE0EEEvS10_: ; @_ZN7rocprim17ROCPRIM_400000_NS6detail17trampoline_kernelINS0_14default_configENS1_21merge_config_selectorINS0_5tupleIJyyEEENS0_10empty_typeEEEZNS1_10merge_implIS3_NS0_12zip_iteratorINS5_IJN6thrust23THRUST_200600_302600_NS6detail15normal_iteratorINSC_10device_ptrIKyEEEESI_EEEEESK_NSA_INS5_IJNSE_INSF_IyEEEESM_EEEEEPS7_SP_SP_NSC_11hip_rocprim7__merge17predicate_wrapperIyyNSC_4lessImEEEEEE10hipError_tPvRmT0_T1_T2_T3_T4_T5_mmT6_P12ihipStream_tbEUlT_E0_NS1_11comp_targetILNS1_3genE5ELNS1_11target_archE942ELNS1_3gpuE9ELNS1_3repE0EEENS1_30default_config_static_selectorELNS0_4arch9wavefront6targetE0EEEvS10_
; %bb.0:
	.section	.rodata,"a",@progbits
	.p2align	6, 0x0
	.amdhsa_kernel _ZN7rocprim17ROCPRIM_400000_NS6detail17trampoline_kernelINS0_14default_configENS1_21merge_config_selectorINS0_5tupleIJyyEEENS0_10empty_typeEEEZNS1_10merge_implIS3_NS0_12zip_iteratorINS5_IJN6thrust23THRUST_200600_302600_NS6detail15normal_iteratorINSC_10device_ptrIKyEEEESI_EEEEESK_NSA_INS5_IJNSE_INSF_IyEEEESM_EEEEEPS7_SP_SP_NSC_11hip_rocprim7__merge17predicate_wrapperIyyNSC_4lessImEEEEEE10hipError_tPvRmT0_T1_T2_T3_T4_T5_mmT6_P12ihipStream_tbEUlT_E0_NS1_11comp_targetILNS1_3genE5ELNS1_11target_archE942ELNS1_3gpuE9ELNS1_3repE0EEENS1_30default_config_static_selectorELNS0_4arch9wavefront6targetE0EEEvS10_
		.amdhsa_group_segment_fixed_size 0
		.amdhsa_private_segment_fixed_size 0
		.amdhsa_kernarg_size 112
		.amdhsa_user_sgpr_count 6
		.amdhsa_user_sgpr_private_segment_buffer 1
		.amdhsa_user_sgpr_dispatch_ptr 0
		.amdhsa_user_sgpr_queue_ptr 0
		.amdhsa_user_sgpr_kernarg_segment_ptr 1
		.amdhsa_user_sgpr_dispatch_id 0
		.amdhsa_user_sgpr_flat_scratch_init 0
		.amdhsa_user_sgpr_private_segment_size 0
		.amdhsa_wavefront_size32 1
		.amdhsa_uses_dynamic_stack 0
		.amdhsa_system_sgpr_private_segment_wavefront_offset 0
		.amdhsa_system_sgpr_workgroup_id_x 1
		.amdhsa_system_sgpr_workgroup_id_y 0
		.amdhsa_system_sgpr_workgroup_id_z 0
		.amdhsa_system_sgpr_workgroup_info 0
		.amdhsa_system_vgpr_workitem_id 0
		.amdhsa_next_free_vgpr 1
		.amdhsa_next_free_sgpr 1
		.amdhsa_reserve_vcc 0
		.amdhsa_reserve_flat_scratch 0
		.amdhsa_float_round_mode_32 0
		.amdhsa_float_round_mode_16_64 0
		.amdhsa_float_denorm_mode_32 3
		.amdhsa_float_denorm_mode_16_64 3
		.amdhsa_dx10_clamp 1
		.amdhsa_ieee_mode 1
		.amdhsa_fp16_overflow 0
		.amdhsa_workgroup_processor_mode 1
		.amdhsa_memory_ordered 1
		.amdhsa_forward_progress 1
		.amdhsa_shared_vgpr_count 0
		.amdhsa_exception_fp_ieee_invalid_op 0
		.amdhsa_exception_fp_denorm_src 0
		.amdhsa_exception_fp_ieee_div_zero 0
		.amdhsa_exception_fp_ieee_overflow 0
		.amdhsa_exception_fp_ieee_underflow 0
		.amdhsa_exception_fp_ieee_inexact 0
		.amdhsa_exception_int_div_zero 0
	.end_amdhsa_kernel
	.section	.text._ZN7rocprim17ROCPRIM_400000_NS6detail17trampoline_kernelINS0_14default_configENS1_21merge_config_selectorINS0_5tupleIJyyEEENS0_10empty_typeEEEZNS1_10merge_implIS3_NS0_12zip_iteratorINS5_IJN6thrust23THRUST_200600_302600_NS6detail15normal_iteratorINSC_10device_ptrIKyEEEESI_EEEEESK_NSA_INS5_IJNSE_INSF_IyEEEESM_EEEEEPS7_SP_SP_NSC_11hip_rocprim7__merge17predicate_wrapperIyyNSC_4lessImEEEEEE10hipError_tPvRmT0_T1_T2_T3_T4_T5_mmT6_P12ihipStream_tbEUlT_E0_NS1_11comp_targetILNS1_3genE5ELNS1_11target_archE942ELNS1_3gpuE9ELNS1_3repE0EEENS1_30default_config_static_selectorELNS0_4arch9wavefront6targetE0EEEvS10_,"axG",@progbits,_ZN7rocprim17ROCPRIM_400000_NS6detail17trampoline_kernelINS0_14default_configENS1_21merge_config_selectorINS0_5tupleIJyyEEENS0_10empty_typeEEEZNS1_10merge_implIS3_NS0_12zip_iteratorINS5_IJN6thrust23THRUST_200600_302600_NS6detail15normal_iteratorINSC_10device_ptrIKyEEEESI_EEEEESK_NSA_INS5_IJNSE_INSF_IyEEEESM_EEEEEPS7_SP_SP_NSC_11hip_rocprim7__merge17predicate_wrapperIyyNSC_4lessImEEEEEE10hipError_tPvRmT0_T1_T2_T3_T4_T5_mmT6_P12ihipStream_tbEUlT_E0_NS1_11comp_targetILNS1_3genE5ELNS1_11target_archE942ELNS1_3gpuE9ELNS1_3repE0EEENS1_30default_config_static_selectorELNS0_4arch9wavefront6targetE0EEEvS10_,comdat
.Lfunc_end471:
	.size	_ZN7rocprim17ROCPRIM_400000_NS6detail17trampoline_kernelINS0_14default_configENS1_21merge_config_selectorINS0_5tupleIJyyEEENS0_10empty_typeEEEZNS1_10merge_implIS3_NS0_12zip_iteratorINS5_IJN6thrust23THRUST_200600_302600_NS6detail15normal_iteratorINSC_10device_ptrIKyEEEESI_EEEEESK_NSA_INS5_IJNSE_INSF_IyEEEESM_EEEEEPS7_SP_SP_NSC_11hip_rocprim7__merge17predicate_wrapperIyyNSC_4lessImEEEEEE10hipError_tPvRmT0_T1_T2_T3_T4_T5_mmT6_P12ihipStream_tbEUlT_E0_NS1_11comp_targetILNS1_3genE5ELNS1_11target_archE942ELNS1_3gpuE9ELNS1_3repE0EEENS1_30default_config_static_selectorELNS0_4arch9wavefront6targetE0EEEvS10_, .Lfunc_end471-_ZN7rocprim17ROCPRIM_400000_NS6detail17trampoline_kernelINS0_14default_configENS1_21merge_config_selectorINS0_5tupleIJyyEEENS0_10empty_typeEEEZNS1_10merge_implIS3_NS0_12zip_iteratorINS5_IJN6thrust23THRUST_200600_302600_NS6detail15normal_iteratorINSC_10device_ptrIKyEEEESI_EEEEESK_NSA_INS5_IJNSE_INSF_IyEEEESM_EEEEEPS7_SP_SP_NSC_11hip_rocprim7__merge17predicate_wrapperIyyNSC_4lessImEEEEEE10hipError_tPvRmT0_T1_T2_T3_T4_T5_mmT6_P12ihipStream_tbEUlT_E0_NS1_11comp_targetILNS1_3genE5ELNS1_11target_archE942ELNS1_3gpuE9ELNS1_3repE0EEENS1_30default_config_static_selectorELNS0_4arch9wavefront6targetE0EEEvS10_
                                        ; -- End function
	.set _ZN7rocprim17ROCPRIM_400000_NS6detail17trampoline_kernelINS0_14default_configENS1_21merge_config_selectorINS0_5tupleIJyyEEENS0_10empty_typeEEEZNS1_10merge_implIS3_NS0_12zip_iteratorINS5_IJN6thrust23THRUST_200600_302600_NS6detail15normal_iteratorINSC_10device_ptrIKyEEEESI_EEEEESK_NSA_INS5_IJNSE_INSF_IyEEEESM_EEEEEPS7_SP_SP_NSC_11hip_rocprim7__merge17predicate_wrapperIyyNSC_4lessImEEEEEE10hipError_tPvRmT0_T1_T2_T3_T4_T5_mmT6_P12ihipStream_tbEUlT_E0_NS1_11comp_targetILNS1_3genE5ELNS1_11target_archE942ELNS1_3gpuE9ELNS1_3repE0EEENS1_30default_config_static_selectorELNS0_4arch9wavefront6targetE0EEEvS10_.num_vgpr, 0
	.set _ZN7rocprim17ROCPRIM_400000_NS6detail17trampoline_kernelINS0_14default_configENS1_21merge_config_selectorINS0_5tupleIJyyEEENS0_10empty_typeEEEZNS1_10merge_implIS3_NS0_12zip_iteratorINS5_IJN6thrust23THRUST_200600_302600_NS6detail15normal_iteratorINSC_10device_ptrIKyEEEESI_EEEEESK_NSA_INS5_IJNSE_INSF_IyEEEESM_EEEEEPS7_SP_SP_NSC_11hip_rocprim7__merge17predicate_wrapperIyyNSC_4lessImEEEEEE10hipError_tPvRmT0_T1_T2_T3_T4_T5_mmT6_P12ihipStream_tbEUlT_E0_NS1_11comp_targetILNS1_3genE5ELNS1_11target_archE942ELNS1_3gpuE9ELNS1_3repE0EEENS1_30default_config_static_selectorELNS0_4arch9wavefront6targetE0EEEvS10_.num_agpr, 0
	.set _ZN7rocprim17ROCPRIM_400000_NS6detail17trampoline_kernelINS0_14default_configENS1_21merge_config_selectorINS0_5tupleIJyyEEENS0_10empty_typeEEEZNS1_10merge_implIS3_NS0_12zip_iteratorINS5_IJN6thrust23THRUST_200600_302600_NS6detail15normal_iteratorINSC_10device_ptrIKyEEEESI_EEEEESK_NSA_INS5_IJNSE_INSF_IyEEEESM_EEEEEPS7_SP_SP_NSC_11hip_rocprim7__merge17predicate_wrapperIyyNSC_4lessImEEEEEE10hipError_tPvRmT0_T1_T2_T3_T4_T5_mmT6_P12ihipStream_tbEUlT_E0_NS1_11comp_targetILNS1_3genE5ELNS1_11target_archE942ELNS1_3gpuE9ELNS1_3repE0EEENS1_30default_config_static_selectorELNS0_4arch9wavefront6targetE0EEEvS10_.numbered_sgpr, 0
	.set _ZN7rocprim17ROCPRIM_400000_NS6detail17trampoline_kernelINS0_14default_configENS1_21merge_config_selectorINS0_5tupleIJyyEEENS0_10empty_typeEEEZNS1_10merge_implIS3_NS0_12zip_iteratorINS5_IJN6thrust23THRUST_200600_302600_NS6detail15normal_iteratorINSC_10device_ptrIKyEEEESI_EEEEESK_NSA_INS5_IJNSE_INSF_IyEEEESM_EEEEEPS7_SP_SP_NSC_11hip_rocprim7__merge17predicate_wrapperIyyNSC_4lessImEEEEEE10hipError_tPvRmT0_T1_T2_T3_T4_T5_mmT6_P12ihipStream_tbEUlT_E0_NS1_11comp_targetILNS1_3genE5ELNS1_11target_archE942ELNS1_3gpuE9ELNS1_3repE0EEENS1_30default_config_static_selectorELNS0_4arch9wavefront6targetE0EEEvS10_.num_named_barrier, 0
	.set _ZN7rocprim17ROCPRIM_400000_NS6detail17trampoline_kernelINS0_14default_configENS1_21merge_config_selectorINS0_5tupleIJyyEEENS0_10empty_typeEEEZNS1_10merge_implIS3_NS0_12zip_iteratorINS5_IJN6thrust23THRUST_200600_302600_NS6detail15normal_iteratorINSC_10device_ptrIKyEEEESI_EEEEESK_NSA_INS5_IJNSE_INSF_IyEEEESM_EEEEEPS7_SP_SP_NSC_11hip_rocprim7__merge17predicate_wrapperIyyNSC_4lessImEEEEEE10hipError_tPvRmT0_T1_T2_T3_T4_T5_mmT6_P12ihipStream_tbEUlT_E0_NS1_11comp_targetILNS1_3genE5ELNS1_11target_archE942ELNS1_3gpuE9ELNS1_3repE0EEENS1_30default_config_static_selectorELNS0_4arch9wavefront6targetE0EEEvS10_.private_seg_size, 0
	.set _ZN7rocprim17ROCPRIM_400000_NS6detail17trampoline_kernelINS0_14default_configENS1_21merge_config_selectorINS0_5tupleIJyyEEENS0_10empty_typeEEEZNS1_10merge_implIS3_NS0_12zip_iteratorINS5_IJN6thrust23THRUST_200600_302600_NS6detail15normal_iteratorINSC_10device_ptrIKyEEEESI_EEEEESK_NSA_INS5_IJNSE_INSF_IyEEEESM_EEEEEPS7_SP_SP_NSC_11hip_rocprim7__merge17predicate_wrapperIyyNSC_4lessImEEEEEE10hipError_tPvRmT0_T1_T2_T3_T4_T5_mmT6_P12ihipStream_tbEUlT_E0_NS1_11comp_targetILNS1_3genE5ELNS1_11target_archE942ELNS1_3gpuE9ELNS1_3repE0EEENS1_30default_config_static_selectorELNS0_4arch9wavefront6targetE0EEEvS10_.uses_vcc, 0
	.set _ZN7rocprim17ROCPRIM_400000_NS6detail17trampoline_kernelINS0_14default_configENS1_21merge_config_selectorINS0_5tupleIJyyEEENS0_10empty_typeEEEZNS1_10merge_implIS3_NS0_12zip_iteratorINS5_IJN6thrust23THRUST_200600_302600_NS6detail15normal_iteratorINSC_10device_ptrIKyEEEESI_EEEEESK_NSA_INS5_IJNSE_INSF_IyEEEESM_EEEEEPS7_SP_SP_NSC_11hip_rocprim7__merge17predicate_wrapperIyyNSC_4lessImEEEEEE10hipError_tPvRmT0_T1_T2_T3_T4_T5_mmT6_P12ihipStream_tbEUlT_E0_NS1_11comp_targetILNS1_3genE5ELNS1_11target_archE942ELNS1_3gpuE9ELNS1_3repE0EEENS1_30default_config_static_selectorELNS0_4arch9wavefront6targetE0EEEvS10_.uses_flat_scratch, 0
	.set _ZN7rocprim17ROCPRIM_400000_NS6detail17trampoline_kernelINS0_14default_configENS1_21merge_config_selectorINS0_5tupleIJyyEEENS0_10empty_typeEEEZNS1_10merge_implIS3_NS0_12zip_iteratorINS5_IJN6thrust23THRUST_200600_302600_NS6detail15normal_iteratorINSC_10device_ptrIKyEEEESI_EEEEESK_NSA_INS5_IJNSE_INSF_IyEEEESM_EEEEEPS7_SP_SP_NSC_11hip_rocprim7__merge17predicate_wrapperIyyNSC_4lessImEEEEEE10hipError_tPvRmT0_T1_T2_T3_T4_T5_mmT6_P12ihipStream_tbEUlT_E0_NS1_11comp_targetILNS1_3genE5ELNS1_11target_archE942ELNS1_3gpuE9ELNS1_3repE0EEENS1_30default_config_static_selectorELNS0_4arch9wavefront6targetE0EEEvS10_.has_dyn_sized_stack, 0
	.set _ZN7rocprim17ROCPRIM_400000_NS6detail17trampoline_kernelINS0_14default_configENS1_21merge_config_selectorINS0_5tupleIJyyEEENS0_10empty_typeEEEZNS1_10merge_implIS3_NS0_12zip_iteratorINS5_IJN6thrust23THRUST_200600_302600_NS6detail15normal_iteratorINSC_10device_ptrIKyEEEESI_EEEEESK_NSA_INS5_IJNSE_INSF_IyEEEESM_EEEEEPS7_SP_SP_NSC_11hip_rocprim7__merge17predicate_wrapperIyyNSC_4lessImEEEEEE10hipError_tPvRmT0_T1_T2_T3_T4_T5_mmT6_P12ihipStream_tbEUlT_E0_NS1_11comp_targetILNS1_3genE5ELNS1_11target_archE942ELNS1_3gpuE9ELNS1_3repE0EEENS1_30default_config_static_selectorELNS0_4arch9wavefront6targetE0EEEvS10_.has_recursion, 0
	.set _ZN7rocprim17ROCPRIM_400000_NS6detail17trampoline_kernelINS0_14default_configENS1_21merge_config_selectorINS0_5tupleIJyyEEENS0_10empty_typeEEEZNS1_10merge_implIS3_NS0_12zip_iteratorINS5_IJN6thrust23THRUST_200600_302600_NS6detail15normal_iteratorINSC_10device_ptrIKyEEEESI_EEEEESK_NSA_INS5_IJNSE_INSF_IyEEEESM_EEEEEPS7_SP_SP_NSC_11hip_rocprim7__merge17predicate_wrapperIyyNSC_4lessImEEEEEE10hipError_tPvRmT0_T1_T2_T3_T4_T5_mmT6_P12ihipStream_tbEUlT_E0_NS1_11comp_targetILNS1_3genE5ELNS1_11target_archE942ELNS1_3gpuE9ELNS1_3repE0EEENS1_30default_config_static_selectorELNS0_4arch9wavefront6targetE0EEEvS10_.has_indirect_call, 0
	.section	.AMDGPU.csdata,"",@progbits
; Kernel info:
; codeLenInByte = 0
; TotalNumSgprs: 0
; NumVgprs: 0
; ScratchSize: 0
; MemoryBound: 0
; FloatMode: 240
; IeeeMode: 1
; LDSByteSize: 0 bytes/workgroup (compile time only)
; SGPRBlocks: 0
; VGPRBlocks: 0
; NumSGPRsForWavesPerEU: 1
; NumVGPRsForWavesPerEU: 1
; Occupancy: 16
; WaveLimiterHint : 0
; COMPUTE_PGM_RSRC2:SCRATCH_EN: 0
; COMPUTE_PGM_RSRC2:USER_SGPR: 6
; COMPUTE_PGM_RSRC2:TRAP_HANDLER: 0
; COMPUTE_PGM_RSRC2:TGID_X_EN: 1
; COMPUTE_PGM_RSRC2:TGID_Y_EN: 0
; COMPUTE_PGM_RSRC2:TGID_Z_EN: 0
; COMPUTE_PGM_RSRC2:TIDIG_COMP_CNT: 0
	.section	.text._ZN7rocprim17ROCPRIM_400000_NS6detail17trampoline_kernelINS0_14default_configENS1_21merge_config_selectorINS0_5tupleIJyyEEENS0_10empty_typeEEEZNS1_10merge_implIS3_NS0_12zip_iteratorINS5_IJN6thrust23THRUST_200600_302600_NS6detail15normal_iteratorINSC_10device_ptrIKyEEEESI_EEEEESK_NSA_INS5_IJNSE_INSF_IyEEEESM_EEEEEPS7_SP_SP_NSC_11hip_rocprim7__merge17predicate_wrapperIyyNSC_4lessImEEEEEE10hipError_tPvRmT0_T1_T2_T3_T4_T5_mmT6_P12ihipStream_tbEUlT_E0_NS1_11comp_targetILNS1_3genE4ELNS1_11target_archE910ELNS1_3gpuE8ELNS1_3repE0EEENS1_30default_config_static_selectorELNS0_4arch9wavefront6targetE0EEEvS10_,"axG",@progbits,_ZN7rocprim17ROCPRIM_400000_NS6detail17trampoline_kernelINS0_14default_configENS1_21merge_config_selectorINS0_5tupleIJyyEEENS0_10empty_typeEEEZNS1_10merge_implIS3_NS0_12zip_iteratorINS5_IJN6thrust23THRUST_200600_302600_NS6detail15normal_iteratorINSC_10device_ptrIKyEEEESI_EEEEESK_NSA_INS5_IJNSE_INSF_IyEEEESM_EEEEEPS7_SP_SP_NSC_11hip_rocprim7__merge17predicate_wrapperIyyNSC_4lessImEEEEEE10hipError_tPvRmT0_T1_T2_T3_T4_T5_mmT6_P12ihipStream_tbEUlT_E0_NS1_11comp_targetILNS1_3genE4ELNS1_11target_archE910ELNS1_3gpuE8ELNS1_3repE0EEENS1_30default_config_static_selectorELNS0_4arch9wavefront6targetE0EEEvS10_,comdat
	.protected	_ZN7rocprim17ROCPRIM_400000_NS6detail17trampoline_kernelINS0_14default_configENS1_21merge_config_selectorINS0_5tupleIJyyEEENS0_10empty_typeEEEZNS1_10merge_implIS3_NS0_12zip_iteratorINS5_IJN6thrust23THRUST_200600_302600_NS6detail15normal_iteratorINSC_10device_ptrIKyEEEESI_EEEEESK_NSA_INS5_IJNSE_INSF_IyEEEESM_EEEEEPS7_SP_SP_NSC_11hip_rocprim7__merge17predicate_wrapperIyyNSC_4lessImEEEEEE10hipError_tPvRmT0_T1_T2_T3_T4_T5_mmT6_P12ihipStream_tbEUlT_E0_NS1_11comp_targetILNS1_3genE4ELNS1_11target_archE910ELNS1_3gpuE8ELNS1_3repE0EEENS1_30default_config_static_selectorELNS0_4arch9wavefront6targetE0EEEvS10_ ; -- Begin function _ZN7rocprim17ROCPRIM_400000_NS6detail17trampoline_kernelINS0_14default_configENS1_21merge_config_selectorINS0_5tupleIJyyEEENS0_10empty_typeEEEZNS1_10merge_implIS3_NS0_12zip_iteratorINS5_IJN6thrust23THRUST_200600_302600_NS6detail15normal_iteratorINSC_10device_ptrIKyEEEESI_EEEEESK_NSA_INS5_IJNSE_INSF_IyEEEESM_EEEEEPS7_SP_SP_NSC_11hip_rocprim7__merge17predicate_wrapperIyyNSC_4lessImEEEEEE10hipError_tPvRmT0_T1_T2_T3_T4_T5_mmT6_P12ihipStream_tbEUlT_E0_NS1_11comp_targetILNS1_3genE4ELNS1_11target_archE910ELNS1_3gpuE8ELNS1_3repE0EEENS1_30default_config_static_selectorELNS0_4arch9wavefront6targetE0EEEvS10_
	.globl	_ZN7rocprim17ROCPRIM_400000_NS6detail17trampoline_kernelINS0_14default_configENS1_21merge_config_selectorINS0_5tupleIJyyEEENS0_10empty_typeEEEZNS1_10merge_implIS3_NS0_12zip_iteratorINS5_IJN6thrust23THRUST_200600_302600_NS6detail15normal_iteratorINSC_10device_ptrIKyEEEESI_EEEEESK_NSA_INS5_IJNSE_INSF_IyEEEESM_EEEEEPS7_SP_SP_NSC_11hip_rocprim7__merge17predicate_wrapperIyyNSC_4lessImEEEEEE10hipError_tPvRmT0_T1_T2_T3_T4_T5_mmT6_P12ihipStream_tbEUlT_E0_NS1_11comp_targetILNS1_3genE4ELNS1_11target_archE910ELNS1_3gpuE8ELNS1_3repE0EEENS1_30default_config_static_selectorELNS0_4arch9wavefront6targetE0EEEvS10_
	.p2align	8
	.type	_ZN7rocprim17ROCPRIM_400000_NS6detail17trampoline_kernelINS0_14default_configENS1_21merge_config_selectorINS0_5tupleIJyyEEENS0_10empty_typeEEEZNS1_10merge_implIS3_NS0_12zip_iteratorINS5_IJN6thrust23THRUST_200600_302600_NS6detail15normal_iteratorINSC_10device_ptrIKyEEEESI_EEEEESK_NSA_INS5_IJNSE_INSF_IyEEEESM_EEEEEPS7_SP_SP_NSC_11hip_rocprim7__merge17predicate_wrapperIyyNSC_4lessImEEEEEE10hipError_tPvRmT0_T1_T2_T3_T4_T5_mmT6_P12ihipStream_tbEUlT_E0_NS1_11comp_targetILNS1_3genE4ELNS1_11target_archE910ELNS1_3gpuE8ELNS1_3repE0EEENS1_30default_config_static_selectorELNS0_4arch9wavefront6targetE0EEEvS10_,@function
_ZN7rocprim17ROCPRIM_400000_NS6detail17trampoline_kernelINS0_14default_configENS1_21merge_config_selectorINS0_5tupleIJyyEEENS0_10empty_typeEEEZNS1_10merge_implIS3_NS0_12zip_iteratorINS5_IJN6thrust23THRUST_200600_302600_NS6detail15normal_iteratorINSC_10device_ptrIKyEEEESI_EEEEESK_NSA_INS5_IJNSE_INSF_IyEEEESM_EEEEEPS7_SP_SP_NSC_11hip_rocprim7__merge17predicate_wrapperIyyNSC_4lessImEEEEEE10hipError_tPvRmT0_T1_T2_T3_T4_T5_mmT6_P12ihipStream_tbEUlT_E0_NS1_11comp_targetILNS1_3genE4ELNS1_11target_archE910ELNS1_3gpuE8ELNS1_3repE0EEENS1_30default_config_static_selectorELNS0_4arch9wavefront6targetE0EEEvS10_: ; @_ZN7rocprim17ROCPRIM_400000_NS6detail17trampoline_kernelINS0_14default_configENS1_21merge_config_selectorINS0_5tupleIJyyEEENS0_10empty_typeEEEZNS1_10merge_implIS3_NS0_12zip_iteratorINS5_IJN6thrust23THRUST_200600_302600_NS6detail15normal_iteratorINSC_10device_ptrIKyEEEESI_EEEEESK_NSA_INS5_IJNSE_INSF_IyEEEESM_EEEEEPS7_SP_SP_NSC_11hip_rocprim7__merge17predicate_wrapperIyyNSC_4lessImEEEEEE10hipError_tPvRmT0_T1_T2_T3_T4_T5_mmT6_P12ihipStream_tbEUlT_E0_NS1_11comp_targetILNS1_3genE4ELNS1_11target_archE910ELNS1_3gpuE8ELNS1_3repE0EEENS1_30default_config_static_selectorELNS0_4arch9wavefront6targetE0EEEvS10_
; %bb.0:
	.section	.rodata,"a",@progbits
	.p2align	6, 0x0
	.amdhsa_kernel _ZN7rocprim17ROCPRIM_400000_NS6detail17trampoline_kernelINS0_14default_configENS1_21merge_config_selectorINS0_5tupleIJyyEEENS0_10empty_typeEEEZNS1_10merge_implIS3_NS0_12zip_iteratorINS5_IJN6thrust23THRUST_200600_302600_NS6detail15normal_iteratorINSC_10device_ptrIKyEEEESI_EEEEESK_NSA_INS5_IJNSE_INSF_IyEEEESM_EEEEEPS7_SP_SP_NSC_11hip_rocprim7__merge17predicate_wrapperIyyNSC_4lessImEEEEEE10hipError_tPvRmT0_T1_T2_T3_T4_T5_mmT6_P12ihipStream_tbEUlT_E0_NS1_11comp_targetILNS1_3genE4ELNS1_11target_archE910ELNS1_3gpuE8ELNS1_3repE0EEENS1_30default_config_static_selectorELNS0_4arch9wavefront6targetE0EEEvS10_
		.amdhsa_group_segment_fixed_size 0
		.amdhsa_private_segment_fixed_size 0
		.amdhsa_kernarg_size 112
		.amdhsa_user_sgpr_count 6
		.amdhsa_user_sgpr_private_segment_buffer 1
		.amdhsa_user_sgpr_dispatch_ptr 0
		.amdhsa_user_sgpr_queue_ptr 0
		.amdhsa_user_sgpr_kernarg_segment_ptr 1
		.amdhsa_user_sgpr_dispatch_id 0
		.amdhsa_user_sgpr_flat_scratch_init 0
		.amdhsa_user_sgpr_private_segment_size 0
		.amdhsa_wavefront_size32 1
		.amdhsa_uses_dynamic_stack 0
		.amdhsa_system_sgpr_private_segment_wavefront_offset 0
		.amdhsa_system_sgpr_workgroup_id_x 1
		.amdhsa_system_sgpr_workgroup_id_y 0
		.amdhsa_system_sgpr_workgroup_id_z 0
		.amdhsa_system_sgpr_workgroup_info 0
		.amdhsa_system_vgpr_workitem_id 0
		.amdhsa_next_free_vgpr 1
		.amdhsa_next_free_sgpr 1
		.amdhsa_reserve_vcc 0
		.amdhsa_reserve_flat_scratch 0
		.amdhsa_float_round_mode_32 0
		.amdhsa_float_round_mode_16_64 0
		.amdhsa_float_denorm_mode_32 3
		.amdhsa_float_denorm_mode_16_64 3
		.amdhsa_dx10_clamp 1
		.amdhsa_ieee_mode 1
		.amdhsa_fp16_overflow 0
		.amdhsa_workgroup_processor_mode 1
		.amdhsa_memory_ordered 1
		.amdhsa_forward_progress 1
		.amdhsa_shared_vgpr_count 0
		.amdhsa_exception_fp_ieee_invalid_op 0
		.amdhsa_exception_fp_denorm_src 0
		.amdhsa_exception_fp_ieee_div_zero 0
		.amdhsa_exception_fp_ieee_overflow 0
		.amdhsa_exception_fp_ieee_underflow 0
		.amdhsa_exception_fp_ieee_inexact 0
		.amdhsa_exception_int_div_zero 0
	.end_amdhsa_kernel
	.section	.text._ZN7rocprim17ROCPRIM_400000_NS6detail17trampoline_kernelINS0_14default_configENS1_21merge_config_selectorINS0_5tupleIJyyEEENS0_10empty_typeEEEZNS1_10merge_implIS3_NS0_12zip_iteratorINS5_IJN6thrust23THRUST_200600_302600_NS6detail15normal_iteratorINSC_10device_ptrIKyEEEESI_EEEEESK_NSA_INS5_IJNSE_INSF_IyEEEESM_EEEEEPS7_SP_SP_NSC_11hip_rocprim7__merge17predicate_wrapperIyyNSC_4lessImEEEEEE10hipError_tPvRmT0_T1_T2_T3_T4_T5_mmT6_P12ihipStream_tbEUlT_E0_NS1_11comp_targetILNS1_3genE4ELNS1_11target_archE910ELNS1_3gpuE8ELNS1_3repE0EEENS1_30default_config_static_selectorELNS0_4arch9wavefront6targetE0EEEvS10_,"axG",@progbits,_ZN7rocprim17ROCPRIM_400000_NS6detail17trampoline_kernelINS0_14default_configENS1_21merge_config_selectorINS0_5tupleIJyyEEENS0_10empty_typeEEEZNS1_10merge_implIS3_NS0_12zip_iteratorINS5_IJN6thrust23THRUST_200600_302600_NS6detail15normal_iteratorINSC_10device_ptrIKyEEEESI_EEEEESK_NSA_INS5_IJNSE_INSF_IyEEEESM_EEEEEPS7_SP_SP_NSC_11hip_rocprim7__merge17predicate_wrapperIyyNSC_4lessImEEEEEE10hipError_tPvRmT0_T1_T2_T3_T4_T5_mmT6_P12ihipStream_tbEUlT_E0_NS1_11comp_targetILNS1_3genE4ELNS1_11target_archE910ELNS1_3gpuE8ELNS1_3repE0EEENS1_30default_config_static_selectorELNS0_4arch9wavefront6targetE0EEEvS10_,comdat
.Lfunc_end472:
	.size	_ZN7rocprim17ROCPRIM_400000_NS6detail17trampoline_kernelINS0_14default_configENS1_21merge_config_selectorINS0_5tupleIJyyEEENS0_10empty_typeEEEZNS1_10merge_implIS3_NS0_12zip_iteratorINS5_IJN6thrust23THRUST_200600_302600_NS6detail15normal_iteratorINSC_10device_ptrIKyEEEESI_EEEEESK_NSA_INS5_IJNSE_INSF_IyEEEESM_EEEEEPS7_SP_SP_NSC_11hip_rocprim7__merge17predicate_wrapperIyyNSC_4lessImEEEEEE10hipError_tPvRmT0_T1_T2_T3_T4_T5_mmT6_P12ihipStream_tbEUlT_E0_NS1_11comp_targetILNS1_3genE4ELNS1_11target_archE910ELNS1_3gpuE8ELNS1_3repE0EEENS1_30default_config_static_selectorELNS0_4arch9wavefront6targetE0EEEvS10_, .Lfunc_end472-_ZN7rocprim17ROCPRIM_400000_NS6detail17trampoline_kernelINS0_14default_configENS1_21merge_config_selectorINS0_5tupleIJyyEEENS0_10empty_typeEEEZNS1_10merge_implIS3_NS0_12zip_iteratorINS5_IJN6thrust23THRUST_200600_302600_NS6detail15normal_iteratorINSC_10device_ptrIKyEEEESI_EEEEESK_NSA_INS5_IJNSE_INSF_IyEEEESM_EEEEEPS7_SP_SP_NSC_11hip_rocprim7__merge17predicate_wrapperIyyNSC_4lessImEEEEEE10hipError_tPvRmT0_T1_T2_T3_T4_T5_mmT6_P12ihipStream_tbEUlT_E0_NS1_11comp_targetILNS1_3genE4ELNS1_11target_archE910ELNS1_3gpuE8ELNS1_3repE0EEENS1_30default_config_static_selectorELNS0_4arch9wavefront6targetE0EEEvS10_
                                        ; -- End function
	.set _ZN7rocprim17ROCPRIM_400000_NS6detail17trampoline_kernelINS0_14default_configENS1_21merge_config_selectorINS0_5tupleIJyyEEENS0_10empty_typeEEEZNS1_10merge_implIS3_NS0_12zip_iteratorINS5_IJN6thrust23THRUST_200600_302600_NS6detail15normal_iteratorINSC_10device_ptrIKyEEEESI_EEEEESK_NSA_INS5_IJNSE_INSF_IyEEEESM_EEEEEPS7_SP_SP_NSC_11hip_rocprim7__merge17predicate_wrapperIyyNSC_4lessImEEEEEE10hipError_tPvRmT0_T1_T2_T3_T4_T5_mmT6_P12ihipStream_tbEUlT_E0_NS1_11comp_targetILNS1_3genE4ELNS1_11target_archE910ELNS1_3gpuE8ELNS1_3repE0EEENS1_30default_config_static_selectorELNS0_4arch9wavefront6targetE0EEEvS10_.num_vgpr, 0
	.set _ZN7rocprim17ROCPRIM_400000_NS6detail17trampoline_kernelINS0_14default_configENS1_21merge_config_selectorINS0_5tupleIJyyEEENS0_10empty_typeEEEZNS1_10merge_implIS3_NS0_12zip_iteratorINS5_IJN6thrust23THRUST_200600_302600_NS6detail15normal_iteratorINSC_10device_ptrIKyEEEESI_EEEEESK_NSA_INS5_IJNSE_INSF_IyEEEESM_EEEEEPS7_SP_SP_NSC_11hip_rocprim7__merge17predicate_wrapperIyyNSC_4lessImEEEEEE10hipError_tPvRmT0_T1_T2_T3_T4_T5_mmT6_P12ihipStream_tbEUlT_E0_NS1_11comp_targetILNS1_3genE4ELNS1_11target_archE910ELNS1_3gpuE8ELNS1_3repE0EEENS1_30default_config_static_selectorELNS0_4arch9wavefront6targetE0EEEvS10_.num_agpr, 0
	.set _ZN7rocprim17ROCPRIM_400000_NS6detail17trampoline_kernelINS0_14default_configENS1_21merge_config_selectorINS0_5tupleIJyyEEENS0_10empty_typeEEEZNS1_10merge_implIS3_NS0_12zip_iteratorINS5_IJN6thrust23THRUST_200600_302600_NS6detail15normal_iteratorINSC_10device_ptrIKyEEEESI_EEEEESK_NSA_INS5_IJNSE_INSF_IyEEEESM_EEEEEPS7_SP_SP_NSC_11hip_rocprim7__merge17predicate_wrapperIyyNSC_4lessImEEEEEE10hipError_tPvRmT0_T1_T2_T3_T4_T5_mmT6_P12ihipStream_tbEUlT_E0_NS1_11comp_targetILNS1_3genE4ELNS1_11target_archE910ELNS1_3gpuE8ELNS1_3repE0EEENS1_30default_config_static_selectorELNS0_4arch9wavefront6targetE0EEEvS10_.numbered_sgpr, 0
	.set _ZN7rocprim17ROCPRIM_400000_NS6detail17trampoline_kernelINS0_14default_configENS1_21merge_config_selectorINS0_5tupleIJyyEEENS0_10empty_typeEEEZNS1_10merge_implIS3_NS0_12zip_iteratorINS5_IJN6thrust23THRUST_200600_302600_NS6detail15normal_iteratorINSC_10device_ptrIKyEEEESI_EEEEESK_NSA_INS5_IJNSE_INSF_IyEEEESM_EEEEEPS7_SP_SP_NSC_11hip_rocprim7__merge17predicate_wrapperIyyNSC_4lessImEEEEEE10hipError_tPvRmT0_T1_T2_T3_T4_T5_mmT6_P12ihipStream_tbEUlT_E0_NS1_11comp_targetILNS1_3genE4ELNS1_11target_archE910ELNS1_3gpuE8ELNS1_3repE0EEENS1_30default_config_static_selectorELNS0_4arch9wavefront6targetE0EEEvS10_.num_named_barrier, 0
	.set _ZN7rocprim17ROCPRIM_400000_NS6detail17trampoline_kernelINS0_14default_configENS1_21merge_config_selectorINS0_5tupleIJyyEEENS0_10empty_typeEEEZNS1_10merge_implIS3_NS0_12zip_iteratorINS5_IJN6thrust23THRUST_200600_302600_NS6detail15normal_iteratorINSC_10device_ptrIKyEEEESI_EEEEESK_NSA_INS5_IJNSE_INSF_IyEEEESM_EEEEEPS7_SP_SP_NSC_11hip_rocprim7__merge17predicate_wrapperIyyNSC_4lessImEEEEEE10hipError_tPvRmT0_T1_T2_T3_T4_T5_mmT6_P12ihipStream_tbEUlT_E0_NS1_11comp_targetILNS1_3genE4ELNS1_11target_archE910ELNS1_3gpuE8ELNS1_3repE0EEENS1_30default_config_static_selectorELNS0_4arch9wavefront6targetE0EEEvS10_.private_seg_size, 0
	.set _ZN7rocprim17ROCPRIM_400000_NS6detail17trampoline_kernelINS0_14default_configENS1_21merge_config_selectorINS0_5tupleIJyyEEENS0_10empty_typeEEEZNS1_10merge_implIS3_NS0_12zip_iteratorINS5_IJN6thrust23THRUST_200600_302600_NS6detail15normal_iteratorINSC_10device_ptrIKyEEEESI_EEEEESK_NSA_INS5_IJNSE_INSF_IyEEEESM_EEEEEPS7_SP_SP_NSC_11hip_rocprim7__merge17predicate_wrapperIyyNSC_4lessImEEEEEE10hipError_tPvRmT0_T1_T2_T3_T4_T5_mmT6_P12ihipStream_tbEUlT_E0_NS1_11comp_targetILNS1_3genE4ELNS1_11target_archE910ELNS1_3gpuE8ELNS1_3repE0EEENS1_30default_config_static_selectorELNS0_4arch9wavefront6targetE0EEEvS10_.uses_vcc, 0
	.set _ZN7rocprim17ROCPRIM_400000_NS6detail17trampoline_kernelINS0_14default_configENS1_21merge_config_selectorINS0_5tupleIJyyEEENS0_10empty_typeEEEZNS1_10merge_implIS3_NS0_12zip_iteratorINS5_IJN6thrust23THRUST_200600_302600_NS6detail15normal_iteratorINSC_10device_ptrIKyEEEESI_EEEEESK_NSA_INS5_IJNSE_INSF_IyEEEESM_EEEEEPS7_SP_SP_NSC_11hip_rocprim7__merge17predicate_wrapperIyyNSC_4lessImEEEEEE10hipError_tPvRmT0_T1_T2_T3_T4_T5_mmT6_P12ihipStream_tbEUlT_E0_NS1_11comp_targetILNS1_3genE4ELNS1_11target_archE910ELNS1_3gpuE8ELNS1_3repE0EEENS1_30default_config_static_selectorELNS0_4arch9wavefront6targetE0EEEvS10_.uses_flat_scratch, 0
	.set _ZN7rocprim17ROCPRIM_400000_NS6detail17trampoline_kernelINS0_14default_configENS1_21merge_config_selectorINS0_5tupleIJyyEEENS0_10empty_typeEEEZNS1_10merge_implIS3_NS0_12zip_iteratorINS5_IJN6thrust23THRUST_200600_302600_NS6detail15normal_iteratorINSC_10device_ptrIKyEEEESI_EEEEESK_NSA_INS5_IJNSE_INSF_IyEEEESM_EEEEEPS7_SP_SP_NSC_11hip_rocprim7__merge17predicate_wrapperIyyNSC_4lessImEEEEEE10hipError_tPvRmT0_T1_T2_T3_T4_T5_mmT6_P12ihipStream_tbEUlT_E0_NS1_11comp_targetILNS1_3genE4ELNS1_11target_archE910ELNS1_3gpuE8ELNS1_3repE0EEENS1_30default_config_static_selectorELNS0_4arch9wavefront6targetE0EEEvS10_.has_dyn_sized_stack, 0
	.set _ZN7rocprim17ROCPRIM_400000_NS6detail17trampoline_kernelINS0_14default_configENS1_21merge_config_selectorINS0_5tupleIJyyEEENS0_10empty_typeEEEZNS1_10merge_implIS3_NS0_12zip_iteratorINS5_IJN6thrust23THRUST_200600_302600_NS6detail15normal_iteratorINSC_10device_ptrIKyEEEESI_EEEEESK_NSA_INS5_IJNSE_INSF_IyEEEESM_EEEEEPS7_SP_SP_NSC_11hip_rocprim7__merge17predicate_wrapperIyyNSC_4lessImEEEEEE10hipError_tPvRmT0_T1_T2_T3_T4_T5_mmT6_P12ihipStream_tbEUlT_E0_NS1_11comp_targetILNS1_3genE4ELNS1_11target_archE910ELNS1_3gpuE8ELNS1_3repE0EEENS1_30default_config_static_selectorELNS0_4arch9wavefront6targetE0EEEvS10_.has_recursion, 0
	.set _ZN7rocprim17ROCPRIM_400000_NS6detail17trampoline_kernelINS0_14default_configENS1_21merge_config_selectorINS0_5tupleIJyyEEENS0_10empty_typeEEEZNS1_10merge_implIS3_NS0_12zip_iteratorINS5_IJN6thrust23THRUST_200600_302600_NS6detail15normal_iteratorINSC_10device_ptrIKyEEEESI_EEEEESK_NSA_INS5_IJNSE_INSF_IyEEEESM_EEEEEPS7_SP_SP_NSC_11hip_rocprim7__merge17predicate_wrapperIyyNSC_4lessImEEEEEE10hipError_tPvRmT0_T1_T2_T3_T4_T5_mmT6_P12ihipStream_tbEUlT_E0_NS1_11comp_targetILNS1_3genE4ELNS1_11target_archE910ELNS1_3gpuE8ELNS1_3repE0EEENS1_30default_config_static_selectorELNS0_4arch9wavefront6targetE0EEEvS10_.has_indirect_call, 0
	.section	.AMDGPU.csdata,"",@progbits
; Kernel info:
; codeLenInByte = 0
; TotalNumSgprs: 0
; NumVgprs: 0
; ScratchSize: 0
; MemoryBound: 0
; FloatMode: 240
; IeeeMode: 1
; LDSByteSize: 0 bytes/workgroup (compile time only)
; SGPRBlocks: 0
; VGPRBlocks: 0
; NumSGPRsForWavesPerEU: 1
; NumVGPRsForWavesPerEU: 1
; Occupancy: 16
; WaveLimiterHint : 0
; COMPUTE_PGM_RSRC2:SCRATCH_EN: 0
; COMPUTE_PGM_RSRC2:USER_SGPR: 6
; COMPUTE_PGM_RSRC2:TRAP_HANDLER: 0
; COMPUTE_PGM_RSRC2:TGID_X_EN: 1
; COMPUTE_PGM_RSRC2:TGID_Y_EN: 0
; COMPUTE_PGM_RSRC2:TGID_Z_EN: 0
; COMPUTE_PGM_RSRC2:TIDIG_COMP_CNT: 0
	.section	.text._ZN7rocprim17ROCPRIM_400000_NS6detail17trampoline_kernelINS0_14default_configENS1_21merge_config_selectorINS0_5tupleIJyyEEENS0_10empty_typeEEEZNS1_10merge_implIS3_NS0_12zip_iteratorINS5_IJN6thrust23THRUST_200600_302600_NS6detail15normal_iteratorINSC_10device_ptrIKyEEEESI_EEEEESK_NSA_INS5_IJNSE_INSF_IyEEEESM_EEEEEPS7_SP_SP_NSC_11hip_rocprim7__merge17predicate_wrapperIyyNSC_4lessImEEEEEE10hipError_tPvRmT0_T1_T2_T3_T4_T5_mmT6_P12ihipStream_tbEUlT_E0_NS1_11comp_targetILNS1_3genE3ELNS1_11target_archE908ELNS1_3gpuE7ELNS1_3repE0EEENS1_30default_config_static_selectorELNS0_4arch9wavefront6targetE0EEEvS10_,"axG",@progbits,_ZN7rocprim17ROCPRIM_400000_NS6detail17trampoline_kernelINS0_14default_configENS1_21merge_config_selectorINS0_5tupleIJyyEEENS0_10empty_typeEEEZNS1_10merge_implIS3_NS0_12zip_iteratorINS5_IJN6thrust23THRUST_200600_302600_NS6detail15normal_iteratorINSC_10device_ptrIKyEEEESI_EEEEESK_NSA_INS5_IJNSE_INSF_IyEEEESM_EEEEEPS7_SP_SP_NSC_11hip_rocprim7__merge17predicate_wrapperIyyNSC_4lessImEEEEEE10hipError_tPvRmT0_T1_T2_T3_T4_T5_mmT6_P12ihipStream_tbEUlT_E0_NS1_11comp_targetILNS1_3genE3ELNS1_11target_archE908ELNS1_3gpuE7ELNS1_3repE0EEENS1_30default_config_static_selectorELNS0_4arch9wavefront6targetE0EEEvS10_,comdat
	.protected	_ZN7rocprim17ROCPRIM_400000_NS6detail17trampoline_kernelINS0_14default_configENS1_21merge_config_selectorINS0_5tupleIJyyEEENS0_10empty_typeEEEZNS1_10merge_implIS3_NS0_12zip_iteratorINS5_IJN6thrust23THRUST_200600_302600_NS6detail15normal_iteratorINSC_10device_ptrIKyEEEESI_EEEEESK_NSA_INS5_IJNSE_INSF_IyEEEESM_EEEEEPS7_SP_SP_NSC_11hip_rocprim7__merge17predicate_wrapperIyyNSC_4lessImEEEEEE10hipError_tPvRmT0_T1_T2_T3_T4_T5_mmT6_P12ihipStream_tbEUlT_E0_NS1_11comp_targetILNS1_3genE3ELNS1_11target_archE908ELNS1_3gpuE7ELNS1_3repE0EEENS1_30default_config_static_selectorELNS0_4arch9wavefront6targetE0EEEvS10_ ; -- Begin function _ZN7rocprim17ROCPRIM_400000_NS6detail17trampoline_kernelINS0_14default_configENS1_21merge_config_selectorINS0_5tupleIJyyEEENS0_10empty_typeEEEZNS1_10merge_implIS3_NS0_12zip_iteratorINS5_IJN6thrust23THRUST_200600_302600_NS6detail15normal_iteratorINSC_10device_ptrIKyEEEESI_EEEEESK_NSA_INS5_IJNSE_INSF_IyEEEESM_EEEEEPS7_SP_SP_NSC_11hip_rocprim7__merge17predicate_wrapperIyyNSC_4lessImEEEEEE10hipError_tPvRmT0_T1_T2_T3_T4_T5_mmT6_P12ihipStream_tbEUlT_E0_NS1_11comp_targetILNS1_3genE3ELNS1_11target_archE908ELNS1_3gpuE7ELNS1_3repE0EEENS1_30default_config_static_selectorELNS0_4arch9wavefront6targetE0EEEvS10_
	.globl	_ZN7rocprim17ROCPRIM_400000_NS6detail17trampoline_kernelINS0_14default_configENS1_21merge_config_selectorINS0_5tupleIJyyEEENS0_10empty_typeEEEZNS1_10merge_implIS3_NS0_12zip_iteratorINS5_IJN6thrust23THRUST_200600_302600_NS6detail15normal_iteratorINSC_10device_ptrIKyEEEESI_EEEEESK_NSA_INS5_IJNSE_INSF_IyEEEESM_EEEEEPS7_SP_SP_NSC_11hip_rocprim7__merge17predicate_wrapperIyyNSC_4lessImEEEEEE10hipError_tPvRmT0_T1_T2_T3_T4_T5_mmT6_P12ihipStream_tbEUlT_E0_NS1_11comp_targetILNS1_3genE3ELNS1_11target_archE908ELNS1_3gpuE7ELNS1_3repE0EEENS1_30default_config_static_selectorELNS0_4arch9wavefront6targetE0EEEvS10_
	.p2align	8
	.type	_ZN7rocprim17ROCPRIM_400000_NS6detail17trampoline_kernelINS0_14default_configENS1_21merge_config_selectorINS0_5tupleIJyyEEENS0_10empty_typeEEEZNS1_10merge_implIS3_NS0_12zip_iteratorINS5_IJN6thrust23THRUST_200600_302600_NS6detail15normal_iteratorINSC_10device_ptrIKyEEEESI_EEEEESK_NSA_INS5_IJNSE_INSF_IyEEEESM_EEEEEPS7_SP_SP_NSC_11hip_rocprim7__merge17predicate_wrapperIyyNSC_4lessImEEEEEE10hipError_tPvRmT0_T1_T2_T3_T4_T5_mmT6_P12ihipStream_tbEUlT_E0_NS1_11comp_targetILNS1_3genE3ELNS1_11target_archE908ELNS1_3gpuE7ELNS1_3repE0EEENS1_30default_config_static_selectorELNS0_4arch9wavefront6targetE0EEEvS10_,@function
_ZN7rocprim17ROCPRIM_400000_NS6detail17trampoline_kernelINS0_14default_configENS1_21merge_config_selectorINS0_5tupleIJyyEEENS0_10empty_typeEEEZNS1_10merge_implIS3_NS0_12zip_iteratorINS5_IJN6thrust23THRUST_200600_302600_NS6detail15normal_iteratorINSC_10device_ptrIKyEEEESI_EEEEESK_NSA_INS5_IJNSE_INSF_IyEEEESM_EEEEEPS7_SP_SP_NSC_11hip_rocprim7__merge17predicate_wrapperIyyNSC_4lessImEEEEEE10hipError_tPvRmT0_T1_T2_T3_T4_T5_mmT6_P12ihipStream_tbEUlT_E0_NS1_11comp_targetILNS1_3genE3ELNS1_11target_archE908ELNS1_3gpuE7ELNS1_3repE0EEENS1_30default_config_static_selectorELNS0_4arch9wavefront6targetE0EEEvS10_: ; @_ZN7rocprim17ROCPRIM_400000_NS6detail17trampoline_kernelINS0_14default_configENS1_21merge_config_selectorINS0_5tupleIJyyEEENS0_10empty_typeEEEZNS1_10merge_implIS3_NS0_12zip_iteratorINS5_IJN6thrust23THRUST_200600_302600_NS6detail15normal_iteratorINSC_10device_ptrIKyEEEESI_EEEEESK_NSA_INS5_IJNSE_INSF_IyEEEESM_EEEEEPS7_SP_SP_NSC_11hip_rocprim7__merge17predicate_wrapperIyyNSC_4lessImEEEEEE10hipError_tPvRmT0_T1_T2_T3_T4_T5_mmT6_P12ihipStream_tbEUlT_E0_NS1_11comp_targetILNS1_3genE3ELNS1_11target_archE908ELNS1_3gpuE7ELNS1_3repE0EEENS1_30default_config_static_selectorELNS0_4arch9wavefront6targetE0EEEvS10_
; %bb.0:
	.section	.rodata,"a",@progbits
	.p2align	6, 0x0
	.amdhsa_kernel _ZN7rocprim17ROCPRIM_400000_NS6detail17trampoline_kernelINS0_14default_configENS1_21merge_config_selectorINS0_5tupleIJyyEEENS0_10empty_typeEEEZNS1_10merge_implIS3_NS0_12zip_iteratorINS5_IJN6thrust23THRUST_200600_302600_NS6detail15normal_iteratorINSC_10device_ptrIKyEEEESI_EEEEESK_NSA_INS5_IJNSE_INSF_IyEEEESM_EEEEEPS7_SP_SP_NSC_11hip_rocprim7__merge17predicate_wrapperIyyNSC_4lessImEEEEEE10hipError_tPvRmT0_T1_T2_T3_T4_T5_mmT6_P12ihipStream_tbEUlT_E0_NS1_11comp_targetILNS1_3genE3ELNS1_11target_archE908ELNS1_3gpuE7ELNS1_3repE0EEENS1_30default_config_static_selectorELNS0_4arch9wavefront6targetE0EEEvS10_
		.amdhsa_group_segment_fixed_size 0
		.amdhsa_private_segment_fixed_size 0
		.amdhsa_kernarg_size 112
		.amdhsa_user_sgpr_count 6
		.amdhsa_user_sgpr_private_segment_buffer 1
		.amdhsa_user_sgpr_dispatch_ptr 0
		.amdhsa_user_sgpr_queue_ptr 0
		.amdhsa_user_sgpr_kernarg_segment_ptr 1
		.amdhsa_user_sgpr_dispatch_id 0
		.amdhsa_user_sgpr_flat_scratch_init 0
		.amdhsa_user_sgpr_private_segment_size 0
		.amdhsa_wavefront_size32 1
		.amdhsa_uses_dynamic_stack 0
		.amdhsa_system_sgpr_private_segment_wavefront_offset 0
		.amdhsa_system_sgpr_workgroup_id_x 1
		.amdhsa_system_sgpr_workgroup_id_y 0
		.amdhsa_system_sgpr_workgroup_id_z 0
		.amdhsa_system_sgpr_workgroup_info 0
		.amdhsa_system_vgpr_workitem_id 0
		.amdhsa_next_free_vgpr 1
		.amdhsa_next_free_sgpr 1
		.amdhsa_reserve_vcc 0
		.amdhsa_reserve_flat_scratch 0
		.amdhsa_float_round_mode_32 0
		.amdhsa_float_round_mode_16_64 0
		.amdhsa_float_denorm_mode_32 3
		.amdhsa_float_denorm_mode_16_64 3
		.amdhsa_dx10_clamp 1
		.amdhsa_ieee_mode 1
		.amdhsa_fp16_overflow 0
		.amdhsa_workgroup_processor_mode 1
		.amdhsa_memory_ordered 1
		.amdhsa_forward_progress 1
		.amdhsa_shared_vgpr_count 0
		.amdhsa_exception_fp_ieee_invalid_op 0
		.amdhsa_exception_fp_denorm_src 0
		.amdhsa_exception_fp_ieee_div_zero 0
		.amdhsa_exception_fp_ieee_overflow 0
		.amdhsa_exception_fp_ieee_underflow 0
		.amdhsa_exception_fp_ieee_inexact 0
		.amdhsa_exception_int_div_zero 0
	.end_amdhsa_kernel
	.section	.text._ZN7rocprim17ROCPRIM_400000_NS6detail17trampoline_kernelINS0_14default_configENS1_21merge_config_selectorINS0_5tupleIJyyEEENS0_10empty_typeEEEZNS1_10merge_implIS3_NS0_12zip_iteratorINS5_IJN6thrust23THRUST_200600_302600_NS6detail15normal_iteratorINSC_10device_ptrIKyEEEESI_EEEEESK_NSA_INS5_IJNSE_INSF_IyEEEESM_EEEEEPS7_SP_SP_NSC_11hip_rocprim7__merge17predicate_wrapperIyyNSC_4lessImEEEEEE10hipError_tPvRmT0_T1_T2_T3_T4_T5_mmT6_P12ihipStream_tbEUlT_E0_NS1_11comp_targetILNS1_3genE3ELNS1_11target_archE908ELNS1_3gpuE7ELNS1_3repE0EEENS1_30default_config_static_selectorELNS0_4arch9wavefront6targetE0EEEvS10_,"axG",@progbits,_ZN7rocprim17ROCPRIM_400000_NS6detail17trampoline_kernelINS0_14default_configENS1_21merge_config_selectorINS0_5tupleIJyyEEENS0_10empty_typeEEEZNS1_10merge_implIS3_NS0_12zip_iteratorINS5_IJN6thrust23THRUST_200600_302600_NS6detail15normal_iteratorINSC_10device_ptrIKyEEEESI_EEEEESK_NSA_INS5_IJNSE_INSF_IyEEEESM_EEEEEPS7_SP_SP_NSC_11hip_rocprim7__merge17predicate_wrapperIyyNSC_4lessImEEEEEE10hipError_tPvRmT0_T1_T2_T3_T4_T5_mmT6_P12ihipStream_tbEUlT_E0_NS1_11comp_targetILNS1_3genE3ELNS1_11target_archE908ELNS1_3gpuE7ELNS1_3repE0EEENS1_30default_config_static_selectorELNS0_4arch9wavefront6targetE0EEEvS10_,comdat
.Lfunc_end473:
	.size	_ZN7rocprim17ROCPRIM_400000_NS6detail17trampoline_kernelINS0_14default_configENS1_21merge_config_selectorINS0_5tupleIJyyEEENS0_10empty_typeEEEZNS1_10merge_implIS3_NS0_12zip_iteratorINS5_IJN6thrust23THRUST_200600_302600_NS6detail15normal_iteratorINSC_10device_ptrIKyEEEESI_EEEEESK_NSA_INS5_IJNSE_INSF_IyEEEESM_EEEEEPS7_SP_SP_NSC_11hip_rocprim7__merge17predicate_wrapperIyyNSC_4lessImEEEEEE10hipError_tPvRmT0_T1_T2_T3_T4_T5_mmT6_P12ihipStream_tbEUlT_E0_NS1_11comp_targetILNS1_3genE3ELNS1_11target_archE908ELNS1_3gpuE7ELNS1_3repE0EEENS1_30default_config_static_selectorELNS0_4arch9wavefront6targetE0EEEvS10_, .Lfunc_end473-_ZN7rocprim17ROCPRIM_400000_NS6detail17trampoline_kernelINS0_14default_configENS1_21merge_config_selectorINS0_5tupleIJyyEEENS0_10empty_typeEEEZNS1_10merge_implIS3_NS0_12zip_iteratorINS5_IJN6thrust23THRUST_200600_302600_NS6detail15normal_iteratorINSC_10device_ptrIKyEEEESI_EEEEESK_NSA_INS5_IJNSE_INSF_IyEEEESM_EEEEEPS7_SP_SP_NSC_11hip_rocprim7__merge17predicate_wrapperIyyNSC_4lessImEEEEEE10hipError_tPvRmT0_T1_T2_T3_T4_T5_mmT6_P12ihipStream_tbEUlT_E0_NS1_11comp_targetILNS1_3genE3ELNS1_11target_archE908ELNS1_3gpuE7ELNS1_3repE0EEENS1_30default_config_static_selectorELNS0_4arch9wavefront6targetE0EEEvS10_
                                        ; -- End function
	.set _ZN7rocprim17ROCPRIM_400000_NS6detail17trampoline_kernelINS0_14default_configENS1_21merge_config_selectorINS0_5tupleIJyyEEENS0_10empty_typeEEEZNS1_10merge_implIS3_NS0_12zip_iteratorINS5_IJN6thrust23THRUST_200600_302600_NS6detail15normal_iteratorINSC_10device_ptrIKyEEEESI_EEEEESK_NSA_INS5_IJNSE_INSF_IyEEEESM_EEEEEPS7_SP_SP_NSC_11hip_rocprim7__merge17predicate_wrapperIyyNSC_4lessImEEEEEE10hipError_tPvRmT0_T1_T2_T3_T4_T5_mmT6_P12ihipStream_tbEUlT_E0_NS1_11comp_targetILNS1_3genE3ELNS1_11target_archE908ELNS1_3gpuE7ELNS1_3repE0EEENS1_30default_config_static_selectorELNS0_4arch9wavefront6targetE0EEEvS10_.num_vgpr, 0
	.set _ZN7rocprim17ROCPRIM_400000_NS6detail17trampoline_kernelINS0_14default_configENS1_21merge_config_selectorINS0_5tupleIJyyEEENS0_10empty_typeEEEZNS1_10merge_implIS3_NS0_12zip_iteratorINS5_IJN6thrust23THRUST_200600_302600_NS6detail15normal_iteratorINSC_10device_ptrIKyEEEESI_EEEEESK_NSA_INS5_IJNSE_INSF_IyEEEESM_EEEEEPS7_SP_SP_NSC_11hip_rocprim7__merge17predicate_wrapperIyyNSC_4lessImEEEEEE10hipError_tPvRmT0_T1_T2_T3_T4_T5_mmT6_P12ihipStream_tbEUlT_E0_NS1_11comp_targetILNS1_3genE3ELNS1_11target_archE908ELNS1_3gpuE7ELNS1_3repE0EEENS1_30default_config_static_selectorELNS0_4arch9wavefront6targetE0EEEvS10_.num_agpr, 0
	.set _ZN7rocprim17ROCPRIM_400000_NS6detail17trampoline_kernelINS0_14default_configENS1_21merge_config_selectorINS0_5tupleIJyyEEENS0_10empty_typeEEEZNS1_10merge_implIS3_NS0_12zip_iteratorINS5_IJN6thrust23THRUST_200600_302600_NS6detail15normal_iteratorINSC_10device_ptrIKyEEEESI_EEEEESK_NSA_INS5_IJNSE_INSF_IyEEEESM_EEEEEPS7_SP_SP_NSC_11hip_rocprim7__merge17predicate_wrapperIyyNSC_4lessImEEEEEE10hipError_tPvRmT0_T1_T2_T3_T4_T5_mmT6_P12ihipStream_tbEUlT_E0_NS1_11comp_targetILNS1_3genE3ELNS1_11target_archE908ELNS1_3gpuE7ELNS1_3repE0EEENS1_30default_config_static_selectorELNS0_4arch9wavefront6targetE0EEEvS10_.numbered_sgpr, 0
	.set _ZN7rocprim17ROCPRIM_400000_NS6detail17trampoline_kernelINS0_14default_configENS1_21merge_config_selectorINS0_5tupleIJyyEEENS0_10empty_typeEEEZNS1_10merge_implIS3_NS0_12zip_iteratorINS5_IJN6thrust23THRUST_200600_302600_NS6detail15normal_iteratorINSC_10device_ptrIKyEEEESI_EEEEESK_NSA_INS5_IJNSE_INSF_IyEEEESM_EEEEEPS7_SP_SP_NSC_11hip_rocprim7__merge17predicate_wrapperIyyNSC_4lessImEEEEEE10hipError_tPvRmT0_T1_T2_T3_T4_T5_mmT6_P12ihipStream_tbEUlT_E0_NS1_11comp_targetILNS1_3genE3ELNS1_11target_archE908ELNS1_3gpuE7ELNS1_3repE0EEENS1_30default_config_static_selectorELNS0_4arch9wavefront6targetE0EEEvS10_.num_named_barrier, 0
	.set _ZN7rocprim17ROCPRIM_400000_NS6detail17trampoline_kernelINS0_14default_configENS1_21merge_config_selectorINS0_5tupleIJyyEEENS0_10empty_typeEEEZNS1_10merge_implIS3_NS0_12zip_iteratorINS5_IJN6thrust23THRUST_200600_302600_NS6detail15normal_iteratorINSC_10device_ptrIKyEEEESI_EEEEESK_NSA_INS5_IJNSE_INSF_IyEEEESM_EEEEEPS7_SP_SP_NSC_11hip_rocprim7__merge17predicate_wrapperIyyNSC_4lessImEEEEEE10hipError_tPvRmT0_T1_T2_T3_T4_T5_mmT6_P12ihipStream_tbEUlT_E0_NS1_11comp_targetILNS1_3genE3ELNS1_11target_archE908ELNS1_3gpuE7ELNS1_3repE0EEENS1_30default_config_static_selectorELNS0_4arch9wavefront6targetE0EEEvS10_.private_seg_size, 0
	.set _ZN7rocprim17ROCPRIM_400000_NS6detail17trampoline_kernelINS0_14default_configENS1_21merge_config_selectorINS0_5tupleIJyyEEENS0_10empty_typeEEEZNS1_10merge_implIS3_NS0_12zip_iteratorINS5_IJN6thrust23THRUST_200600_302600_NS6detail15normal_iteratorINSC_10device_ptrIKyEEEESI_EEEEESK_NSA_INS5_IJNSE_INSF_IyEEEESM_EEEEEPS7_SP_SP_NSC_11hip_rocprim7__merge17predicate_wrapperIyyNSC_4lessImEEEEEE10hipError_tPvRmT0_T1_T2_T3_T4_T5_mmT6_P12ihipStream_tbEUlT_E0_NS1_11comp_targetILNS1_3genE3ELNS1_11target_archE908ELNS1_3gpuE7ELNS1_3repE0EEENS1_30default_config_static_selectorELNS0_4arch9wavefront6targetE0EEEvS10_.uses_vcc, 0
	.set _ZN7rocprim17ROCPRIM_400000_NS6detail17trampoline_kernelINS0_14default_configENS1_21merge_config_selectorINS0_5tupleIJyyEEENS0_10empty_typeEEEZNS1_10merge_implIS3_NS0_12zip_iteratorINS5_IJN6thrust23THRUST_200600_302600_NS6detail15normal_iteratorINSC_10device_ptrIKyEEEESI_EEEEESK_NSA_INS5_IJNSE_INSF_IyEEEESM_EEEEEPS7_SP_SP_NSC_11hip_rocprim7__merge17predicate_wrapperIyyNSC_4lessImEEEEEE10hipError_tPvRmT0_T1_T2_T3_T4_T5_mmT6_P12ihipStream_tbEUlT_E0_NS1_11comp_targetILNS1_3genE3ELNS1_11target_archE908ELNS1_3gpuE7ELNS1_3repE0EEENS1_30default_config_static_selectorELNS0_4arch9wavefront6targetE0EEEvS10_.uses_flat_scratch, 0
	.set _ZN7rocprim17ROCPRIM_400000_NS6detail17trampoline_kernelINS0_14default_configENS1_21merge_config_selectorINS0_5tupleIJyyEEENS0_10empty_typeEEEZNS1_10merge_implIS3_NS0_12zip_iteratorINS5_IJN6thrust23THRUST_200600_302600_NS6detail15normal_iteratorINSC_10device_ptrIKyEEEESI_EEEEESK_NSA_INS5_IJNSE_INSF_IyEEEESM_EEEEEPS7_SP_SP_NSC_11hip_rocprim7__merge17predicate_wrapperIyyNSC_4lessImEEEEEE10hipError_tPvRmT0_T1_T2_T3_T4_T5_mmT6_P12ihipStream_tbEUlT_E0_NS1_11comp_targetILNS1_3genE3ELNS1_11target_archE908ELNS1_3gpuE7ELNS1_3repE0EEENS1_30default_config_static_selectorELNS0_4arch9wavefront6targetE0EEEvS10_.has_dyn_sized_stack, 0
	.set _ZN7rocprim17ROCPRIM_400000_NS6detail17trampoline_kernelINS0_14default_configENS1_21merge_config_selectorINS0_5tupleIJyyEEENS0_10empty_typeEEEZNS1_10merge_implIS3_NS0_12zip_iteratorINS5_IJN6thrust23THRUST_200600_302600_NS6detail15normal_iteratorINSC_10device_ptrIKyEEEESI_EEEEESK_NSA_INS5_IJNSE_INSF_IyEEEESM_EEEEEPS7_SP_SP_NSC_11hip_rocprim7__merge17predicate_wrapperIyyNSC_4lessImEEEEEE10hipError_tPvRmT0_T1_T2_T3_T4_T5_mmT6_P12ihipStream_tbEUlT_E0_NS1_11comp_targetILNS1_3genE3ELNS1_11target_archE908ELNS1_3gpuE7ELNS1_3repE0EEENS1_30default_config_static_selectorELNS0_4arch9wavefront6targetE0EEEvS10_.has_recursion, 0
	.set _ZN7rocprim17ROCPRIM_400000_NS6detail17trampoline_kernelINS0_14default_configENS1_21merge_config_selectorINS0_5tupleIJyyEEENS0_10empty_typeEEEZNS1_10merge_implIS3_NS0_12zip_iteratorINS5_IJN6thrust23THRUST_200600_302600_NS6detail15normal_iteratorINSC_10device_ptrIKyEEEESI_EEEEESK_NSA_INS5_IJNSE_INSF_IyEEEESM_EEEEEPS7_SP_SP_NSC_11hip_rocprim7__merge17predicate_wrapperIyyNSC_4lessImEEEEEE10hipError_tPvRmT0_T1_T2_T3_T4_T5_mmT6_P12ihipStream_tbEUlT_E0_NS1_11comp_targetILNS1_3genE3ELNS1_11target_archE908ELNS1_3gpuE7ELNS1_3repE0EEENS1_30default_config_static_selectorELNS0_4arch9wavefront6targetE0EEEvS10_.has_indirect_call, 0
	.section	.AMDGPU.csdata,"",@progbits
; Kernel info:
; codeLenInByte = 0
; TotalNumSgprs: 0
; NumVgprs: 0
; ScratchSize: 0
; MemoryBound: 0
; FloatMode: 240
; IeeeMode: 1
; LDSByteSize: 0 bytes/workgroup (compile time only)
; SGPRBlocks: 0
; VGPRBlocks: 0
; NumSGPRsForWavesPerEU: 1
; NumVGPRsForWavesPerEU: 1
; Occupancy: 16
; WaveLimiterHint : 0
; COMPUTE_PGM_RSRC2:SCRATCH_EN: 0
; COMPUTE_PGM_RSRC2:USER_SGPR: 6
; COMPUTE_PGM_RSRC2:TRAP_HANDLER: 0
; COMPUTE_PGM_RSRC2:TGID_X_EN: 1
; COMPUTE_PGM_RSRC2:TGID_Y_EN: 0
; COMPUTE_PGM_RSRC2:TGID_Z_EN: 0
; COMPUTE_PGM_RSRC2:TIDIG_COMP_CNT: 0
	.section	.text._ZN7rocprim17ROCPRIM_400000_NS6detail17trampoline_kernelINS0_14default_configENS1_21merge_config_selectorINS0_5tupleIJyyEEENS0_10empty_typeEEEZNS1_10merge_implIS3_NS0_12zip_iteratorINS5_IJN6thrust23THRUST_200600_302600_NS6detail15normal_iteratorINSC_10device_ptrIKyEEEESI_EEEEESK_NSA_INS5_IJNSE_INSF_IyEEEESM_EEEEEPS7_SP_SP_NSC_11hip_rocprim7__merge17predicate_wrapperIyyNSC_4lessImEEEEEE10hipError_tPvRmT0_T1_T2_T3_T4_T5_mmT6_P12ihipStream_tbEUlT_E0_NS1_11comp_targetILNS1_3genE2ELNS1_11target_archE906ELNS1_3gpuE6ELNS1_3repE0EEENS1_30default_config_static_selectorELNS0_4arch9wavefront6targetE0EEEvS10_,"axG",@progbits,_ZN7rocprim17ROCPRIM_400000_NS6detail17trampoline_kernelINS0_14default_configENS1_21merge_config_selectorINS0_5tupleIJyyEEENS0_10empty_typeEEEZNS1_10merge_implIS3_NS0_12zip_iteratorINS5_IJN6thrust23THRUST_200600_302600_NS6detail15normal_iteratorINSC_10device_ptrIKyEEEESI_EEEEESK_NSA_INS5_IJNSE_INSF_IyEEEESM_EEEEEPS7_SP_SP_NSC_11hip_rocprim7__merge17predicate_wrapperIyyNSC_4lessImEEEEEE10hipError_tPvRmT0_T1_T2_T3_T4_T5_mmT6_P12ihipStream_tbEUlT_E0_NS1_11comp_targetILNS1_3genE2ELNS1_11target_archE906ELNS1_3gpuE6ELNS1_3repE0EEENS1_30default_config_static_selectorELNS0_4arch9wavefront6targetE0EEEvS10_,comdat
	.protected	_ZN7rocprim17ROCPRIM_400000_NS6detail17trampoline_kernelINS0_14default_configENS1_21merge_config_selectorINS0_5tupleIJyyEEENS0_10empty_typeEEEZNS1_10merge_implIS3_NS0_12zip_iteratorINS5_IJN6thrust23THRUST_200600_302600_NS6detail15normal_iteratorINSC_10device_ptrIKyEEEESI_EEEEESK_NSA_INS5_IJNSE_INSF_IyEEEESM_EEEEEPS7_SP_SP_NSC_11hip_rocprim7__merge17predicate_wrapperIyyNSC_4lessImEEEEEE10hipError_tPvRmT0_T1_T2_T3_T4_T5_mmT6_P12ihipStream_tbEUlT_E0_NS1_11comp_targetILNS1_3genE2ELNS1_11target_archE906ELNS1_3gpuE6ELNS1_3repE0EEENS1_30default_config_static_selectorELNS0_4arch9wavefront6targetE0EEEvS10_ ; -- Begin function _ZN7rocprim17ROCPRIM_400000_NS6detail17trampoline_kernelINS0_14default_configENS1_21merge_config_selectorINS0_5tupleIJyyEEENS0_10empty_typeEEEZNS1_10merge_implIS3_NS0_12zip_iteratorINS5_IJN6thrust23THRUST_200600_302600_NS6detail15normal_iteratorINSC_10device_ptrIKyEEEESI_EEEEESK_NSA_INS5_IJNSE_INSF_IyEEEESM_EEEEEPS7_SP_SP_NSC_11hip_rocprim7__merge17predicate_wrapperIyyNSC_4lessImEEEEEE10hipError_tPvRmT0_T1_T2_T3_T4_T5_mmT6_P12ihipStream_tbEUlT_E0_NS1_11comp_targetILNS1_3genE2ELNS1_11target_archE906ELNS1_3gpuE6ELNS1_3repE0EEENS1_30default_config_static_selectorELNS0_4arch9wavefront6targetE0EEEvS10_
	.globl	_ZN7rocprim17ROCPRIM_400000_NS6detail17trampoline_kernelINS0_14default_configENS1_21merge_config_selectorINS0_5tupleIJyyEEENS0_10empty_typeEEEZNS1_10merge_implIS3_NS0_12zip_iteratorINS5_IJN6thrust23THRUST_200600_302600_NS6detail15normal_iteratorINSC_10device_ptrIKyEEEESI_EEEEESK_NSA_INS5_IJNSE_INSF_IyEEEESM_EEEEEPS7_SP_SP_NSC_11hip_rocprim7__merge17predicate_wrapperIyyNSC_4lessImEEEEEE10hipError_tPvRmT0_T1_T2_T3_T4_T5_mmT6_P12ihipStream_tbEUlT_E0_NS1_11comp_targetILNS1_3genE2ELNS1_11target_archE906ELNS1_3gpuE6ELNS1_3repE0EEENS1_30default_config_static_selectorELNS0_4arch9wavefront6targetE0EEEvS10_
	.p2align	8
	.type	_ZN7rocprim17ROCPRIM_400000_NS6detail17trampoline_kernelINS0_14default_configENS1_21merge_config_selectorINS0_5tupleIJyyEEENS0_10empty_typeEEEZNS1_10merge_implIS3_NS0_12zip_iteratorINS5_IJN6thrust23THRUST_200600_302600_NS6detail15normal_iteratorINSC_10device_ptrIKyEEEESI_EEEEESK_NSA_INS5_IJNSE_INSF_IyEEEESM_EEEEEPS7_SP_SP_NSC_11hip_rocprim7__merge17predicate_wrapperIyyNSC_4lessImEEEEEE10hipError_tPvRmT0_T1_T2_T3_T4_T5_mmT6_P12ihipStream_tbEUlT_E0_NS1_11comp_targetILNS1_3genE2ELNS1_11target_archE906ELNS1_3gpuE6ELNS1_3repE0EEENS1_30default_config_static_selectorELNS0_4arch9wavefront6targetE0EEEvS10_,@function
_ZN7rocprim17ROCPRIM_400000_NS6detail17trampoline_kernelINS0_14default_configENS1_21merge_config_selectorINS0_5tupleIJyyEEENS0_10empty_typeEEEZNS1_10merge_implIS3_NS0_12zip_iteratorINS5_IJN6thrust23THRUST_200600_302600_NS6detail15normal_iteratorINSC_10device_ptrIKyEEEESI_EEEEESK_NSA_INS5_IJNSE_INSF_IyEEEESM_EEEEEPS7_SP_SP_NSC_11hip_rocprim7__merge17predicate_wrapperIyyNSC_4lessImEEEEEE10hipError_tPvRmT0_T1_T2_T3_T4_T5_mmT6_P12ihipStream_tbEUlT_E0_NS1_11comp_targetILNS1_3genE2ELNS1_11target_archE906ELNS1_3gpuE6ELNS1_3repE0EEENS1_30default_config_static_selectorELNS0_4arch9wavefront6targetE0EEEvS10_: ; @_ZN7rocprim17ROCPRIM_400000_NS6detail17trampoline_kernelINS0_14default_configENS1_21merge_config_selectorINS0_5tupleIJyyEEENS0_10empty_typeEEEZNS1_10merge_implIS3_NS0_12zip_iteratorINS5_IJN6thrust23THRUST_200600_302600_NS6detail15normal_iteratorINSC_10device_ptrIKyEEEESI_EEEEESK_NSA_INS5_IJNSE_INSF_IyEEEESM_EEEEEPS7_SP_SP_NSC_11hip_rocprim7__merge17predicate_wrapperIyyNSC_4lessImEEEEEE10hipError_tPvRmT0_T1_T2_T3_T4_T5_mmT6_P12ihipStream_tbEUlT_E0_NS1_11comp_targetILNS1_3genE2ELNS1_11target_archE906ELNS1_3gpuE6ELNS1_3repE0EEENS1_30default_config_static_selectorELNS0_4arch9wavefront6targetE0EEEvS10_
; %bb.0:
	.section	.rodata,"a",@progbits
	.p2align	6, 0x0
	.amdhsa_kernel _ZN7rocprim17ROCPRIM_400000_NS6detail17trampoline_kernelINS0_14default_configENS1_21merge_config_selectorINS0_5tupleIJyyEEENS0_10empty_typeEEEZNS1_10merge_implIS3_NS0_12zip_iteratorINS5_IJN6thrust23THRUST_200600_302600_NS6detail15normal_iteratorINSC_10device_ptrIKyEEEESI_EEEEESK_NSA_INS5_IJNSE_INSF_IyEEEESM_EEEEEPS7_SP_SP_NSC_11hip_rocprim7__merge17predicate_wrapperIyyNSC_4lessImEEEEEE10hipError_tPvRmT0_T1_T2_T3_T4_T5_mmT6_P12ihipStream_tbEUlT_E0_NS1_11comp_targetILNS1_3genE2ELNS1_11target_archE906ELNS1_3gpuE6ELNS1_3repE0EEENS1_30default_config_static_selectorELNS0_4arch9wavefront6targetE0EEEvS10_
		.amdhsa_group_segment_fixed_size 0
		.amdhsa_private_segment_fixed_size 0
		.amdhsa_kernarg_size 112
		.amdhsa_user_sgpr_count 6
		.amdhsa_user_sgpr_private_segment_buffer 1
		.amdhsa_user_sgpr_dispatch_ptr 0
		.amdhsa_user_sgpr_queue_ptr 0
		.amdhsa_user_sgpr_kernarg_segment_ptr 1
		.amdhsa_user_sgpr_dispatch_id 0
		.amdhsa_user_sgpr_flat_scratch_init 0
		.amdhsa_user_sgpr_private_segment_size 0
		.amdhsa_wavefront_size32 1
		.amdhsa_uses_dynamic_stack 0
		.amdhsa_system_sgpr_private_segment_wavefront_offset 0
		.amdhsa_system_sgpr_workgroup_id_x 1
		.amdhsa_system_sgpr_workgroup_id_y 0
		.amdhsa_system_sgpr_workgroup_id_z 0
		.amdhsa_system_sgpr_workgroup_info 0
		.amdhsa_system_vgpr_workitem_id 0
		.amdhsa_next_free_vgpr 1
		.amdhsa_next_free_sgpr 1
		.amdhsa_reserve_vcc 0
		.amdhsa_reserve_flat_scratch 0
		.amdhsa_float_round_mode_32 0
		.amdhsa_float_round_mode_16_64 0
		.amdhsa_float_denorm_mode_32 3
		.amdhsa_float_denorm_mode_16_64 3
		.amdhsa_dx10_clamp 1
		.amdhsa_ieee_mode 1
		.amdhsa_fp16_overflow 0
		.amdhsa_workgroup_processor_mode 1
		.amdhsa_memory_ordered 1
		.amdhsa_forward_progress 1
		.amdhsa_shared_vgpr_count 0
		.amdhsa_exception_fp_ieee_invalid_op 0
		.amdhsa_exception_fp_denorm_src 0
		.amdhsa_exception_fp_ieee_div_zero 0
		.amdhsa_exception_fp_ieee_overflow 0
		.amdhsa_exception_fp_ieee_underflow 0
		.amdhsa_exception_fp_ieee_inexact 0
		.amdhsa_exception_int_div_zero 0
	.end_amdhsa_kernel
	.section	.text._ZN7rocprim17ROCPRIM_400000_NS6detail17trampoline_kernelINS0_14default_configENS1_21merge_config_selectorINS0_5tupleIJyyEEENS0_10empty_typeEEEZNS1_10merge_implIS3_NS0_12zip_iteratorINS5_IJN6thrust23THRUST_200600_302600_NS6detail15normal_iteratorINSC_10device_ptrIKyEEEESI_EEEEESK_NSA_INS5_IJNSE_INSF_IyEEEESM_EEEEEPS7_SP_SP_NSC_11hip_rocprim7__merge17predicate_wrapperIyyNSC_4lessImEEEEEE10hipError_tPvRmT0_T1_T2_T3_T4_T5_mmT6_P12ihipStream_tbEUlT_E0_NS1_11comp_targetILNS1_3genE2ELNS1_11target_archE906ELNS1_3gpuE6ELNS1_3repE0EEENS1_30default_config_static_selectorELNS0_4arch9wavefront6targetE0EEEvS10_,"axG",@progbits,_ZN7rocprim17ROCPRIM_400000_NS6detail17trampoline_kernelINS0_14default_configENS1_21merge_config_selectorINS0_5tupleIJyyEEENS0_10empty_typeEEEZNS1_10merge_implIS3_NS0_12zip_iteratorINS5_IJN6thrust23THRUST_200600_302600_NS6detail15normal_iteratorINSC_10device_ptrIKyEEEESI_EEEEESK_NSA_INS5_IJNSE_INSF_IyEEEESM_EEEEEPS7_SP_SP_NSC_11hip_rocprim7__merge17predicate_wrapperIyyNSC_4lessImEEEEEE10hipError_tPvRmT0_T1_T2_T3_T4_T5_mmT6_P12ihipStream_tbEUlT_E0_NS1_11comp_targetILNS1_3genE2ELNS1_11target_archE906ELNS1_3gpuE6ELNS1_3repE0EEENS1_30default_config_static_selectorELNS0_4arch9wavefront6targetE0EEEvS10_,comdat
.Lfunc_end474:
	.size	_ZN7rocprim17ROCPRIM_400000_NS6detail17trampoline_kernelINS0_14default_configENS1_21merge_config_selectorINS0_5tupleIJyyEEENS0_10empty_typeEEEZNS1_10merge_implIS3_NS0_12zip_iteratorINS5_IJN6thrust23THRUST_200600_302600_NS6detail15normal_iteratorINSC_10device_ptrIKyEEEESI_EEEEESK_NSA_INS5_IJNSE_INSF_IyEEEESM_EEEEEPS7_SP_SP_NSC_11hip_rocprim7__merge17predicate_wrapperIyyNSC_4lessImEEEEEE10hipError_tPvRmT0_T1_T2_T3_T4_T5_mmT6_P12ihipStream_tbEUlT_E0_NS1_11comp_targetILNS1_3genE2ELNS1_11target_archE906ELNS1_3gpuE6ELNS1_3repE0EEENS1_30default_config_static_selectorELNS0_4arch9wavefront6targetE0EEEvS10_, .Lfunc_end474-_ZN7rocprim17ROCPRIM_400000_NS6detail17trampoline_kernelINS0_14default_configENS1_21merge_config_selectorINS0_5tupleIJyyEEENS0_10empty_typeEEEZNS1_10merge_implIS3_NS0_12zip_iteratorINS5_IJN6thrust23THRUST_200600_302600_NS6detail15normal_iteratorINSC_10device_ptrIKyEEEESI_EEEEESK_NSA_INS5_IJNSE_INSF_IyEEEESM_EEEEEPS7_SP_SP_NSC_11hip_rocprim7__merge17predicate_wrapperIyyNSC_4lessImEEEEEE10hipError_tPvRmT0_T1_T2_T3_T4_T5_mmT6_P12ihipStream_tbEUlT_E0_NS1_11comp_targetILNS1_3genE2ELNS1_11target_archE906ELNS1_3gpuE6ELNS1_3repE0EEENS1_30default_config_static_selectorELNS0_4arch9wavefront6targetE0EEEvS10_
                                        ; -- End function
	.set _ZN7rocprim17ROCPRIM_400000_NS6detail17trampoline_kernelINS0_14default_configENS1_21merge_config_selectorINS0_5tupleIJyyEEENS0_10empty_typeEEEZNS1_10merge_implIS3_NS0_12zip_iteratorINS5_IJN6thrust23THRUST_200600_302600_NS6detail15normal_iteratorINSC_10device_ptrIKyEEEESI_EEEEESK_NSA_INS5_IJNSE_INSF_IyEEEESM_EEEEEPS7_SP_SP_NSC_11hip_rocprim7__merge17predicate_wrapperIyyNSC_4lessImEEEEEE10hipError_tPvRmT0_T1_T2_T3_T4_T5_mmT6_P12ihipStream_tbEUlT_E0_NS1_11comp_targetILNS1_3genE2ELNS1_11target_archE906ELNS1_3gpuE6ELNS1_3repE0EEENS1_30default_config_static_selectorELNS0_4arch9wavefront6targetE0EEEvS10_.num_vgpr, 0
	.set _ZN7rocprim17ROCPRIM_400000_NS6detail17trampoline_kernelINS0_14default_configENS1_21merge_config_selectorINS0_5tupleIJyyEEENS0_10empty_typeEEEZNS1_10merge_implIS3_NS0_12zip_iteratorINS5_IJN6thrust23THRUST_200600_302600_NS6detail15normal_iteratorINSC_10device_ptrIKyEEEESI_EEEEESK_NSA_INS5_IJNSE_INSF_IyEEEESM_EEEEEPS7_SP_SP_NSC_11hip_rocprim7__merge17predicate_wrapperIyyNSC_4lessImEEEEEE10hipError_tPvRmT0_T1_T2_T3_T4_T5_mmT6_P12ihipStream_tbEUlT_E0_NS1_11comp_targetILNS1_3genE2ELNS1_11target_archE906ELNS1_3gpuE6ELNS1_3repE0EEENS1_30default_config_static_selectorELNS0_4arch9wavefront6targetE0EEEvS10_.num_agpr, 0
	.set _ZN7rocprim17ROCPRIM_400000_NS6detail17trampoline_kernelINS0_14default_configENS1_21merge_config_selectorINS0_5tupleIJyyEEENS0_10empty_typeEEEZNS1_10merge_implIS3_NS0_12zip_iteratorINS5_IJN6thrust23THRUST_200600_302600_NS6detail15normal_iteratorINSC_10device_ptrIKyEEEESI_EEEEESK_NSA_INS5_IJNSE_INSF_IyEEEESM_EEEEEPS7_SP_SP_NSC_11hip_rocprim7__merge17predicate_wrapperIyyNSC_4lessImEEEEEE10hipError_tPvRmT0_T1_T2_T3_T4_T5_mmT6_P12ihipStream_tbEUlT_E0_NS1_11comp_targetILNS1_3genE2ELNS1_11target_archE906ELNS1_3gpuE6ELNS1_3repE0EEENS1_30default_config_static_selectorELNS0_4arch9wavefront6targetE0EEEvS10_.numbered_sgpr, 0
	.set _ZN7rocprim17ROCPRIM_400000_NS6detail17trampoline_kernelINS0_14default_configENS1_21merge_config_selectorINS0_5tupleIJyyEEENS0_10empty_typeEEEZNS1_10merge_implIS3_NS0_12zip_iteratorINS5_IJN6thrust23THRUST_200600_302600_NS6detail15normal_iteratorINSC_10device_ptrIKyEEEESI_EEEEESK_NSA_INS5_IJNSE_INSF_IyEEEESM_EEEEEPS7_SP_SP_NSC_11hip_rocprim7__merge17predicate_wrapperIyyNSC_4lessImEEEEEE10hipError_tPvRmT0_T1_T2_T3_T4_T5_mmT6_P12ihipStream_tbEUlT_E0_NS1_11comp_targetILNS1_3genE2ELNS1_11target_archE906ELNS1_3gpuE6ELNS1_3repE0EEENS1_30default_config_static_selectorELNS0_4arch9wavefront6targetE0EEEvS10_.num_named_barrier, 0
	.set _ZN7rocprim17ROCPRIM_400000_NS6detail17trampoline_kernelINS0_14default_configENS1_21merge_config_selectorINS0_5tupleIJyyEEENS0_10empty_typeEEEZNS1_10merge_implIS3_NS0_12zip_iteratorINS5_IJN6thrust23THRUST_200600_302600_NS6detail15normal_iteratorINSC_10device_ptrIKyEEEESI_EEEEESK_NSA_INS5_IJNSE_INSF_IyEEEESM_EEEEEPS7_SP_SP_NSC_11hip_rocprim7__merge17predicate_wrapperIyyNSC_4lessImEEEEEE10hipError_tPvRmT0_T1_T2_T3_T4_T5_mmT6_P12ihipStream_tbEUlT_E0_NS1_11comp_targetILNS1_3genE2ELNS1_11target_archE906ELNS1_3gpuE6ELNS1_3repE0EEENS1_30default_config_static_selectorELNS0_4arch9wavefront6targetE0EEEvS10_.private_seg_size, 0
	.set _ZN7rocprim17ROCPRIM_400000_NS6detail17trampoline_kernelINS0_14default_configENS1_21merge_config_selectorINS0_5tupleIJyyEEENS0_10empty_typeEEEZNS1_10merge_implIS3_NS0_12zip_iteratorINS5_IJN6thrust23THRUST_200600_302600_NS6detail15normal_iteratorINSC_10device_ptrIKyEEEESI_EEEEESK_NSA_INS5_IJNSE_INSF_IyEEEESM_EEEEEPS7_SP_SP_NSC_11hip_rocprim7__merge17predicate_wrapperIyyNSC_4lessImEEEEEE10hipError_tPvRmT0_T1_T2_T3_T4_T5_mmT6_P12ihipStream_tbEUlT_E0_NS1_11comp_targetILNS1_3genE2ELNS1_11target_archE906ELNS1_3gpuE6ELNS1_3repE0EEENS1_30default_config_static_selectorELNS0_4arch9wavefront6targetE0EEEvS10_.uses_vcc, 0
	.set _ZN7rocprim17ROCPRIM_400000_NS6detail17trampoline_kernelINS0_14default_configENS1_21merge_config_selectorINS0_5tupleIJyyEEENS0_10empty_typeEEEZNS1_10merge_implIS3_NS0_12zip_iteratorINS5_IJN6thrust23THRUST_200600_302600_NS6detail15normal_iteratorINSC_10device_ptrIKyEEEESI_EEEEESK_NSA_INS5_IJNSE_INSF_IyEEEESM_EEEEEPS7_SP_SP_NSC_11hip_rocprim7__merge17predicate_wrapperIyyNSC_4lessImEEEEEE10hipError_tPvRmT0_T1_T2_T3_T4_T5_mmT6_P12ihipStream_tbEUlT_E0_NS1_11comp_targetILNS1_3genE2ELNS1_11target_archE906ELNS1_3gpuE6ELNS1_3repE0EEENS1_30default_config_static_selectorELNS0_4arch9wavefront6targetE0EEEvS10_.uses_flat_scratch, 0
	.set _ZN7rocprim17ROCPRIM_400000_NS6detail17trampoline_kernelINS0_14default_configENS1_21merge_config_selectorINS0_5tupleIJyyEEENS0_10empty_typeEEEZNS1_10merge_implIS3_NS0_12zip_iteratorINS5_IJN6thrust23THRUST_200600_302600_NS6detail15normal_iteratorINSC_10device_ptrIKyEEEESI_EEEEESK_NSA_INS5_IJNSE_INSF_IyEEEESM_EEEEEPS7_SP_SP_NSC_11hip_rocprim7__merge17predicate_wrapperIyyNSC_4lessImEEEEEE10hipError_tPvRmT0_T1_T2_T3_T4_T5_mmT6_P12ihipStream_tbEUlT_E0_NS1_11comp_targetILNS1_3genE2ELNS1_11target_archE906ELNS1_3gpuE6ELNS1_3repE0EEENS1_30default_config_static_selectorELNS0_4arch9wavefront6targetE0EEEvS10_.has_dyn_sized_stack, 0
	.set _ZN7rocprim17ROCPRIM_400000_NS6detail17trampoline_kernelINS0_14default_configENS1_21merge_config_selectorINS0_5tupleIJyyEEENS0_10empty_typeEEEZNS1_10merge_implIS3_NS0_12zip_iteratorINS5_IJN6thrust23THRUST_200600_302600_NS6detail15normal_iteratorINSC_10device_ptrIKyEEEESI_EEEEESK_NSA_INS5_IJNSE_INSF_IyEEEESM_EEEEEPS7_SP_SP_NSC_11hip_rocprim7__merge17predicate_wrapperIyyNSC_4lessImEEEEEE10hipError_tPvRmT0_T1_T2_T3_T4_T5_mmT6_P12ihipStream_tbEUlT_E0_NS1_11comp_targetILNS1_3genE2ELNS1_11target_archE906ELNS1_3gpuE6ELNS1_3repE0EEENS1_30default_config_static_selectorELNS0_4arch9wavefront6targetE0EEEvS10_.has_recursion, 0
	.set _ZN7rocprim17ROCPRIM_400000_NS6detail17trampoline_kernelINS0_14default_configENS1_21merge_config_selectorINS0_5tupleIJyyEEENS0_10empty_typeEEEZNS1_10merge_implIS3_NS0_12zip_iteratorINS5_IJN6thrust23THRUST_200600_302600_NS6detail15normal_iteratorINSC_10device_ptrIKyEEEESI_EEEEESK_NSA_INS5_IJNSE_INSF_IyEEEESM_EEEEEPS7_SP_SP_NSC_11hip_rocprim7__merge17predicate_wrapperIyyNSC_4lessImEEEEEE10hipError_tPvRmT0_T1_T2_T3_T4_T5_mmT6_P12ihipStream_tbEUlT_E0_NS1_11comp_targetILNS1_3genE2ELNS1_11target_archE906ELNS1_3gpuE6ELNS1_3repE0EEENS1_30default_config_static_selectorELNS0_4arch9wavefront6targetE0EEEvS10_.has_indirect_call, 0
	.section	.AMDGPU.csdata,"",@progbits
; Kernel info:
; codeLenInByte = 0
; TotalNumSgprs: 0
; NumVgprs: 0
; ScratchSize: 0
; MemoryBound: 0
; FloatMode: 240
; IeeeMode: 1
; LDSByteSize: 0 bytes/workgroup (compile time only)
; SGPRBlocks: 0
; VGPRBlocks: 0
; NumSGPRsForWavesPerEU: 1
; NumVGPRsForWavesPerEU: 1
; Occupancy: 16
; WaveLimiterHint : 0
; COMPUTE_PGM_RSRC2:SCRATCH_EN: 0
; COMPUTE_PGM_RSRC2:USER_SGPR: 6
; COMPUTE_PGM_RSRC2:TRAP_HANDLER: 0
; COMPUTE_PGM_RSRC2:TGID_X_EN: 1
; COMPUTE_PGM_RSRC2:TGID_Y_EN: 0
; COMPUTE_PGM_RSRC2:TGID_Z_EN: 0
; COMPUTE_PGM_RSRC2:TIDIG_COMP_CNT: 0
	.section	.text._ZN7rocprim17ROCPRIM_400000_NS6detail17trampoline_kernelINS0_14default_configENS1_21merge_config_selectorINS0_5tupleIJyyEEENS0_10empty_typeEEEZNS1_10merge_implIS3_NS0_12zip_iteratorINS5_IJN6thrust23THRUST_200600_302600_NS6detail15normal_iteratorINSC_10device_ptrIKyEEEESI_EEEEESK_NSA_INS5_IJNSE_INSF_IyEEEESM_EEEEEPS7_SP_SP_NSC_11hip_rocprim7__merge17predicate_wrapperIyyNSC_4lessImEEEEEE10hipError_tPvRmT0_T1_T2_T3_T4_T5_mmT6_P12ihipStream_tbEUlT_E0_NS1_11comp_targetILNS1_3genE10ELNS1_11target_archE1201ELNS1_3gpuE5ELNS1_3repE0EEENS1_30default_config_static_selectorELNS0_4arch9wavefront6targetE0EEEvS10_,"axG",@progbits,_ZN7rocprim17ROCPRIM_400000_NS6detail17trampoline_kernelINS0_14default_configENS1_21merge_config_selectorINS0_5tupleIJyyEEENS0_10empty_typeEEEZNS1_10merge_implIS3_NS0_12zip_iteratorINS5_IJN6thrust23THRUST_200600_302600_NS6detail15normal_iteratorINSC_10device_ptrIKyEEEESI_EEEEESK_NSA_INS5_IJNSE_INSF_IyEEEESM_EEEEEPS7_SP_SP_NSC_11hip_rocprim7__merge17predicate_wrapperIyyNSC_4lessImEEEEEE10hipError_tPvRmT0_T1_T2_T3_T4_T5_mmT6_P12ihipStream_tbEUlT_E0_NS1_11comp_targetILNS1_3genE10ELNS1_11target_archE1201ELNS1_3gpuE5ELNS1_3repE0EEENS1_30default_config_static_selectorELNS0_4arch9wavefront6targetE0EEEvS10_,comdat
	.protected	_ZN7rocprim17ROCPRIM_400000_NS6detail17trampoline_kernelINS0_14default_configENS1_21merge_config_selectorINS0_5tupleIJyyEEENS0_10empty_typeEEEZNS1_10merge_implIS3_NS0_12zip_iteratorINS5_IJN6thrust23THRUST_200600_302600_NS6detail15normal_iteratorINSC_10device_ptrIKyEEEESI_EEEEESK_NSA_INS5_IJNSE_INSF_IyEEEESM_EEEEEPS7_SP_SP_NSC_11hip_rocprim7__merge17predicate_wrapperIyyNSC_4lessImEEEEEE10hipError_tPvRmT0_T1_T2_T3_T4_T5_mmT6_P12ihipStream_tbEUlT_E0_NS1_11comp_targetILNS1_3genE10ELNS1_11target_archE1201ELNS1_3gpuE5ELNS1_3repE0EEENS1_30default_config_static_selectorELNS0_4arch9wavefront6targetE0EEEvS10_ ; -- Begin function _ZN7rocprim17ROCPRIM_400000_NS6detail17trampoline_kernelINS0_14default_configENS1_21merge_config_selectorINS0_5tupleIJyyEEENS0_10empty_typeEEEZNS1_10merge_implIS3_NS0_12zip_iteratorINS5_IJN6thrust23THRUST_200600_302600_NS6detail15normal_iteratorINSC_10device_ptrIKyEEEESI_EEEEESK_NSA_INS5_IJNSE_INSF_IyEEEESM_EEEEEPS7_SP_SP_NSC_11hip_rocprim7__merge17predicate_wrapperIyyNSC_4lessImEEEEEE10hipError_tPvRmT0_T1_T2_T3_T4_T5_mmT6_P12ihipStream_tbEUlT_E0_NS1_11comp_targetILNS1_3genE10ELNS1_11target_archE1201ELNS1_3gpuE5ELNS1_3repE0EEENS1_30default_config_static_selectorELNS0_4arch9wavefront6targetE0EEEvS10_
	.globl	_ZN7rocprim17ROCPRIM_400000_NS6detail17trampoline_kernelINS0_14default_configENS1_21merge_config_selectorINS0_5tupleIJyyEEENS0_10empty_typeEEEZNS1_10merge_implIS3_NS0_12zip_iteratorINS5_IJN6thrust23THRUST_200600_302600_NS6detail15normal_iteratorINSC_10device_ptrIKyEEEESI_EEEEESK_NSA_INS5_IJNSE_INSF_IyEEEESM_EEEEEPS7_SP_SP_NSC_11hip_rocprim7__merge17predicate_wrapperIyyNSC_4lessImEEEEEE10hipError_tPvRmT0_T1_T2_T3_T4_T5_mmT6_P12ihipStream_tbEUlT_E0_NS1_11comp_targetILNS1_3genE10ELNS1_11target_archE1201ELNS1_3gpuE5ELNS1_3repE0EEENS1_30default_config_static_selectorELNS0_4arch9wavefront6targetE0EEEvS10_
	.p2align	8
	.type	_ZN7rocprim17ROCPRIM_400000_NS6detail17trampoline_kernelINS0_14default_configENS1_21merge_config_selectorINS0_5tupleIJyyEEENS0_10empty_typeEEEZNS1_10merge_implIS3_NS0_12zip_iteratorINS5_IJN6thrust23THRUST_200600_302600_NS6detail15normal_iteratorINSC_10device_ptrIKyEEEESI_EEEEESK_NSA_INS5_IJNSE_INSF_IyEEEESM_EEEEEPS7_SP_SP_NSC_11hip_rocprim7__merge17predicate_wrapperIyyNSC_4lessImEEEEEE10hipError_tPvRmT0_T1_T2_T3_T4_T5_mmT6_P12ihipStream_tbEUlT_E0_NS1_11comp_targetILNS1_3genE10ELNS1_11target_archE1201ELNS1_3gpuE5ELNS1_3repE0EEENS1_30default_config_static_selectorELNS0_4arch9wavefront6targetE0EEEvS10_,@function
_ZN7rocprim17ROCPRIM_400000_NS6detail17trampoline_kernelINS0_14default_configENS1_21merge_config_selectorINS0_5tupleIJyyEEENS0_10empty_typeEEEZNS1_10merge_implIS3_NS0_12zip_iteratorINS5_IJN6thrust23THRUST_200600_302600_NS6detail15normal_iteratorINSC_10device_ptrIKyEEEESI_EEEEESK_NSA_INS5_IJNSE_INSF_IyEEEESM_EEEEEPS7_SP_SP_NSC_11hip_rocprim7__merge17predicate_wrapperIyyNSC_4lessImEEEEEE10hipError_tPvRmT0_T1_T2_T3_T4_T5_mmT6_P12ihipStream_tbEUlT_E0_NS1_11comp_targetILNS1_3genE10ELNS1_11target_archE1201ELNS1_3gpuE5ELNS1_3repE0EEENS1_30default_config_static_selectorELNS0_4arch9wavefront6targetE0EEEvS10_: ; @_ZN7rocprim17ROCPRIM_400000_NS6detail17trampoline_kernelINS0_14default_configENS1_21merge_config_selectorINS0_5tupleIJyyEEENS0_10empty_typeEEEZNS1_10merge_implIS3_NS0_12zip_iteratorINS5_IJN6thrust23THRUST_200600_302600_NS6detail15normal_iteratorINSC_10device_ptrIKyEEEESI_EEEEESK_NSA_INS5_IJNSE_INSF_IyEEEESM_EEEEEPS7_SP_SP_NSC_11hip_rocprim7__merge17predicate_wrapperIyyNSC_4lessImEEEEEE10hipError_tPvRmT0_T1_T2_T3_T4_T5_mmT6_P12ihipStream_tbEUlT_E0_NS1_11comp_targetILNS1_3genE10ELNS1_11target_archE1201ELNS1_3gpuE5ELNS1_3repE0EEENS1_30default_config_static_selectorELNS0_4arch9wavefront6targetE0EEEvS10_
; %bb.0:
	.section	.rodata,"a",@progbits
	.p2align	6, 0x0
	.amdhsa_kernel _ZN7rocprim17ROCPRIM_400000_NS6detail17trampoline_kernelINS0_14default_configENS1_21merge_config_selectorINS0_5tupleIJyyEEENS0_10empty_typeEEEZNS1_10merge_implIS3_NS0_12zip_iteratorINS5_IJN6thrust23THRUST_200600_302600_NS6detail15normal_iteratorINSC_10device_ptrIKyEEEESI_EEEEESK_NSA_INS5_IJNSE_INSF_IyEEEESM_EEEEEPS7_SP_SP_NSC_11hip_rocprim7__merge17predicate_wrapperIyyNSC_4lessImEEEEEE10hipError_tPvRmT0_T1_T2_T3_T4_T5_mmT6_P12ihipStream_tbEUlT_E0_NS1_11comp_targetILNS1_3genE10ELNS1_11target_archE1201ELNS1_3gpuE5ELNS1_3repE0EEENS1_30default_config_static_selectorELNS0_4arch9wavefront6targetE0EEEvS10_
		.amdhsa_group_segment_fixed_size 0
		.amdhsa_private_segment_fixed_size 0
		.amdhsa_kernarg_size 112
		.amdhsa_user_sgpr_count 6
		.amdhsa_user_sgpr_private_segment_buffer 1
		.amdhsa_user_sgpr_dispatch_ptr 0
		.amdhsa_user_sgpr_queue_ptr 0
		.amdhsa_user_sgpr_kernarg_segment_ptr 1
		.amdhsa_user_sgpr_dispatch_id 0
		.amdhsa_user_sgpr_flat_scratch_init 0
		.amdhsa_user_sgpr_private_segment_size 0
		.amdhsa_wavefront_size32 1
		.amdhsa_uses_dynamic_stack 0
		.amdhsa_system_sgpr_private_segment_wavefront_offset 0
		.amdhsa_system_sgpr_workgroup_id_x 1
		.amdhsa_system_sgpr_workgroup_id_y 0
		.amdhsa_system_sgpr_workgroup_id_z 0
		.amdhsa_system_sgpr_workgroup_info 0
		.amdhsa_system_vgpr_workitem_id 0
		.amdhsa_next_free_vgpr 1
		.amdhsa_next_free_sgpr 1
		.amdhsa_reserve_vcc 0
		.amdhsa_reserve_flat_scratch 0
		.amdhsa_float_round_mode_32 0
		.amdhsa_float_round_mode_16_64 0
		.amdhsa_float_denorm_mode_32 3
		.amdhsa_float_denorm_mode_16_64 3
		.amdhsa_dx10_clamp 1
		.amdhsa_ieee_mode 1
		.amdhsa_fp16_overflow 0
		.amdhsa_workgroup_processor_mode 1
		.amdhsa_memory_ordered 1
		.amdhsa_forward_progress 1
		.amdhsa_shared_vgpr_count 0
		.amdhsa_exception_fp_ieee_invalid_op 0
		.amdhsa_exception_fp_denorm_src 0
		.amdhsa_exception_fp_ieee_div_zero 0
		.amdhsa_exception_fp_ieee_overflow 0
		.amdhsa_exception_fp_ieee_underflow 0
		.amdhsa_exception_fp_ieee_inexact 0
		.amdhsa_exception_int_div_zero 0
	.end_amdhsa_kernel
	.section	.text._ZN7rocprim17ROCPRIM_400000_NS6detail17trampoline_kernelINS0_14default_configENS1_21merge_config_selectorINS0_5tupleIJyyEEENS0_10empty_typeEEEZNS1_10merge_implIS3_NS0_12zip_iteratorINS5_IJN6thrust23THRUST_200600_302600_NS6detail15normal_iteratorINSC_10device_ptrIKyEEEESI_EEEEESK_NSA_INS5_IJNSE_INSF_IyEEEESM_EEEEEPS7_SP_SP_NSC_11hip_rocprim7__merge17predicate_wrapperIyyNSC_4lessImEEEEEE10hipError_tPvRmT0_T1_T2_T3_T4_T5_mmT6_P12ihipStream_tbEUlT_E0_NS1_11comp_targetILNS1_3genE10ELNS1_11target_archE1201ELNS1_3gpuE5ELNS1_3repE0EEENS1_30default_config_static_selectorELNS0_4arch9wavefront6targetE0EEEvS10_,"axG",@progbits,_ZN7rocprim17ROCPRIM_400000_NS6detail17trampoline_kernelINS0_14default_configENS1_21merge_config_selectorINS0_5tupleIJyyEEENS0_10empty_typeEEEZNS1_10merge_implIS3_NS0_12zip_iteratorINS5_IJN6thrust23THRUST_200600_302600_NS6detail15normal_iteratorINSC_10device_ptrIKyEEEESI_EEEEESK_NSA_INS5_IJNSE_INSF_IyEEEESM_EEEEEPS7_SP_SP_NSC_11hip_rocprim7__merge17predicate_wrapperIyyNSC_4lessImEEEEEE10hipError_tPvRmT0_T1_T2_T3_T4_T5_mmT6_P12ihipStream_tbEUlT_E0_NS1_11comp_targetILNS1_3genE10ELNS1_11target_archE1201ELNS1_3gpuE5ELNS1_3repE0EEENS1_30default_config_static_selectorELNS0_4arch9wavefront6targetE0EEEvS10_,comdat
.Lfunc_end475:
	.size	_ZN7rocprim17ROCPRIM_400000_NS6detail17trampoline_kernelINS0_14default_configENS1_21merge_config_selectorINS0_5tupleIJyyEEENS0_10empty_typeEEEZNS1_10merge_implIS3_NS0_12zip_iteratorINS5_IJN6thrust23THRUST_200600_302600_NS6detail15normal_iteratorINSC_10device_ptrIKyEEEESI_EEEEESK_NSA_INS5_IJNSE_INSF_IyEEEESM_EEEEEPS7_SP_SP_NSC_11hip_rocprim7__merge17predicate_wrapperIyyNSC_4lessImEEEEEE10hipError_tPvRmT0_T1_T2_T3_T4_T5_mmT6_P12ihipStream_tbEUlT_E0_NS1_11comp_targetILNS1_3genE10ELNS1_11target_archE1201ELNS1_3gpuE5ELNS1_3repE0EEENS1_30default_config_static_selectorELNS0_4arch9wavefront6targetE0EEEvS10_, .Lfunc_end475-_ZN7rocprim17ROCPRIM_400000_NS6detail17trampoline_kernelINS0_14default_configENS1_21merge_config_selectorINS0_5tupleIJyyEEENS0_10empty_typeEEEZNS1_10merge_implIS3_NS0_12zip_iteratorINS5_IJN6thrust23THRUST_200600_302600_NS6detail15normal_iteratorINSC_10device_ptrIKyEEEESI_EEEEESK_NSA_INS5_IJNSE_INSF_IyEEEESM_EEEEEPS7_SP_SP_NSC_11hip_rocprim7__merge17predicate_wrapperIyyNSC_4lessImEEEEEE10hipError_tPvRmT0_T1_T2_T3_T4_T5_mmT6_P12ihipStream_tbEUlT_E0_NS1_11comp_targetILNS1_3genE10ELNS1_11target_archE1201ELNS1_3gpuE5ELNS1_3repE0EEENS1_30default_config_static_selectorELNS0_4arch9wavefront6targetE0EEEvS10_
                                        ; -- End function
	.set _ZN7rocprim17ROCPRIM_400000_NS6detail17trampoline_kernelINS0_14default_configENS1_21merge_config_selectorINS0_5tupleIJyyEEENS0_10empty_typeEEEZNS1_10merge_implIS3_NS0_12zip_iteratorINS5_IJN6thrust23THRUST_200600_302600_NS6detail15normal_iteratorINSC_10device_ptrIKyEEEESI_EEEEESK_NSA_INS5_IJNSE_INSF_IyEEEESM_EEEEEPS7_SP_SP_NSC_11hip_rocprim7__merge17predicate_wrapperIyyNSC_4lessImEEEEEE10hipError_tPvRmT0_T1_T2_T3_T4_T5_mmT6_P12ihipStream_tbEUlT_E0_NS1_11comp_targetILNS1_3genE10ELNS1_11target_archE1201ELNS1_3gpuE5ELNS1_3repE0EEENS1_30default_config_static_selectorELNS0_4arch9wavefront6targetE0EEEvS10_.num_vgpr, 0
	.set _ZN7rocprim17ROCPRIM_400000_NS6detail17trampoline_kernelINS0_14default_configENS1_21merge_config_selectorINS0_5tupleIJyyEEENS0_10empty_typeEEEZNS1_10merge_implIS3_NS0_12zip_iteratorINS5_IJN6thrust23THRUST_200600_302600_NS6detail15normal_iteratorINSC_10device_ptrIKyEEEESI_EEEEESK_NSA_INS5_IJNSE_INSF_IyEEEESM_EEEEEPS7_SP_SP_NSC_11hip_rocprim7__merge17predicate_wrapperIyyNSC_4lessImEEEEEE10hipError_tPvRmT0_T1_T2_T3_T4_T5_mmT6_P12ihipStream_tbEUlT_E0_NS1_11comp_targetILNS1_3genE10ELNS1_11target_archE1201ELNS1_3gpuE5ELNS1_3repE0EEENS1_30default_config_static_selectorELNS0_4arch9wavefront6targetE0EEEvS10_.num_agpr, 0
	.set _ZN7rocprim17ROCPRIM_400000_NS6detail17trampoline_kernelINS0_14default_configENS1_21merge_config_selectorINS0_5tupleIJyyEEENS0_10empty_typeEEEZNS1_10merge_implIS3_NS0_12zip_iteratorINS5_IJN6thrust23THRUST_200600_302600_NS6detail15normal_iteratorINSC_10device_ptrIKyEEEESI_EEEEESK_NSA_INS5_IJNSE_INSF_IyEEEESM_EEEEEPS7_SP_SP_NSC_11hip_rocprim7__merge17predicate_wrapperIyyNSC_4lessImEEEEEE10hipError_tPvRmT0_T1_T2_T3_T4_T5_mmT6_P12ihipStream_tbEUlT_E0_NS1_11comp_targetILNS1_3genE10ELNS1_11target_archE1201ELNS1_3gpuE5ELNS1_3repE0EEENS1_30default_config_static_selectorELNS0_4arch9wavefront6targetE0EEEvS10_.numbered_sgpr, 0
	.set _ZN7rocprim17ROCPRIM_400000_NS6detail17trampoline_kernelINS0_14default_configENS1_21merge_config_selectorINS0_5tupleIJyyEEENS0_10empty_typeEEEZNS1_10merge_implIS3_NS0_12zip_iteratorINS5_IJN6thrust23THRUST_200600_302600_NS6detail15normal_iteratorINSC_10device_ptrIKyEEEESI_EEEEESK_NSA_INS5_IJNSE_INSF_IyEEEESM_EEEEEPS7_SP_SP_NSC_11hip_rocprim7__merge17predicate_wrapperIyyNSC_4lessImEEEEEE10hipError_tPvRmT0_T1_T2_T3_T4_T5_mmT6_P12ihipStream_tbEUlT_E0_NS1_11comp_targetILNS1_3genE10ELNS1_11target_archE1201ELNS1_3gpuE5ELNS1_3repE0EEENS1_30default_config_static_selectorELNS0_4arch9wavefront6targetE0EEEvS10_.num_named_barrier, 0
	.set _ZN7rocprim17ROCPRIM_400000_NS6detail17trampoline_kernelINS0_14default_configENS1_21merge_config_selectorINS0_5tupleIJyyEEENS0_10empty_typeEEEZNS1_10merge_implIS3_NS0_12zip_iteratorINS5_IJN6thrust23THRUST_200600_302600_NS6detail15normal_iteratorINSC_10device_ptrIKyEEEESI_EEEEESK_NSA_INS5_IJNSE_INSF_IyEEEESM_EEEEEPS7_SP_SP_NSC_11hip_rocprim7__merge17predicate_wrapperIyyNSC_4lessImEEEEEE10hipError_tPvRmT0_T1_T2_T3_T4_T5_mmT6_P12ihipStream_tbEUlT_E0_NS1_11comp_targetILNS1_3genE10ELNS1_11target_archE1201ELNS1_3gpuE5ELNS1_3repE0EEENS1_30default_config_static_selectorELNS0_4arch9wavefront6targetE0EEEvS10_.private_seg_size, 0
	.set _ZN7rocprim17ROCPRIM_400000_NS6detail17trampoline_kernelINS0_14default_configENS1_21merge_config_selectorINS0_5tupleIJyyEEENS0_10empty_typeEEEZNS1_10merge_implIS3_NS0_12zip_iteratorINS5_IJN6thrust23THRUST_200600_302600_NS6detail15normal_iteratorINSC_10device_ptrIKyEEEESI_EEEEESK_NSA_INS5_IJNSE_INSF_IyEEEESM_EEEEEPS7_SP_SP_NSC_11hip_rocprim7__merge17predicate_wrapperIyyNSC_4lessImEEEEEE10hipError_tPvRmT0_T1_T2_T3_T4_T5_mmT6_P12ihipStream_tbEUlT_E0_NS1_11comp_targetILNS1_3genE10ELNS1_11target_archE1201ELNS1_3gpuE5ELNS1_3repE0EEENS1_30default_config_static_selectorELNS0_4arch9wavefront6targetE0EEEvS10_.uses_vcc, 0
	.set _ZN7rocprim17ROCPRIM_400000_NS6detail17trampoline_kernelINS0_14default_configENS1_21merge_config_selectorINS0_5tupleIJyyEEENS0_10empty_typeEEEZNS1_10merge_implIS3_NS0_12zip_iteratorINS5_IJN6thrust23THRUST_200600_302600_NS6detail15normal_iteratorINSC_10device_ptrIKyEEEESI_EEEEESK_NSA_INS5_IJNSE_INSF_IyEEEESM_EEEEEPS7_SP_SP_NSC_11hip_rocprim7__merge17predicate_wrapperIyyNSC_4lessImEEEEEE10hipError_tPvRmT0_T1_T2_T3_T4_T5_mmT6_P12ihipStream_tbEUlT_E0_NS1_11comp_targetILNS1_3genE10ELNS1_11target_archE1201ELNS1_3gpuE5ELNS1_3repE0EEENS1_30default_config_static_selectorELNS0_4arch9wavefront6targetE0EEEvS10_.uses_flat_scratch, 0
	.set _ZN7rocprim17ROCPRIM_400000_NS6detail17trampoline_kernelINS0_14default_configENS1_21merge_config_selectorINS0_5tupleIJyyEEENS0_10empty_typeEEEZNS1_10merge_implIS3_NS0_12zip_iteratorINS5_IJN6thrust23THRUST_200600_302600_NS6detail15normal_iteratorINSC_10device_ptrIKyEEEESI_EEEEESK_NSA_INS5_IJNSE_INSF_IyEEEESM_EEEEEPS7_SP_SP_NSC_11hip_rocprim7__merge17predicate_wrapperIyyNSC_4lessImEEEEEE10hipError_tPvRmT0_T1_T2_T3_T4_T5_mmT6_P12ihipStream_tbEUlT_E0_NS1_11comp_targetILNS1_3genE10ELNS1_11target_archE1201ELNS1_3gpuE5ELNS1_3repE0EEENS1_30default_config_static_selectorELNS0_4arch9wavefront6targetE0EEEvS10_.has_dyn_sized_stack, 0
	.set _ZN7rocprim17ROCPRIM_400000_NS6detail17trampoline_kernelINS0_14default_configENS1_21merge_config_selectorINS0_5tupleIJyyEEENS0_10empty_typeEEEZNS1_10merge_implIS3_NS0_12zip_iteratorINS5_IJN6thrust23THRUST_200600_302600_NS6detail15normal_iteratorINSC_10device_ptrIKyEEEESI_EEEEESK_NSA_INS5_IJNSE_INSF_IyEEEESM_EEEEEPS7_SP_SP_NSC_11hip_rocprim7__merge17predicate_wrapperIyyNSC_4lessImEEEEEE10hipError_tPvRmT0_T1_T2_T3_T4_T5_mmT6_P12ihipStream_tbEUlT_E0_NS1_11comp_targetILNS1_3genE10ELNS1_11target_archE1201ELNS1_3gpuE5ELNS1_3repE0EEENS1_30default_config_static_selectorELNS0_4arch9wavefront6targetE0EEEvS10_.has_recursion, 0
	.set _ZN7rocprim17ROCPRIM_400000_NS6detail17trampoline_kernelINS0_14default_configENS1_21merge_config_selectorINS0_5tupleIJyyEEENS0_10empty_typeEEEZNS1_10merge_implIS3_NS0_12zip_iteratorINS5_IJN6thrust23THRUST_200600_302600_NS6detail15normal_iteratorINSC_10device_ptrIKyEEEESI_EEEEESK_NSA_INS5_IJNSE_INSF_IyEEEESM_EEEEEPS7_SP_SP_NSC_11hip_rocprim7__merge17predicate_wrapperIyyNSC_4lessImEEEEEE10hipError_tPvRmT0_T1_T2_T3_T4_T5_mmT6_P12ihipStream_tbEUlT_E0_NS1_11comp_targetILNS1_3genE10ELNS1_11target_archE1201ELNS1_3gpuE5ELNS1_3repE0EEENS1_30default_config_static_selectorELNS0_4arch9wavefront6targetE0EEEvS10_.has_indirect_call, 0
	.section	.AMDGPU.csdata,"",@progbits
; Kernel info:
; codeLenInByte = 0
; TotalNumSgprs: 0
; NumVgprs: 0
; ScratchSize: 0
; MemoryBound: 0
; FloatMode: 240
; IeeeMode: 1
; LDSByteSize: 0 bytes/workgroup (compile time only)
; SGPRBlocks: 0
; VGPRBlocks: 0
; NumSGPRsForWavesPerEU: 1
; NumVGPRsForWavesPerEU: 1
; Occupancy: 16
; WaveLimiterHint : 0
; COMPUTE_PGM_RSRC2:SCRATCH_EN: 0
; COMPUTE_PGM_RSRC2:USER_SGPR: 6
; COMPUTE_PGM_RSRC2:TRAP_HANDLER: 0
; COMPUTE_PGM_RSRC2:TGID_X_EN: 1
; COMPUTE_PGM_RSRC2:TGID_Y_EN: 0
; COMPUTE_PGM_RSRC2:TGID_Z_EN: 0
; COMPUTE_PGM_RSRC2:TIDIG_COMP_CNT: 0
	.section	.text._ZN7rocprim17ROCPRIM_400000_NS6detail17trampoline_kernelINS0_14default_configENS1_21merge_config_selectorINS0_5tupleIJyyEEENS0_10empty_typeEEEZNS1_10merge_implIS3_NS0_12zip_iteratorINS5_IJN6thrust23THRUST_200600_302600_NS6detail15normal_iteratorINSC_10device_ptrIKyEEEESI_EEEEESK_NSA_INS5_IJNSE_INSF_IyEEEESM_EEEEEPS7_SP_SP_NSC_11hip_rocprim7__merge17predicate_wrapperIyyNSC_4lessImEEEEEE10hipError_tPvRmT0_T1_T2_T3_T4_T5_mmT6_P12ihipStream_tbEUlT_E0_NS1_11comp_targetILNS1_3genE10ELNS1_11target_archE1200ELNS1_3gpuE4ELNS1_3repE0EEENS1_30default_config_static_selectorELNS0_4arch9wavefront6targetE0EEEvS10_,"axG",@progbits,_ZN7rocprim17ROCPRIM_400000_NS6detail17trampoline_kernelINS0_14default_configENS1_21merge_config_selectorINS0_5tupleIJyyEEENS0_10empty_typeEEEZNS1_10merge_implIS3_NS0_12zip_iteratorINS5_IJN6thrust23THRUST_200600_302600_NS6detail15normal_iteratorINSC_10device_ptrIKyEEEESI_EEEEESK_NSA_INS5_IJNSE_INSF_IyEEEESM_EEEEEPS7_SP_SP_NSC_11hip_rocprim7__merge17predicate_wrapperIyyNSC_4lessImEEEEEE10hipError_tPvRmT0_T1_T2_T3_T4_T5_mmT6_P12ihipStream_tbEUlT_E0_NS1_11comp_targetILNS1_3genE10ELNS1_11target_archE1200ELNS1_3gpuE4ELNS1_3repE0EEENS1_30default_config_static_selectorELNS0_4arch9wavefront6targetE0EEEvS10_,comdat
	.protected	_ZN7rocprim17ROCPRIM_400000_NS6detail17trampoline_kernelINS0_14default_configENS1_21merge_config_selectorINS0_5tupleIJyyEEENS0_10empty_typeEEEZNS1_10merge_implIS3_NS0_12zip_iteratorINS5_IJN6thrust23THRUST_200600_302600_NS6detail15normal_iteratorINSC_10device_ptrIKyEEEESI_EEEEESK_NSA_INS5_IJNSE_INSF_IyEEEESM_EEEEEPS7_SP_SP_NSC_11hip_rocprim7__merge17predicate_wrapperIyyNSC_4lessImEEEEEE10hipError_tPvRmT0_T1_T2_T3_T4_T5_mmT6_P12ihipStream_tbEUlT_E0_NS1_11comp_targetILNS1_3genE10ELNS1_11target_archE1200ELNS1_3gpuE4ELNS1_3repE0EEENS1_30default_config_static_selectorELNS0_4arch9wavefront6targetE0EEEvS10_ ; -- Begin function _ZN7rocprim17ROCPRIM_400000_NS6detail17trampoline_kernelINS0_14default_configENS1_21merge_config_selectorINS0_5tupleIJyyEEENS0_10empty_typeEEEZNS1_10merge_implIS3_NS0_12zip_iteratorINS5_IJN6thrust23THRUST_200600_302600_NS6detail15normal_iteratorINSC_10device_ptrIKyEEEESI_EEEEESK_NSA_INS5_IJNSE_INSF_IyEEEESM_EEEEEPS7_SP_SP_NSC_11hip_rocprim7__merge17predicate_wrapperIyyNSC_4lessImEEEEEE10hipError_tPvRmT0_T1_T2_T3_T4_T5_mmT6_P12ihipStream_tbEUlT_E0_NS1_11comp_targetILNS1_3genE10ELNS1_11target_archE1200ELNS1_3gpuE4ELNS1_3repE0EEENS1_30default_config_static_selectorELNS0_4arch9wavefront6targetE0EEEvS10_
	.globl	_ZN7rocprim17ROCPRIM_400000_NS6detail17trampoline_kernelINS0_14default_configENS1_21merge_config_selectorINS0_5tupleIJyyEEENS0_10empty_typeEEEZNS1_10merge_implIS3_NS0_12zip_iteratorINS5_IJN6thrust23THRUST_200600_302600_NS6detail15normal_iteratorINSC_10device_ptrIKyEEEESI_EEEEESK_NSA_INS5_IJNSE_INSF_IyEEEESM_EEEEEPS7_SP_SP_NSC_11hip_rocprim7__merge17predicate_wrapperIyyNSC_4lessImEEEEEE10hipError_tPvRmT0_T1_T2_T3_T4_T5_mmT6_P12ihipStream_tbEUlT_E0_NS1_11comp_targetILNS1_3genE10ELNS1_11target_archE1200ELNS1_3gpuE4ELNS1_3repE0EEENS1_30default_config_static_selectorELNS0_4arch9wavefront6targetE0EEEvS10_
	.p2align	8
	.type	_ZN7rocprim17ROCPRIM_400000_NS6detail17trampoline_kernelINS0_14default_configENS1_21merge_config_selectorINS0_5tupleIJyyEEENS0_10empty_typeEEEZNS1_10merge_implIS3_NS0_12zip_iteratorINS5_IJN6thrust23THRUST_200600_302600_NS6detail15normal_iteratorINSC_10device_ptrIKyEEEESI_EEEEESK_NSA_INS5_IJNSE_INSF_IyEEEESM_EEEEEPS7_SP_SP_NSC_11hip_rocprim7__merge17predicate_wrapperIyyNSC_4lessImEEEEEE10hipError_tPvRmT0_T1_T2_T3_T4_T5_mmT6_P12ihipStream_tbEUlT_E0_NS1_11comp_targetILNS1_3genE10ELNS1_11target_archE1200ELNS1_3gpuE4ELNS1_3repE0EEENS1_30default_config_static_selectorELNS0_4arch9wavefront6targetE0EEEvS10_,@function
_ZN7rocprim17ROCPRIM_400000_NS6detail17trampoline_kernelINS0_14default_configENS1_21merge_config_selectorINS0_5tupleIJyyEEENS0_10empty_typeEEEZNS1_10merge_implIS3_NS0_12zip_iteratorINS5_IJN6thrust23THRUST_200600_302600_NS6detail15normal_iteratorINSC_10device_ptrIKyEEEESI_EEEEESK_NSA_INS5_IJNSE_INSF_IyEEEESM_EEEEEPS7_SP_SP_NSC_11hip_rocprim7__merge17predicate_wrapperIyyNSC_4lessImEEEEEE10hipError_tPvRmT0_T1_T2_T3_T4_T5_mmT6_P12ihipStream_tbEUlT_E0_NS1_11comp_targetILNS1_3genE10ELNS1_11target_archE1200ELNS1_3gpuE4ELNS1_3repE0EEENS1_30default_config_static_selectorELNS0_4arch9wavefront6targetE0EEEvS10_: ; @_ZN7rocprim17ROCPRIM_400000_NS6detail17trampoline_kernelINS0_14default_configENS1_21merge_config_selectorINS0_5tupleIJyyEEENS0_10empty_typeEEEZNS1_10merge_implIS3_NS0_12zip_iteratorINS5_IJN6thrust23THRUST_200600_302600_NS6detail15normal_iteratorINSC_10device_ptrIKyEEEESI_EEEEESK_NSA_INS5_IJNSE_INSF_IyEEEESM_EEEEEPS7_SP_SP_NSC_11hip_rocprim7__merge17predicate_wrapperIyyNSC_4lessImEEEEEE10hipError_tPvRmT0_T1_T2_T3_T4_T5_mmT6_P12ihipStream_tbEUlT_E0_NS1_11comp_targetILNS1_3genE10ELNS1_11target_archE1200ELNS1_3gpuE4ELNS1_3repE0EEENS1_30default_config_static_selectorELNS0_4arch9wavefront6targetE0EEEvS10_
; %bb.0:
	.section	.rodata,"a",@progbits
	.p2align	6, 0x0
	.amdhsa_kernel _ZN7rocprim17ROCPRIM_400000_NS6detail17trampoline_kernelINS0_14default_configENS1_21merge_config_selectorINS0_5tupleIJyyEEENS0_10empty_typeEEEZNS1_10merge_implIS3_NS0_12zip_iteratorINS5_IJN6thrust23THRUST_200600_302600_NS6detail15normal_iteratorINSC_10device_ptrIKyEEEESI_EEEEESK_NSA_INS5_IJNSE_INSF_IyEEEESM_EEEEEPS7_SP_SP_NSC_11hip_rocprim7__merge17predicate_wrapperIyyNSC_4lessImEEEEEE10hipError_tPvRmT0_T1_T2_T3_T4_T5_mmT6_P12ihipStream_tbEUlT_E0_NS1_11comp_targetILNS1_3genE10ELNS1_11target_archE1200ELNS1_3gpuE4ELNS1_3repE0EEENS1_30default_config_static_selectorELNS0_4arch9wavefront6targetE0EEEvS10_
		.amdhsa_group_segment_fixed_size 0
		.amdhsa_private_segment_fixed_size 0
		.amdhsa_kernarg_size 112
		.amdhsa_user_sgpr_count 6
		.amdhsa_user_sgpr_private_segment_buffer 1
		.amdhsa_user_sgpr_dispatch_ptr 0
		.amdhsa_user_sgpr_queue_ptr 0
		.amdhsa_user_sgpr_kernarg_segment_ptr 1
		.amdhsa_user_sgpr_dispatch_id 0
		.amdhsa_user_sgpr_flat_scratch_init 0
		.amdhsa_user_sgpr_private_segment_size 0
		.amdhsa_wavefront_size32 1
		.amdhsa_uses_dynamic_stack 0
		.amdhsa_system_sgpr_private_segment_wavefront_offset 0
		.amdhsa_system_sgpr_workgroup_id_x 1
		.amdhsa_system_sgpr_workgroup_id_y 0
		.amdhsa_system_sgpr_workgroup_id_z 0
		.amdhsa_system_sgpr_workgroup_info 0
		.amdhsa_system_vgpr_workitem_id 0
		.amdhsa_next_free_vgpr 1
		.amdhsa_next_free_sgpr 1
		.amdhsa_reserve_vcc 0
		.amdhsa_reserve_flat_scratch 0
		.amdhsa_float_round_mode_32 0
		.amdhsa_float_round_mode_16_64 0
		.amdhsa_float_denorm_mode_32 3
		.amdhsa_float_denorm_mode_16_64 3
		.amdhsa_dx10_clamp 1
		.amdhsa_ieee_mode 1
		.amdhsa_fp16_overflow 0
		.amdhsa_workgroup_processor_mode 1
		.amdhsa_memory_ordered 1
		.amdhsa_forward_progress 1
		.amdhsa_shared_vgpr_count 0
		.amdhsa_exception_fp_ieee_invalid_op 0
		.amdhsa_exception_fp_denorm_src 0
		.amdhsa_exception_fp_ieee_div_zero 0
		.amdhsa_exception_fp_ieee_overflow 0
		.amdhsa_exception_fp_ieee_underflow 0
		.amdhsa_exception_fp_ieee_inexact 0
		.amdhsa_exception_int_div_zero 0
	.end_amdhsa_kernel
	.section	.text._ZN7rocprim17ROCPRIM_400000_NS6detail17trampoline_kernelINS0_14default_configENS1_21merge_config_selectorINS0_5tupleIJyyEEENS0_10empty_typeEEEZNS1_10merge_implIS3_NS0_12zip_iteratorINS5_IJN6thrust23THRUST_200600_302600_NS6detail15normal_iteratorINSC_10device_ptrIKyEEEESI_EEEEESK_NSA_INS5_IJNSE_INSF_IyEEEESM_EEEEEPS7_SP_SP_NSC_11hip_rocprim7__merge17predicate_wrapperIyyNSC_4lessImEEEEEE10hipError_tPvRmT0_T1_T2_T3_T4_T5_mmT6_P12ihipStream_tbEUlT_E0_NS1_11comp_targetILNS1_3genE10ELNS1_11target_archE1200ELNS1_3gpuE4ELNS1_3repE0EEENS1_30default_config_static_selectorELNS0_4arch9wavefront6targetE0EEEvS10_,"axG",@progbits,_ZN7rocprim17ROCPRIM_400000_NS6detail17trampoline_kernelINS0_14default_configENS1_21merge_config_selectorINS0_5tupleIJyyEEENS0_10empty_typeEEEZNS1_10merge_implIS3_NS0_12zip_iteratorINS5_IJN6thrust23THRUST_200600_302600_NS6detail15normal_iteratorINSC_10device_ptrIKyEEEESI_EEEEESK_NSA_INS5_IJNSE_INSF_IyEEEESM_EEEEEPS7_SP_SP_NSC_11hip_rocprim7__merge17predicate_wrapperIyyNSC_4lessImEEEEEE10hipError_tPvRmT0_T1_T2_T3_T4_T5_mmT6_P12ihipStream_tbEUlT_E0_NS1_11comp_targetILNS1_3genE10ELNS1_11target_archE1200ELNS1_3gpuE4ELNS1_3repE0EEENS1_30default_config_static_selectorELNS0_4arch9wavefront6targetE0EEEvS10_,comdat
.Lfunc_end476:
	.size	_ZN7rocprim17ROCPRIM_400000_NS6detail17trampoline_kernelINS0_14default_configENS1_21merge_config_selectorINS0_5tupleIJyyEEENS0_10empty_typeEEEZNS1_10merge_implIS3_NS0_12zip_iteratorINS5_IJN6thrust23THRUST_200600_302600_NS6detail15normal_iteratorINSC_10device_ptrIKyEEEESI_EEEEESK_NSA_INS5_IJNSE_INSF_IyEEEESM_EEEEEPS7_SP_SP_NSC_11hip_rocprim7__merge17predicate_wrapperIyyNSC_4lessImEEEEEE10hipError_tPvRmT0_T1_T2_T3_T4_T5_mmT6_P12ihipStream_tbEUlT_E0_NS1_11comp_targetILNS1_3genE10ELNS1_11target_archE1200ELNS1_3gpuE4ELNS1_3repE0EEENS1_30default_config_static_selectorELNS0_4arch9wavefront6targetE0EEEvS10_, .Lfunc_end476-_ZN7rocprim17ROCPRIM_400000_NS6detail17trampoline_kernelINS0_14default_configENS1_21merge_config_selectorINS0_5tupleIJyyEEENS0_10empty_typeEEEZNS1_10merge_implIS3_NS0_12zip_iteratorINS5_IJN6thrust23THRUST_200600_302600_NS6detail15normal_iteratorINSC_10device_ptrIKyEEEESI_EEEEESK_NSA_INS5_IJNSE_INSF_IyEEEESM_EEEEEPS7_SP_SP_NSC_11hip_rocprim7__merge17predicate_wrapperIyyNSC_4lessImEEEEEE10hipError_tPvRmT0_T1_T2_T3_T4_T5_mmT6_P12ihipStream_tbEUlT_E0_NS1_11comp_targetILNS1_3genE10ELNS1_11target_archE1200ELNS1_3gpuE4ELNS1_3repE0EEENS1_30default_config_static_selectorELNS0_4arch9wavefront6targetE0EEEvS10_
                                        ; -- End function
	.set _ZN7rocprim17ROCPRIM_400000_NS6detail17trampoline_kernelINS0_14default_configENS1_21merge_config_selectorINS0_5tupleIJyyEEENS0_10empty_typeEEEZNS1_10merge_implIS3_NS0_12zip_iteratorINS5_IJN6thrust23THRUST_200600_302600_NS6detail15normal_iteratorINSC_10device_ptrIKyEEEESI_EEEEESK_NSA_INS5_IJNSE_INSF_IyEEEESM_EEEEEPS7_SP_SP_NSC_11hip_rocprim7__merge17predicate_wrapperIyyNSC_4lessImEEEEEE10hipError_tPvRmT0_T1_T2_T3_T4_T5_mmT6_P12ihipStream_tbEUlT_E0_NS1_11comp_targetILNS1_3genE10ELNS1_11target_archE1200ELNS1_3gpuE4ELNS1_3repE0EEENS1_30default_config_static_selectorELNS0_4arch9wavefront6targetE0EEEvS10_.num_vgpr, 0
	.set _ZN7rocprim17ROCPRIM_400000_NS6detail17trampoline_kernelINS0_14default_configENS1_21merge_config_selectorINS0_5tupleIJyyEEENS0_10empty_typeEEEZNS1_10merge_implIS3_NS0_12zip_iteratorINS5_IJN6thrust23THRUST_200600_302600_NS6detail15normal_iteratorINSC_10device_ptrIKyEEEESI_EEEEESK_NSA_INS5_IJNSE_INSF_IyEEEESM_EEEEEPS7_SP_SP_NSC_11hip_rocprim7__merge17predicate_wrapperIyyNSC_4lessImEEEEEE10hipError_tPvRmT0_T1_T2_T3_T4_T5_mmT6_P12ihipStream_tbEUlT_E0_NS1_11comp_targetILNS1_3genE10ELNS1_11target_archE1200ELNS1_3gpuE4ELNS1_3repE0EEENS1_30default_config_static_selectorELNS0_4arch9wavefront6targetE0EEEvS10_.num_agpr, 0
	.set _ZN7rocprim17ROCPRIM_400000_NS6detail17trampoline_kernelINS0_14default_configENS1_21merge_config_selectorINS0_5tupleIJyyEEENS0_10empty_typeEEEZNS1_10merge_implIS3_NS0_12zip_iteratorINS5_IJN6thrust23THRUST_200600_302600_NS6detail15normal_iteratorINSC_10device_ptrIKyEEEESI_EEEEESK_NSA_INS5_IJNSE_INSF_IyEEEESM_EEEEEPS7_SP_SP_NSC_11hip_rocprim7__merge17predicate_wrapperIyyNSC_4lessImEEEEEE10hipError_tPvRmT0_T1_T2_T3_T4_T5_mmT6_P12ihipStream_tbEUlT_E0_NS1_11comp_targetILNS1_3genE10ELNS1_11target_archE1200ELNS1_3gpuE4ELNS1_3repE0EEENS1_30default_config_static_selectorELNS0_4arch9wavefront6targetE0EEEvS10_.numbered_sgpr, 0
	.set _ZN7rocprim17ROCPRIM_400000_NS6detail17trampoline_kernelINS0_14default_configENS1_21merge_config_selectorINS0_5tupleIJyyEEENS0_10empty_typeEEEZNS1_10merge_implIS3_NS0_12zip_iteratorINS5_IJN6thrust23THRUST_200600_302600_NS6detail15normal_iteratorINSC_10device_ptrIKyEEEESI_EEEEESK_NSA_INS5_IJNSE_INSF_IyEEEESM_EEEEEPS7_SP_SP_NSC_11hip_rocprim7__merge17predicate_wrapperIyyNSC_4lessImEEEEEE10hipError_tPvRmT0_T1_T2_T3_T4_T5_mmT6_P12ihipStream_tbEUlT_E0_NS1_11comp_targetILNS1_3genE10ELNS1_11target_archE1200ELNS1_3gpuE4ELNS1_3repE0EEENS1_30default_config_static_selectorELNS0_4arch9wavefront6targetE0EEEvS10_.num_named_barrier, 0
	.set _ZN7rocprim17ROCPRIM_400000_NS6detail17trampoline_kernelINS0_14default_configENS1_21merge_config_selectorINS0_5tupleIJyyEEENS0_10empty_typeEEEZNS1_10merge_implIS3_NS0_12zip_iteratorINS5_IJN6thrust23THRUST_200600_302600_NS6detail15normal_iteratorINSC_10device_ptrIKyEEEESI_EEEEESK_NSA_INS5_IJNSE_INSF_IyEEEESM_EEEEEPS7_SP_SP_NSC_11hip_rocprim7__merge17predicate_wrapperIyyNSC_4lessImEEEEEE10hipError_tPvRmT0_T1_T2_T3_T4_T5_mmT6_P12ihipStream_tbEUlT_E0_NS1_11comp_targetILNS1_3genE10ELNS1_11target_archE1200ELNS1_3gpuE4ELNS1_3repE0EEENS1_30default_config_static_selectorELNS0_4arch9wavefront6targetE0EEEvS10_.private_seg_size, 0
	.set _ZN7rocprim17ROCPRIM_400000_NS6detail17trampoline_kernelINS0_14default_configENS1_21merge_config_selectorINS0_5tupleIJyyEEENS0_10empty_typeEEEZNS1_10merge_implIS3_NS0_12zip_iteratorINS5_IJN6thrust23THRUST_200600_302600_NS6detail15normal_iteratorINSC_10device_ptrIKyEEEESI_EEEEESK_NSA_INS5_IJNSE_INSF_IyEEEESM_EEEEEPS7_SP_SP_NSC_11hip_rocprim7__merge17predicate_wrapperIyyNSC_4lessImEEEEEE10hipError_tPvRmT0_T1_T2_T3_T4_T5_mmT6_P12ihipStream_tbEUlT_E0_NS1_11comp_targetILNS1_3genE10ELNS1_11target_archE1200ELNS1_3gpuE4ELNS1_3repE0EEENS1_30default_config_static_selectorELNS0_4arch9wavefront6targetE0EEEvS10_.uses_vcc, 0
	.set _ZN7rocprim17ROCPRIM_400000_NS6detail17trampoline_kernelINS0_14default_configENS1_21merge_config_selectorINS0_5tupleIJyyEEENS0_10empty_typeEEEZNS1_10merge_implIS3_NS0_12zip_iteratorINS5_IJN6thrust23THRUST_200600_302600_NS6detail15normal_iteratorINSC_10device_ptrIKyEEEESI_EEEEESK_NSA_INS5_IJNSE_INSF_IyEEEESM_EEEEEPS7_SP_SP_NSC_11hip_rocprim7__merge17predicate_wrapperIyyNSC_4lessImEEEEEE10hipError_tPvRmT0_T1_T2_T3_T4_T5_mmT6_P12ihipStream_tbEUlT_E0_NS1_11comp_targetILNS1_3genE10ELNS1_11target_archE1200ELNS1_3gpuE4ELNS1_3repE0EEENS1_30default_config_static_selectorELNS0_4arch9wavefront6targetE0EEEvS10_.uses_flat_scratch, 0
	.set _ZN7rocprim17ROCPRIM_400000_NS6detail17trampoline_kernelINS0_14default_configENS1_21merge_config_selectorINS0_5tupleIJyyEEENS0_10empty_typeEEEZNS1_10merge_implIS3_NS0_12zip_iteratorINS5_IJN6thrust23THRUST_200600_302600_NS6detail15normal_iteratorINSC_10device_ptrIKyEEEESI_EEEEESK_NSA_INS5_IJNSE_INSF_IyEEEESM_EEEEEPS7_SP_SP_NSC_11hip_rocprim7__merge17predicate_wrapperIyyNSC_4lessImEEEEEE10hipError_tPvRmT0_T1_T2_T3_T4_T5_mmT6_P12ihipStream_tbEUlT_E0_NS1_11comp_targetILNS1_3genE10ELNS1_11target_archE1200ELNS1_3gpuE4ELNS1_3repE0EEENS1_30default_config_static_selectorELNS0_4arch9wavefront6targetE0EEEvS10_.has_dyn_sized_stack, 0
	.set _ZN7rocprim17ROCPRIM_400000_NS6detail17trampoline_kernelINS0_14default_configENS1_21merge_config_selectorINS0_5tupleIJyyEEENS0_10empty_typeEEEZNS1_10merge_implIS3_NS0_12zip_iteratorINS5_IJN6thrust23THRUST_200600_302600_NS6detail15normal_iteratorINSC_10device_ptrIKyEEEESI_EEEEESK_NSA_INS5_IJNSE_INSF_IyEEEESM_EEEEEPS7_SP_SP_NSC_11hip_rocprim7__merge17predicate_wrapperIyyNSC_4lessImEEEEEE10hipError_tPvRmT0_T1_T2_T3_T4_T5_mmT6_P12ihipStream_tbEUlT_E0_NS1_11comp_targetILNS1_3genE10ELNS1_11target_archE1200ELNS1_3gpuE4ELNS1_3repE0EEENS1_30default_config_static_selectorELNS0_4arch9wavefront6targetE0EEEvS10_.has_recursion, 0
	.set _ZN7rocprim17ROCPRIM_400000_NS6detail17trampoline_kernelINS0_14default_configENS1_21merge_config_selectorINS0_5tupleIJyyEEENS0_10empty_typeEEEZNS1_10merge_implIS3_NS0_12zip_iteratorINS5_IJN6thrust23THRUST_200600_302600_NS6detail15normal_iteratorINSC_10device_ptrIKyEEEESI_EEEEESK_NSA_INS5_IJNSE_INSF_IyEEEESM_EEEEEPS7_SP_SP_NSC_11hip_rocprim7__merge17predicate_wrapperIyyNSC_4lessImEEEEEE10hipError_tPvRmT0_T1_T2_T3_T4_T5_mmT6_P12ihipStream_tbEUlT_E0_NS1_11comp_targetILNS1_3genE10ELNS1_11target_archE1200ELNS1_3gpuE4ELNS1_3repE0EEENS1_30default_config_static_selectorELNS0_4arch9wavefront6targetE0EEEvS10_.has_indirect_call, 0
	.section	.AMDGPU.csdata,"",@progbits
; Kernel info:
; codeLenInByte = 0
; TotalNumSgprs: 0
; NumVgprs: 0
; ScratchSize: 0
; MemoryBound: 0
; FloatMode: 240
; IeeeMode: 1
; LDSByteSize: 0 bytes/workgroup (compile time only)
; SGPRBlocks: 0
; VGPRBlocks: 0
; NumSGPRsForWavesPerEU: 1
; NumVGPRsForWavesPerEU: 1
; Occupancy: 16
; WaveLimiterHint : 0
; COMPUTE_PGM_RSRC2:SCRATCH_EN: 0
; COMPUTE_PGM_RSRC2:USER_SGPR: 6
; COMPUTE_PGM_RSRC2:TRAP_HANDLER: 0
; COMPUTE_PGM_RSRC2:TGID_X_EN: 1
; COMPUTE_PGM_RSRC2:TGID_Y_EN: 0
; COMPUTE_PGM_RSRC2:TGID_Z_EN: 0
; COMPUTE_PGM_RSRC2:TIDIG_COMP_CNT: 0
	.section	.text._ZN7rocprim17ROCPRIM_400000_NS6detail17trampoline_kernelINS0_14default_configENS1_21merge_config_selectorINS0_5tupleIJyyEEENS0_10empty_typeEEEZNS1_10merge_implIS3_NS0_12zip_iteratorINS5_IJN6thrust23THRUST_200600_302600_NS6detail15normal_iteratorINSC_10device_ptrIKyEEEESI_EEEEESK_NSA_INS5_IJNSE_INSF_IyEEEESM_EEEEEPS7_SP_SP_NSC_11hip_rocprim7__merge17predicate_wrapperIyyNSC_4lessImEEEEEE10hipError_tPvRmT0_T1_T2_T3_T4_T5_mmT6_P12ihipStream_tbEUlT_E0_NS1_11comp_targetILNS1_3genE9ELNS1_11target_archE1100ELNS1_3gpuE3ELNS1_3repE0EEENS1_30default_config_static_selectorELNS0_4arch9wavefront6targetE0EEEvS10_,"axG",@progbits,_ZN7rocprim17ROCPRIM_400000_NS6detail17trampoline_kernelINS0_14default_configENS1_21merge_config_selectorINS0_5tupleIJyyEEENS0_10empty_typeEEEZNS1_10merge_implIS3_NS0_12zip_iteratorINS5_IJN6thrust23THRUST_200600_302600_NS6detail15normal_iteratorINSC_10device_ptrIKyEEEESI_EEEEESK_NSA_INS5_IJNSE_INSF_IyEEEESM_EEEEEPS7_SP_SP_NSC_11hip_rocprim7__merge17predicate_wrapperIyyNSC_4lessImEEEEEE10hipError_tPvRmT0_T1_T2_T3_T4_T5_mmT6_P12ihipStream_tbEUlT_E0_NS1_11comp_targetILNS1_3genE9ELNS1_11target_archE1100ELNS1_3gpuE3ELNS1_3repE0EEENS1_30default_config_static_selectorELNS0_4arch9wavefront6targetE0EEEvS10_,comdat
	.protected	_ZN7rocprim17ROCPRIM_400000_NS6detail17trampoline_kernelINS0_14default_configENS1_21merge_config_selectorINS0_5tupleIJyyEEENS0_10empty_typeEEEZNS1_10merge_implIS3_NS0_12zip_iteratorINS5_IJN6thrust23THRUST_200600_302600_NS6detail15normal_iteratorINSC_10device_ptrIKyEEEESI_EEEEESK_NSA_INS5_IJNSE_INSF_IyEEEESM_EEEEEPS7_SP_SP_NSC_11hip_rocprim7__merge17predicate_wrapperIyyNSC_4lessImEEEEEE10hipError_tPvRmT0_T1_T2_T3_T4_T5_mmT6_P12ihipStream_tbEUlT_E0_NS1_11comp_targetILNS1_3genE9ELNS1_11target_archE1100ELNS1_3gpuE3ELNS1_3repE0EEENS1_30default_config_static_selectorELNS0_4arch9wavefront6targetE0EEEvS10_ ; -- Begin function _ZN7rocprim17ROCPRIM_400000_NS6detail17trampoline_kernelINS0_14default_configENS1_21merge_config_selectorINS0_5tupleIJyyEEENS0_10empty_typeEEEZNS1_10merge_implIS3_NS0_12zip_iteratorINS5_IJN6thrust23THRUST_200600_302600_NS6detail15normal_iteratorINSC_10device_ptrIKyEEEESI_EEEEESK_NSA_INS5_IJNSE_INSF_IyEEEESM_EEEEEPS7_SP_SP_NSC_11hip_rocprim7__merge17predicate_wrapperIyyNSC_4lessImEEEEEE10hipError_tPvRmT0_T1_T2_T3_T4_T5_mmT6_P12ihipStream_tbEUlT_E0_NS1_11comp_targetILNS1_3genE9ELNS1_11target_archE1100ELNS1_3gpuE3ELNS1_3repE0EEENS1_30default_config_static_selectorELNS0_4arch9wavefront6targetE0EEEvS10_
	.globl	_ZN7rocprim17ROCPRIM_400000_NS6detail17trampoline_kernelINS0_14default_configENS1_21merge_config_selectorINS0_5tupleIJyyEEENS0_10empty_typeEEEZNS1_10merge_implIS3_NS0_12zip_iteratorINS5_IJN6thrust23THRUST_200600_302600_NS6detail15normal_iteratorINSC_10device_ptrIKyEEEESI_EEEEESK_NSA_INS5_IJNSE_INSF_IyEEEESM_EEEEEPS7_SP_SP_NSC_11hip_rocprim7__merge17predicate_wrapperIyyNSC_4lessImEEEEEE10hipError_tPvRmT0_T1_T2_T3_T4_T5_mmT6_P12ihipStream_tbEUlT_E0_NS1_11comp_targetILNS1_3genE9ELNS1_11target_archE1100ELNS1_3gpuE3ELNS1_3repE0EEENS1_30default_config_static_selectorELNS0_4arch9wavefront6targetE0EEEvS10_
	.p2align	8
	.type	_ZN7rocprim17ROCPRIM_400000_NS6detail17trampoline_kernelINS0_14default_configENS1_21merge_config_selectorINS0_5tupleIJyyEEENS0_10empty_typeEEEZNS1_10merge_implIS3_NS0_12zip_iteratorINS5_IJN6thrust23THRUST_200600_302600_NS6detail15normal_iteratorINSC_10device_ptrIKyEEEESI_EEEEESK_NSA_INS5_IJNSE_INSF_IyEEEESM_EEEEEPS7_SP_SP_NSC_11hip_rocprim7__merge17predicate_wrapperIyyNSC_4lessImEEEEEE10hipError_tPvRmT0_T1_T2_T3_T4_T5_mmT6_P12ihipStream_tbEUlT_E0_NS1_11comp_targetILNS1_3genE9ELNS1_11target_archE1100ELNS1_3gpuE3ELNS1_3repE0EEENS1_30default_config_static_selectorELNS0_4arch9wavefront6targetE0EEEvS10_,@function
_ZN7rocprim17ROCPRIM_400000_NS6detail17trampoline_kernelINS0_14default_configENS1_21merge_config_selectorINS0_5tupleIJyyEEENS0_10empty_typeEEEZNS1_10merge_implIS3_NS0_12zip_iteratorINS5_IJN6thrust23THRUST_200600_302600_NS6detail15normal_iteratorINSC_10device_ptrIKyEEEESI_EEEEESK_NSA_INS5_IJNSE_INSF_IyEEEESM_EEEEEPS7_SP_SP_NSC_11hip_rocprim7__merge17predicate_wrapperIyyNSC_4lessImEEEEEE10hipError_tPvRmT0_T1_T2_T3_T4_T5_mmT6_P12ihipStream_tbEUlT_E0_NS1_11comp_targetILNS1_3genE9ELNS1_11target_archE1100ELNS1_3gpuE3ELNS1_3repE0EEENS1_30default_config_static_selectorELNS0_4arch9wavefront6targetE0EEEvS10_: ; @_ZN7rocprim17ROCPRIM_400000_NS6detail17trampoline_kernelINS0_14default_configENS1_21merge_config_selectorINS0_5tupleIJyyEEENS0_10empty_typeEEEZNS1_10merge_implIS3_NS0_12zip_iteratorINS5_IJN6thrust23THRUST_200600_302600_NS6detail15normal_iteratorINSC_10device_ptrIKyEEEESI_EEEEESK_NSA_INS5_IJNSE_INSF_IyEEEESM_EEEEEPS7_SP_SP_NSC_11hip_rocprim7__merge17predicate_wrapperIyyNSC_4lessImEEEEEE10hipError_tPvRmT0_T1_T2_T3_T4_T5_mmT6_P12ihipStream_tbEUlT_E0_NS1_11comp_targetILNS1_3genE9ELNS1_11target_archE1100ELNS1_3gpuE3ELNS1_3repE0EEENS1_30default_config_static_selectorELNS0_4arch9wavefront6targetE0EEEvS10_
; %bb.0:
	.section	.rodata,"a",@progbits
	.p2align	6, 0x0
	.amdhsa_kernel _ZN7rocprim17ROCPRIM_400000_NS6detail17trampoline_kernelINS0_14default_configENS1_21merge_config_selectorINS0_5tupleIJyyEEENS0_10empty_typeEEEZNS1_10merge_implIS3_NS0_12zip_iteratorINS5_IJN6thrust23THRUST_200600_302600_NS6detail15normal_iteratorINSC_10device_ptrIKyEEEESI_EEEEESK_NSA_INS5_IJNSE_INSF_IyEEEESM_EEEEEPS7_SP_SP_NSC_11hip_rocprim7__merge17predicate_wrapperIyyNSC_4lessImEEEEEE10hipError_tPvRmT0_T1_T2_T3_T4_T5_mmT6_P12ihipStream_tbEUlT_E0_NS1_11comp_targetILNS1_3genE9ELNS1_11target_archE1100ELNS1_3gpuE3ELNS1_3repE0EEENS1_30default_config_static_selectorELNS0_4arch9wavefront6targetE0EEEvS10_
		.amdhsa_group_segment_fixed_size 0
		.amdhsa_private_segment_fixed_size 0
		.amdhsa_kernarg_size 112
		.amdhsa_user_sgpr_count 6
		.amdhsa_user_sgpr_private_segment_buffer 1
		.amdhsa_user_sgpr_dispatch_ptr 0
		.amdhsa_user_sgpr_queue_ptr 0
		.amdhsa_user_sgpr_kernarg_segment_ptr 1
		.amdhsa_user_sgpr_dispatch_id 0
		.amdhsa_user_sgpr_flat_scratch_init 0
		.amdhsa_user_sgpr_private_segment_size 0
		.amdhsa_wavefront_size32 1
		.amdhsa_uses_dynamic_stack 0
		.amdhsa_system_sgpr_private_segment_wavefront_offset 0
		.amdhsa_system_sgpr_workgroup_id_x 1
		.amdhsa_system_sgpr_workgroup_id_y 0
		.amdhsa_system_sgpr_workgroup_id_z 0
		.amdhsa_system_sgpr_workgroup_info 0
		.amdhsa_system_vgpr_workitem_id 0
		.amdhsa_next_free_vgpr 1
		.amdhsa_next_free_sgpr 1
		.amdhsa_reserve_vcc 0
		.amdhsa_reserve_flat_scratch 0
		.amdhsa_float_round_mode_32 0
		.amdhsa_float_round_mode_16_64 0
		.amdhsa_float_denorm_mode_32 3
		.amdhsa_float_denorm_mode_16_64 3
		.amdhsa_dx10_clamp 1
		.amdhsa_ieee_mode 1
		.amdhsa_fp16_overflow 0
		.amdhsa_workgroup_processor_mode 1
		.amdhsa_memory_ordered 1
		.amdhsa_forward_progress 1
		.amdhsa_shared_vgpr_count 0
		.amdhsa_exception_fp_ieee_invalid_op 0
		.amdhsa_exception_fp_denorm_src 0
		.amdhsa_exception_fp_ieee_div_zero 0
		.amdhsa_exception_fp_ieee_overflow 0
		.amdhsa_exception_fp_ieee_underflow 0
		.amdhsa_exception_fp_ieee_inexact 0
		.amdhsa_exception_int_div_zero 0
	.end_amdhsa_kernel
	.section	.text._ZN7rocprim17ROCPRIM_400000_NS6detail17trampoline_kernelINS0_14default_configENS1_21merge_config_selectorINS0_5tupleIJyyEEENS0_10empty_typeEEEZNS1_10merge_implIS3_NS0_12zip_iteratorINS5_IJN6thrust23THRUST_200600_302600_NS6detail15normal_iteratorINSC_10device_ptrIKyEEEESI_EEEEESK_NSA_INS5_IJNSE_INSF_IyEEEESM_EEEEEPS7_SP_SP_NSC_11hip_rocprim7__merge17predicate_wrapperIyyNSC_4lessImEEEEEE10hipError_tPvRmT0_T1_T2_T3_T4_T5_mmT6_P12ihipStream_tbEUlT_E0_NS1_11comp_targetILNS1_3genE9ELNS1_11target_archE1100ELNS1_3gpuE3ELNS1_3repE0EEENS1_30default_config_static_selectorELNS0_4arch9wavefront6targetE0EEEvS10_,"axG",@progbits,_ZN7rocprim17ROCPRIM_400000_NS6detail17trampoline_kernelINS0_14default_configENS1_21merge_config_selectorINS0_5tupleIJyyEEENS0_10empty_typeEEEZNS1_10merge_implIS3_NS0_12zip_iteratorINS5_IJN6thrust23THRUST_200600_302600_NS6detail15normal_iteratorINSC_10device_ptrIKyEEEESI_EEEEESK_NSA_INS5_IJNSE_INSF_IyEEEESM_EEEEEPS7_SP_SP_NSC_11hip_rocprim7__merge17predicate_wrapperIyyNSC_4lessImEEEEEE10hipError_tPvRmT0_T1_T2_T3_T4_T5_mmT6_P12ihipStream_tbEUlT_E0_NS1_11comp_targetILNS1_3genE9ELNS1_11target_archE1100ELNS1_3gpuE3ELNS1_3repE0EEENS1_30default_config_static_selectorELNS0_4arch9wavefront6targetE0EEEvS10_,comdat
.Lfunc_end477:
	.size	_ZN7rocprim17ROCPRIM_400000_NS6detail17trampoline_kernelINS0_14default_configENS1_21merge_config_selectorINS0_5tupleIJyyEEENS0_10empty_typeEEEZNS1_10merge_implIS3_NS0_12zip_iteratorINS5_IJN6thrust23THRUST_200600_302600_NS6detail15normal_iteratorINSC_10device_ptrIKyEEEESI_EEEEESK_NSA_INS5_IJNSE_INSF_IyEEEESM_EEEEEPS7_SP_SP_NSC_11hip_rocprim7__merge17predicate_wrapperIyyNSC_4lessImEEEEEE10hipError_tPvRmT0_T1_T2_T3_T4_T5_mmT6_P12ihipStream_tbEUlT_E0_NS1_11comp_targetILNS1_3genE9ELNS1_11target_archE1100ELNS1_3gpuE3ELNS1_3repE0EEENS1_30default_config_static_selectorELNS0_4arch9wavefront6targetE0EEEvS10_, .Lfunc_end477-_ZN7rocprim17ROCPRIM_400000_NS6detail17trampoline_kernelINS0_14default_configENS1_21merge_config_selectorINS0_5tupleIJyyEEENS0_10empty_typeEEEZNS1_10merge_implIS3_NS0_12zip_iteratorINS5_IJN6thrust23THRUST_200600_302600_NS6detail15normal_iteratorINSC_10device_ptrIKyEEEESI_EEEEESK_NSA_INS5_IJNSE_INSF_IyEEEESM_EEEEEPS7_SP_SP_NSC_11hip_rocprim7__merge17predicate_wrapperIyyNSC_4lessImEEEEEE10hipError_tPvRmT0_T1_T2_T3_T4_T5_mmT6_P12ihipStream_tbEUlT_E0_NS1_11comp_targetILNS1_3genE9ELNS1_11target_archE1100ELNS1_3gpuE3ELNS1_3repE0EEENS1_30default_config_static_selectorELNS0_4arch9wavefront6targetE0EEEvS10_
                                        ; -- End function
	.set _ZN7rocprim17ROCPRIM_400000_NS6detail17trampoline_kernelINS0_14default_configENS1_21merge_config_selectorINS0_5tupleIJyyEEENS0_10empty_typeEEEZNS1_10merge_implIS3_NS0_12zip_iteratorINS5_IJN6thrust23THRUST_200600_302600_NS6detail15normal_iteratorINSC_10device_ptrIKyEEEESI_EEEEESK_NSA_INS5_IJNSE_INSF_IyEEEESM_EEEEEPS7_SP_SP_NSC_11hip_rocprim7__merge17predicate_wrapperIyyNSC_4lessImEEEEEE10hipError_tPvRmT0_T1_T2_T3_T4_T5_mmT6_P12ihipStream_tbEUlT_E0_NS1_11comp_targetILNS1_3genE9ELNS1_11target_archE1100ELNS1_3gpuE3ELNS1_3repE0EEENS1_30default_config_static_selectorELNS0_4arch9wavefront6targetE0EEEvS10_.num_vgpr, 0
	.set _ZN7rocprim17ROCPRIM_400000_NS6detail17trampoline_kernelINS0_14default_configENS1_21merge_config_selectorINS0_5tupleIJyyEEENS0_10empty_typeEEEZNS1_10merge_implIS3_NS0_12zip_iteratorINS5_IJN6thrust23THRUST_200600_302600_NS6detail15normal_iteratorINSC_10device_ptrIKyEEEESI_EEEEESK_NSA_INS5_IJNSE_INSF_IyEEEESM_EEEEEPS7_SP_SP_NSC_11hip_rocprim7__merge17predicate_wrapperIyyNSC_4lessImEEEEEE10hipError_tPvRmT0_T1_T2_T3_T4_T5_mmT6_P12ihipStream_tbEUlT_E0_NS1_11comp_targetILNS1_3genE9ELNS1_11target_archE1100ELNS1_3gpuE3ELNS1_3repE0EEENS1_30default_config_static_selectorELNS0_4arch9wavefront6targetE0EEEvS10_.num_agpr, 0
	.set _ZN7rocprim17ROCPRIM_400000_NS6detail17trampoline_kernelINS0_14default_configENS1_21merge_config_selectorINS0_5tupleIJyyEEENS0_10empty_typeEEEZNS1_10merge_implIS3_NS0_12zip_iteratorINS5_IJN6thrust23THRUST_200600_302600_NS6detail15normal_iteratorINSC_10device_ptrIKyEEEESI_EEEEESK_NSA_INS5_IJNSE_INSF_IyEEEESM_EEEEEPS7_SP_SP_NSC_11hip_rocprim7__merge17predicate_wrapperIyyNSC_4lessImEEEEEE10hipError_tPvRmT0_T1_T2_T3_T4_T5_mmT6_P12ihipStream_tbEUlT_E0_NS1_11comp_targetILNS1_3genE9ELNS1_11target_archE1100ELNS1_3gpuE3ELNS1_3repE0EEENS1_30default_config_static_selectorELNS0_4arch9wavefront6targetE0EEEvS10_.numbered_sgpr, 0
	.set _ZN7rocprim17ROCPRIM_400000_NS6detail17trampoline_kernelINS0_14default_configENS1_21merge_config_selectorINS0_5tupleIJyyEEENS0_10empty_typeEEEZNS1_10merge_implIS3_NS0_12zip_iteratorINS5_IJN6thrust23THRUST_200600_302600_NS6detail15normal_iteratorINSC_10device_ptrIKyEEEESI_EEEEESK_NSA_INS5_IJNSE_INSF_IyEEEESM_EEEEEPS7_SP_SP_NSC_11hip_rocprim7__merge17predicate_wrapperIyyNSC_4lessImEEEEEE10hipError_tPvRmT0_T1_T2_T3_T4_T5_mmT6_P12ihipStream_tbEUlT_E0_NS1_11comp_targetILNS1_3genE9ELNS1_11target_archE1100ELNS1_3gpuE3ELNS1_3repE0EEENS1_30default_config_static_selectorELNS0_4arch9wavefront6targetE0EEEvS10_.num_named_barrier, 0
	.set _ZN7rocprim17ROCPRIM_400000_NS6detail17trampoline_kernelINS0_14default_configENS1_21merge_config_selectorINS0_5tupleIJyyEEENS0_10empty_typeEEEZNS1_10merge_implIS3_NS0_12zip_iteratorINS5_IJN6thrust23THRUST_200600_302600_NS6detail15normal_iteratorINSC_10device_ptrIKyEEEESI_EEEEESK_NSA_INS5_IJNSE_INSF_IyEEEESM_EEEEEPS7_SP_SP_NSC_11hip_rocprim7__merge17predicate_wrapperIyyNSC_4lessImEEEEEE10hipError_tPvRmT0_T1_T2_T3_T4_T5_mmT6_P12ihipStream_tbEUlT_E0_NS1_11comp_targetILNS1_3genE9ELNS1_11target_archE1100ELNS1_3gpuE3ELNS1_3repE0EEENS1_30default_config_static_selectorELNS0_4arch9wavefront6targetE0EEEvS10_.private_seg_size, 0
	.set _ZN7rocprim17ROCPRIM_400000_NS6detail17trampoline_kernelINS0_14default_configENS1_21merge_config_selectorINS0_5tupleIJyyEEENS0_10empty_typeEEEZNS1_10merge_implIS3_NS0_12zip_iteratorINS5_IJN6thrust23THRUST_200600_302600_NS6detail15normal_iteratorINSC_10device_ptrIKyEEEESI_EEEEESK_NSA_INS5_IJNSE_INSF_IyEEEESM_EEEEEPS7_SP_SP_NSC_11hip_rocprim7__merge17predicate_wrapperIyyNSC_4lessImEEEEEE10hipError_tPvRmT0_T1_T2_T3_T4_T5_mmT6_P12ihipStream_tbEUlT_E0_NS1_11comp_targetILNS1_3genE9ELNS1_11target_archE1100ELNS1_3gpuE3ELNS1_3repE0EEENS1_30default_config_static_selectorELNS0_4arch9wavefront6targetE0EEEvS10_.uses_vcc, 0
	.set _ZN7rocprim17ROCPRIM_400000_NS6detail17trampoline_kernelINS0_14default_configENS1_21merge_config_selectorINS0_5tupleIJyyEEENS0_10empty_typeEEEZNS1_10merge_implIS3_NS0_12zip_iteratorINS5_IJN6thrust23THRUST_200600_302600_NS6detail15normal_iteratorINSC_10device_ptrIKyEEEESI_EEEEESK_NSA_INS5_IJNSE_INSF_IyEEEESM_EEEEEPS7_SP_SP_NSC_11hip_rocprim7__merge17predicate_wrapperIyyNSC_4lessImEEEEEE10hipError_tPvRmT0_T1_T2_T3_T4_T5_mmT6_P12ihipStream_tbEUlT_E0_NS1_11comp_targetILNS1_3genE9ELNS1_11target_archE1100ELNS1_3gpuE3ELNS1_3repE0EEENS1_30default_config_static_selectorELNS0_4arch9wavefront6targetE0EEEvS10_.uses_flat_scratch, 0
	.set _ZN7rocprim17ROCPRIM_400000_NS6detail17trampoline_kernelINS0_14default_configENS1_21merge_config_selectorINS0_5tupleIJyyEEENS0_10empty_typeEEEZNS1_10merge_implIS3_NS0_12zip_iteratorINS5_IJN6thrust23THRUST_200600_302600_NS6detail15normal_iteratorINSC_10device_ptrIKyEEEESI_EEEEESK_NSA_INS5_IJNSE_INSF_IyEEEESM_EEEEEPS7_SP_SP_NSC_11hip_rocprim7__merge17predicate_wrapperIyyNSC_4lessImEEEEEE10hipError_tPvRmT0_T1_T2_T3_T4_T5_mmT6_P12ihipStream_tbEUlT_E0_NS1_11comp_targetILNS1_3genE9ELNS1_11target_archE1100ELNS1_3gpuE3ELNS1_3repE0EEENS1_30default_config_static_selectorELNS0_4arch9wavefront6targetE0EEEvS10_.has_dyn_sized_stack, 0
	.set _ZN7rocprim17ROCPRIM_400000_NS6detail17trampoline_kernelINS0_14default_configENS1_21merge_config_selectorINS0_5tupleIJyyEEENS0_10empty_typeEEEZNS1_10merge_implIS3_NS0_12zip_iteratorINS5_IJN6thrust23THRUST_200600_302600_NS6detail15normal_iteratorINSC_10device_ptrIKyEEEESI_EEEEESK_NSA_INS5_IJNSE_INSF_IyEEEESM_EEEEEPS7_SP_SP_NSC_11hip_rocprim7__merge17predicate_wrapperIyyNSC_4lessImEEEEEE10hipError_tPvRmT0_T1_T2_T3_T4_T5_mmT6_P12ihipStream_tbEUlT_E0_NS1_11comp_targetILNS1_3genE9ELNS1_11target_archE1100ELNS1_3gpuE3ELNS1_3repE0EEENS1_30default_config_static_selectorELNS0_4arch9wavefront6targetE0EEEvS10_.has_recursion, 0
	.set _ZN7rocprim17ROCPRIM_400000_NS6detail17trampoline_kernelINS0_14default_configENS1_21merge_config_selectorINS0_5tupleIJyyEEENS0_10empty_typeEEEZNS1_10merge_implIS3_NS0_12zip_iteratorINS5_IJN6thrust23THRUST_200600_302600_NS6detail15normal_iteratorINSC_10device_ptrIKyEEEESI_EEEEESK_NSA_INS5_IJNSE_INSF_IyEEEESM_EEEEEPS7_SP_SP_NSC_11hip_rocprim7__merge17predicate_wrapperIyyNSC_4lessImEEEEEE10hipError_tPvRmT0_T1_T2_T3_T4_T5_mmT6_P12ihipStream_tbEUlT_E0_NS1_11comp_targetILNS1_3genE9ELNS1_11target_archE1100ELNS1_3gpuE3ELNS1_3repE0EEENS1_30default_config_static_selectorELNS0_4arch9wavefront6targetE0EEEvS10_.has_indirect_call, 0
	.section	.AMDGPU.csdata,"",@progbits
; Kernel info:
; codeLenInByte = 0
; TotalNumSgprs: 0
; NumVgprs: 0
; ScratchSize: 0
; MemoryBound: 0
; FloatMode: 240
; IeeeMode: 1
; LDSByteSize: 0 bytes/workgroup (compile time only)
; SGPRBlocks: 0
; VGPRBlocks: 0
; NumSGPRsForWavesPerEU: 1
; NumVGPRsForWavesPerEU: 1
; Occupancy: 16
; WaveLimiterHint : 0
; COMPUTE_PGM_RSRC2:SCRATCH_EN: 0
; COMPUTE_PGM_RSRC2:USER_SGPR: 6
; COMPUTE_PGM_RSRC2:TRAP_HANDLER: 0
; COMPUTE_PGM_RSRC2:TGID_X_EN: 1
; COMPUTE_PGM_RSRC2:TGID_Y_EN: 0
; COMPUTE_PGM_RSRC2:TGID_Z_EN: 0
; COMPUTE_PGM_RSRC2:TIDIG_COMP_CNT: 0
	.section	.text._ZN7rocprim17ROCPRIM_400000_NS6detail17trampoline_kernelINS0_14default_configENS1_21merge_config_selectorINS0_5tupleIJyyEEENS0_10empty_typeEEEZNS1_10merge_implIS3_NS0_12zip_iteratorINS5_IJN6thrust23THRUST_200600_302600_NS6detail15normal_iteratorINSC_10device_ptrIKyEEEESI_EEEEESK_NSA_INS5_IJNSE_INSF_IyEEEESM_EEEEEPS7_SP_SP_NSC_11hip_rocprim7__merge17predicate_wrapperIyyNSC_4lessImEEEEEE10hipError_tPvRmT0_T1_T2_T3_T4_T5_mmT6_P12ihipStream_tbEUlT_E0_NS1_11comp_targetILNS1_3genE8ELNS1_11target_archE1030ELNS1_3gpuE2ELNS1_3repE0EEENS1_30default_config_static_selectorELNS0_4arch9wavefront6targetE0EEEvS10_,"axG",@progbits,_ZN7rocprim17ROCPRIM_400000_NS6detail17trampoline_kernelINS0_14default_configENS1_21merge_config_selectorINS0_5tupleIJyyEEENS0_10empty_typeEEEZNS1_10merge_implIS3_NS0_12zip_iteratorINS5_IJN6thrust23THRUST_200600_302600_NS6detail15normal_iteratorINSC_10device_ptrIKyEEEESI_EEEEESK_NSA_INS5_IJNSE_INSF_IyEEEESM_EEEEEPS7_SP_SP_NSC_11hip_rocprim7__merge17predicate_wrapperIyyNSC_4lessImEEEEEE10hipError_tPvRmT0_T1_T2_T3_T4_T5_mmT6_P12ihipStream_tbEUlT_E0_NS1_11comp_targetILNS1_3genE8ELNS1_11target_archE1030ELNS1_3gpuE2ELNS1_3repE0EEENS1_30default_config_static_selectorELNS0_4arch9wavefront6targetE0EEEvS10_,comdat
	.protected	_ZN7rocprim17ROCPRIM_400000_NS6detail17trampoline_kernelINS0_14default_configENS1_21merge_config_selectorINS0_5tupleIJyyEEENS0_10empty_typeEEEZNS1_10merge_implIS3_NS0_12zip_iteratorINS5_IJN6thrust23THRUST_200600_302600_NS6detail15normal_iteratorINSC_10device_ptrIKyEEEESI_EEEEESK_NSA_INS5_IJNSE_INSF_IyEEEESM_EEEEEPS7_SP_SP_NSC_11hip_rocprim7__merge17predicate_wrapperIyyNSC_4lessImEEEEEE10hipError_tPvRmT0_T1_T2_T3_T4_T5_mmT6_P12ihipStream_tbEUlT_E0_NS1_11comp_targetILNS1_3genE8ELNS1_11target_archE1030ELNS1_3gpuE2ELNS1_3repE0EEENS1_30default_config_static_selectorELNS0_4arch9wavefront6targetE0EEEvS10_ ; -- Begin function _ZN7rocprim17ROCPRIM_400000_NS6detail17trampoline_kernelINS0_14default_configENS1_21merge_config_selectorINS0_5tupleIJyyEEENS0_10empty_typeEEEZNS1_10merge_implIS3_NS0_12zip_iteratorINS5_IJN6thrust23THRUST_200600_302600_NS6detail15normal_iteratorINSC_10device_ptrIKyEEEESI_EEEEESK_NSA_INS5_IJNSE_INSF_IyEEEESM_EEEEEPS7_SP_SP_NSC_11hip_rocprim7__merge17predicate_wrapperIyyNSC_4lessImEEEEEE10hipError_tPvRmT0_T1_T2_T3_T4_T5_mmT6_P12ihipStream_tbEUlT_E0_NS1_11comp_targetILNS1_3genE8ELNS1_11target_archE1030ELNS1_3gpuE2ELNS1_3repE0EEENS1_30default_config_static_selectorELNS0_4arch9wavefront6targetE0EEEvS10_
	.globl	_ZN7rocprim17ROCPRIM_400000_NS6detail17trampoline_kernelINS0_14default_configENS1_21merge_config_selectorINS0_5tupleIJyyEEENS0_10empty_typeEEEZNS1_10merge_implIS3_NS0_12zip_iteratorINS5_IJN6thrust23THRUST_200600_302600_NS6detail15normal_iteratorINSC_10device_ptrIKyEEEESI_EEEEESK_NSA_INS5_IJNSE_INSF_IyEEEESM_EEEEEPS7_SP_SP_NSC_11hip_rocprim7__merge17predicate_wrapperIyyNSC_4lessImEEEEEE10hipError_tPvRmT0_T1_T2_T3_T4_T5_mmT6_P12ihipStream_tbEUlT_E0_NS1_11comp_targetILNS1_3genE8ELNS1_11target_archE1030ELNS1_3gpuE2ELNS1_3repE0EEENS1_30default_config_static_selectorELNS0_4arch9wavefront6targetE0EEEvS10_
	.p2align	8
	.type	_ZN7rocprim17ROCPRIM_400000_NS6detail17trampoline_kernelINS0_14default_configENS1_21merge_config_selectorINS0_5tupleIJyyEEENS0_10empty_typeEEEZNS1_10merge_implIS3_NS0_12zip_iteratorINS5_IJN6thrust23THRUST_200600_302600_NS6detail15normal_iteratorINSC_10device_ptrIKyEEEESI_EEEEESK_NSA_INS5_IJNSE_INSF_IyEEEESM_EEEEEPS7_SP_SP_NSC_11hip_rocprim7__merge17predicate_wrapperIyyNSC_4lessImEEEEEE10hipError_tPvRmT0_T1_T2_T3_T4_T5_mmT6_P12ihipStream_tbEUlT_E0_NS1_11comp_targetILNS1_3genE8ELNS1_11target_archE1030ELNS1_3gpuE2ELNS1_3repE0EEENS1_30default_config_static_selectorELNS0_4arch9wavefront6targetE0EEEvS10_,@function
_ZN7rocprim17ROCPRIM_400000_NS6detail17trampoline_kernelINS0_14default_configENS1_21merge_config_selectorINS0_5tupleIJyyEEENS0_10empty_typeEEEZNS1_10merge_implIS3_NS0_12zip_iteratorINS5_IJN6thrust23THRUST_200600_302600_NS6detail15normal_iteratorINSC_10device_ptrIKyEEEESI_EEEEESK_NSA_INS5_IJNSE_INSF_IyEEEESM_EEEEEPS7_SP_SP_NSC_11hip_rocprim7__merge17predicate_wrapperIyyNSC_4lessImEEEEEE10hipError_tPvRmT0_T1_T2_T3_T4_T5_mmT6_P12ihipStream_tbEUlT_E0_NS1_11comp_targetILNS1_3genE8ELNS1_11target_archE1030ELNS1_3gpuE2ELNS1_3repE0EEENS1_30default_config_static_selectorELNS0_4arch9wavefront6targetE0EEEvS10_: ; @_ZN7rocprim17ROCPRIM_400000_NS6detail17trampoline_kernelINS0_14default_configENS1_21merge_config_selectorINS0_5tupleIJyyEEENS0_10empty_typeEEEZNS1_10merge_implIS3_NS0_12zip_iteratorINS5_IJN6thrust23THRUST_200600_302600_NS6detail15normal_iteratorINSC_10device_ptrIKyEEEESI_EEEEESK_NSA_INS5_IJNSE_INSF_IyEEEESM_EEEEEPS7_SP_SP_NSC_11hip_rocprim7__merge17predicate_wrapperIyyNSC_4lessImEEEEEE10hipError_tPvRmT0_T1_T2_T3_T4_T5_mmT6_P12ihipStream_tbEUlT_E0_NS1_11comp_targetILNS1_3genE8ELNS1_11target_archE1030ELNS1_3gpuE2ELNS1_3repE0EEENS1_30default_config_static_selectorELNS0_4arch9wavefront6targetE0EEEvS10_
; %bb.0:
	s_clause 0x2
	s_load_dwordx4 s[0:3], s[4:5], 0x58
	s_load_dwordx8 s[8:15], s[4:5], 0x8
	s_load_dwordx4 s[16:19], s[4:5], 0x28
	s_mov_b32 s23, 0
	v_mov_b32_e32 v1, 0
	s_mov_b32 s25, s23
	s_waitcnt lgkmcnt(0)
	s_add_i32 s20, s2, s0
	s_add_i32 s0, s20, 0x7ff
	s_lshr_b32 s0, s0, 11
	s_min_u32 s1, s6, s0
	s_lshl_b32 s1, s1, 2
	s_load_dword s22, s[8:9], s1 offset:0x0
	s_add_i32 s1, s6, 1
	s_min_u32 s0, s1, s0
	s_lshl_b32 s0, s0, 2
	s_load_dword s9, s[8:9], s0 offset:0x0
	s_lshl_b32 s8, s6, 11
	s_add_i32 s0, s8, 0x800
	s_min_u32 s21, s20, s0
	s_waitcnt lgkmcnt(0)
	s_lshl_b64 s[2:3], s[22:23], 3
	s_sub_i32 s24, s8, s22
	s_add_u32 s0, s10, s2
	s_addc_u32 s1, s11, s3
	s_add_u32 s2, s12, s2
	s_addc_u32 s3, s13, s3
	s_lshl_b64 s[10:11], s[24:25], 3
	s_add_u32 s6, s14, s10
	s_addc_u32 s7, s15, s11
	s_add_u32 s10, s16, s10
	s_addc_u32 s11, s17, s11
	s_add_i32 s12, s24, s9
	s_sub_i32 s9, s9, s22
	s_sub_i32 s14, s21, s12
	s_mov_b32 s15, exec_lo
	s_add_u32 s12, s14, s9
	s_addc_u32 s13, 0, 0
	v_cmpx_le_u32_e64 s9, v0
	s_xor_b32 s15, exec_lo, s15
	s_cbranch_execz .LBB478_4
; %bb.1:
	s_mov_b32 s16, exec_lo
	v_cmpx_gt_u64_e64 s[12:13], v[0:1]
	s_cbranch_execz .LBB478_3
; %bb.2:
	v_subrev_nc_u32_e32 v1, s9, v0
	v_lshlrev_b32_e32 v5, 4, v0
	v_lshlrev_b32_e32 v3, 3, v1
	s_clause 0x1
	global_load_dwordx2 v[1:2], v3, s[6:7]
	global_load_dwordx2 v[3:4], v3, s[10:11]
	s_waitcnt vmcnt(0)
	ds_write_b128 v5, v[1:4]
.LBB478_3:
	s_or_b32 exec_lo, exec_lo, s16
.LBB478_4:
	s_or_saveexec_b32 s15, s15
	v_lshlrev_b32_e32 v41, 3, v0
	v_lshlrev_b32_e32 v42, 4, v0
	s_xor_b32 exec_lo, exec_lo, s15
	s_cbranch_execz .LBB478_6
; %bb.5:
	s_clause 0x1
	global_load_dwordx2 v[1:2], v41, s[0:1]
	global_load_dwordx2 v[3:4], v41, s[2:3]
	s_waitcnt vmcnt(0)
	ds_write_b128 v42, v[1:4]
.LBB478_6:
	s_or_b32 exec_lo, exec_lo, s15
	v_or_b32_e32 v33, 0x100, v0
	v_mov_b32_e32 v34, 0
	s_mov_b32 s15, exec_lo
	v_cmpx_le_u32_e64 s9, v33
	s_xor_b32 s15, exec_lo, s15
	s_cbranch_execz .LBB478_10
; %bb.7:
	s_mov_b32 s16, exec_lo
	v_cmpx_gt_u64_e64 s[12:13], v[33:34]
	s_cbranch_execz .LBB478_9
; %bb.8:
	v_subrev_nc_u32_e32 v1, s9, v33
	v_lshlrev_b32_e32 v3, 3, v1
	s_clause 0x1
	global_load_dwordx2 v[1:2], v3, s[6:7]
	global_load_dwordx2 v[3:4], v3, s[10:11]
	s_waitcnt vmcnt(0)
	ds_write_b128 v42, v[1:4] offset:4096
.LBB478_9:
	s_or_b32 exec_lo, exec_lo, s16
.LBB478_10:
	s_andn2_saveexec_b32 s15, s15
	s_cbranch_execz .LBB478_12
; %bb.11:
	v_lshlrev_b32_e32 v3, 3, v33
	s_clause 0x1
	global_load_dwordx2 v[1:2], v3, s[0:1]
	global_load_dwordx2 v[3:4], v3, s[2:3]
	s_waitcnt vmcnt(0)
	ds_write_b128 v42, v[1:4] offset:4096
.LBB478_12:
	s_or_b32 exec_lo, exec_lo, s15
	v_or_b32_e32 v34, 0x200, v0
	v_mov_b32_e32 v35, 0
	s_mov_b32 s15, exec_lo
	v_cmpx_le_u32_e64 s9, v34
	s_xor_b32 s15, exec_lo, s15
	s_cbranch_execz .LBB478_16
; %bb.13:
	s_mov_b32 s16, exec_lo
	v_cmpx_gt_u64_e64 s[12:13], v[34:35]
	s_cbranch_execz .LBB478_15
; %bb.14:
	v_subrev_nc_u32_e32 v1, s9, v34
	v_lshlrev_b32_e32 v3, 3, v1
	s_clause 0x1
	global_load_dwordx2 v[1:2], v3, s[6:7]
	global_load_dwordx2 v[3:4], v3, s[10:11]
	s_waitcnt vmcnt(0)
	ds_write_b128 v42, v[1:4] offset:8192
.LBB478_15:
	s_or_b32 exec_lo, exec_lo, s16
.LBB478_16:
	s_andn2_saveexec_b32 s15, s15
	s_cbranch_execz .LBB478_18
; %bb.17:
	v_lshlrev_b32_e32 v3, 3, v34
	s_clause 0x1
	global_load_dwordx2 v[1:2], v3, s[0:1]
	global_load_dwordx2 v[3:4], v3, s[2:3]
	s_waitcnt vmcnt(0)
	ds_write_b128 v42, v[1:4] offset:8192
.LBB478_18:
	;; [unrolled: 32-line block ×6, first 2 shown]
	s_or_b32 exec_lo, exec_lo, s15
	v_or_b32_e32 v39, 0x700, v0
	v_mov_b32_e32 v40, 0
	s_mov_b32 s15, exec_lo
	v_cmpx_le_u32_e64 s9, v39
	s_xor_b32 s15, exec_lo, s15
	s_cbranch_execz .LBB478_46
; %bb.43:
	v_cmp_gt_u64_e32 vcc_lo, s[12:13], v[39:40]
	s_and_saveexec_b32 s12, vcc_lo
	s_cbranch_execz .LBB478_45
; %bb.44:
	v_subrev_nc_u32_e32 v1, s9, v39
	v_lshlrev_b32_e32 v3, 3, v1
	s_clause 0x1
	global_load_dwordx2 v[1:2], v3, s[6:7]
	global_load_dwordx2 v[3:4], v3, s[10:11]
	s_waitcnt vmcnt(0)
	ds_write_b128 v42, v[1:4] offset:28672
.LBB478_45:
	s_or_b32 exec_lo, exec_lo, s12
.LBB478_46:
	s_or_saveexec_b32 s6, s15
	s_load_dwordx2 s[10:11], s[4:5], 0x38
	s_xor_b32 exec_lo, exec_lo, s6
	s_cbranch_execz .LBB478_48
; %bb.47:
	v_lshlrev_b32_e32 v3, 3, v39
	s_clause 0x1
	global_load_dwordx2 v[1:2], v3, s[0:1]
	global_load_dwordx2 v[3:4], v3, s[2:3]
	s_waitcnt vmcnt(0)
	ds_write_b128 v42, v[1:4] offset:28672
.LBB478_48:
	s_or_b32 exec_lo, exec_lo, s6
	v_sub_nc_u32_e64 v40, v41, s14 clamp
	v_min_u32_e32 v1, s9, v41
	s_mov_b32 s0, exec_lo
	s_waitcnt lgkmcnt(0)
	s_barrier
	buffer_gl0_inv
	v_cmpx_lt_u32_e64 v40, v1
	s_cbranch_execz .LBB478_52
; %bb.49:
	v_lshlrev_b32_e32 v2, 4, v41
	s_mov_b32 s1, 0
	v_lshl_add_u32 v2, s9, 4, v2
	.p2align	6
.LBB478_50:                             ; =>This Inner Loop Header: Depth=1
	v_add_nc_u32_e32 v3, v1, v40
	v_lshrrev_b32_e32 v7, 1, v3
	v_not_b32_e32 v3, v7
	v_lshlrev_b32_e32 v4, 4, v7
	v_lshl_add_u32 v5, v3, 4, v2
	ds_read_b64 v[3:4], v4
	ds_read_b64 v[5:6], v5
	s_waitcnt lgkmcnt(0)
	v_cmp_lt_u64_e32 vcc_lo, v[5:6], v[3:4]
	v_add_nc_u32_e32 v3, 1, v7
	v_cndmask_b32_e32 v1, v1, v7, vcc_lo
	v_cndmask_b32_e32 v40, v3, v40, vcc_lo
	v_cmp_ge_u32_e32 vcc_lo, v40, v1
	s_or_b32 s1, vcc_lo, s1
	s_andn2_b32 exec_lo, exec_lo, s1
	s_cbranch_execnz .LBB478_50
; %bb.51:
	s_or_b32 exec_lo, exec_lo, s1
.LBB478_52:
	s_or_b32 exec_lo, exec_lo, s0
	v_add_nc_u32_e32 v1, s9, v41
	s_add_i32 s14, s14, s9
	v_cmp_ge_u32_e32 vcc_lo, s9, v40
	v_mov_b32_e32 v11, 0
	v_mov_b32_e32 v3, 0
	v_sub_nc_u32_e32 v43, v1, v40
	v_mov_b32_e32 v7, 0
	v_mov_b32_e32 v23, 0
	;; [unrolled: 1-line block ×4, first 2 shown]
	v_cmp_ge_u32_e64 s0, s14, v43
	v_mov_b32_e32 v19, 0
	v_mov_b32_e32 v31, 0
	;; [unrolled: 1-line block ×26, first 2 shown]
	s_or_b32 s0, vcc_lo, s0
	s_and_saveexec_b32 s7, s0
	s_cbranch_execz .LBB478_58
; %bb.53:
	v_mov_b32_e32 v7, 0
	v_mov_b32_e32 v3, 0
	v_mov_b32_e32 v1, 0
	v_mov_b32_e32 v8, 0
	v_mov_b32_e32 v4, 0
	v_mov_b32_e32 v2, 0
	v_cmp_gt_u32_e32 vcc_lo, s9, v40
	s_and_saveexec_b32 s0, vcc_lo
; %bb.54:
	v_lshlrev_b32_e32 v1, 4, v40
	ds_read_b128 v[1:4], v1
; %bb.55:
	s_or_b32 exec_lo, exec_lo, s0
	v_mov_b32_e32 v5, 0
	v_cmp_le_u32_e64 s0, s14, v43
	v_mov_b32_e32 v6, 0
	s_mov_b32 s2, exec_lo
	v_cmpx_gt_u32_e64 s14, v43
; %bb.56:
	v_lshlrev_b32_e32 v5, 4, v43
	ds_read_b128 v[5:8], v5
; %bb.57:
	s_or_b32 exec_lo, exec_lo, s2
	s_waitcnt lgkmcnt(0)
	v_cmp_ge_u64_e64 s1, v[5:6], v[1:2]
	v_mov_b32_e32 v61, s9
	s_and_b32 s1, vcc_lo, s1
	s_or_b32 vcc_lo, s0, s1
	v_cndmask_b32_e32 v9, v43, v40, vcc_lo
	v_cndmask_b32_e32 v10, s14, v61, vcc_lo
	v_add_nc_u32_e32 v9, 1, v9
	v_add_nc_u32_e32 v10, -1, v10
	v_min_u32_e32 v10, v9, v10
	v_lshlrev_b32_e32 v10, 4, v10
	ds_read_b128 v[11:14], v10
	v_cndmask_b32_e32 v10, v40, v9, vcc_lo
	v_cndmask_b32_e32 v9, v9, v43, vcc_lo
	v_cmp_gt_u32_e64 s1, s9, v10
	v_cmp_le_u32_e64 s2, s14, v9
	s_waitcnt lgkmcnt(0)
	v_cndmask_b32_e32 v32, v12, v6, vcc_lo
	v_cndmask_b32_e32 v31, v11, v5, vcc_lo
	;; [unrolled: 1-line block ×4, first 2 shown]
	v_cmp_ge_u64_e64 s0, v[31:32], v[47:48]
	s_and_b32 s0, s1, s0
	s_or_b32 s0, s2, s0
	v_cndmask_b32_e64 v11, v9, v10, s0
	v_cndmask_b32_e64 v12, s14, v61, s0
	v_add_nc_u32_e32 v11, 1, v11
	v_add_nc_u32_e32 v12, -1, v12
	v_cndmask_b32_e64 v10, v10, v11, s0
	v_min_u32_e32 v12, v11, v12
	v_cndmask_b32_e64 v9, v11, v9, s0
	v_cmp_gt_u32_e64 s2, s9, v10
	v_lshlrev_b32_e32 v12, 4, v12
	v_cmp_le_u32_e64 s3, s14, v9
	ds_read_b128 v[15:18], v12
	s_waitcnt lgkmcnt(0)
	v_cndmask_b32_e64 v50, v16, v32, s0
	v_cndmask_b32_e64 v49, v15, v31, s0
	v_cndmask_b32_e64 v16, v48, v16, s0
	v_cndmask_b32_e64 v15, v47, v15, s0
	v_cmp_ge_u64_e64 s1, v[49:50], v[15:16]
	s_and_b32 s1, s2, s1
	s_or_b32 s1, s3, s1
	v_cndmask_b32_e64 v11, v9, v10, s1
	v_cndmask_b32_e64 v12, s14, v61, s1
	v_add_nc_u32_e32 v11, 1, v11
	v_add_nc_u32_e32 v12, -1, v12
	v_cndmask_b32_e64 v10, v10, v11, s1
	v_min_u32_e32 v12, v11, v12
	v_cndmask_b32_e64 v9, v11, v9, s1
	v_cmp_gt_u32_e64 s3, s9, v10
	v_lshlrev_b32_e32 v12, 4, v12
	v_cmp_le_u32_e64 s4, s14, v9
	ds_read_b128 v[19:22], v12
	s_waitcnt lgkmcnt(0)
	v_cndmask_b32_e64 v52, v20, v50, s1
	v_cndmask_b32_e64 v51, v19, v49, s1
	v_cndmask_b32_e64 v20, v16, v20, s1
	v_cndmask_b32_e64 v19, v15, v19, s1
	;; [unrolled: 19-line block ×3, first 2 shown]
	v_cmp_ge_u64_e64 s3, v[53:54], v[55:56]
	s_and_b32 s3, s4, s3
	s_or_b32 s3, s5, s3
	v_cndmask_b32_e64 v11, v9, v10, s3
	v_cndmask_b32_e64 v12, s14, v61, s3
	v_add_nc_u32_e32 v11, 1, v11
	v_add_nc_u32_e32 v12, -1, v12
	v_cndmask_b32_e64 v23, v10, v11, s3
	v_min_u32_e32 v12, v11, v12
	v_cndmask_b32_e64 v24, v11, v9, s3
	v_cndmask_b32_e32 v11, v7, v3, vcc_lo
	v_cmp_gt_u32_e64 s5, s9, v23
	v_lshlrev_b32_e32 v12, 4, v12
	v_cmp_le_u32_e64 s6, s14, v24
	ds_read_b128 v[27:30], v12
	v_cndmask_b32_e32 v12, v8, v4, vcc_lo
	s_waitcnt lgkmcnt(0)
	v_cndmask_b32_e64 v58, v28, v54, s3
	v_cndmask_b32_e64 v57, v27, v53, s3
	;; [unrolled: 1-line block ×4, first 2 shown]
	v_cmp_ge_u64_e64 s4, v[57:58], v[59:60]
	s_and_b32 s4, s5, s4
	s_or_b32 s4, s6, s4
	v_cndmask_b32_e64 v9, v24, v23, s4
	v_cndmask_b32_e64 v10, s14, v61, s4
	v_add_nc_u32_e32 v27, 1, v9
	v_add_nc_u32_e32 v9, -1, v10
	v_cndmask_b32_e32 v10, v6, v2, vcc_lo
	v_cndmask_b32_e64 v2, v32, v48, s0
	v_cndmask_b32_e32 v6, v14, v8, vcc_lo
	v_cndmask_b32_e64 v40, v23, v27, s4
	v_min_u32_e32 v9, v27, v9
	v_cndmask_b32_e64 v62, v27, v24, s4
	v_cndmask_b32_e32 v8, v4, v14, vcc_lo
	v_cndmask_b32_e64 v14, v18, v6, s0
	v_cmp_gt_u32_e64 s5, s9, v40
	v_lshlrev_b32_e32 v9, 4, v9
	v_cmp_le_u32_e64 s6, s14, v62
	v_cndmask_b32_e64 v4, v6, v8, s0
	v_cndmask_b32_e64 v18, v8, v18, s0
	;; [unrolled: 1-line block ×3, first 2 shown]
	ds_read_b128 v[43:46], v9
	v_cndmask_b32_e32 v9, v5, v1, vcc_lo
	v_cndmask_b32_e64 v1, v31, v47, s0
	v_cndmask_b32_e32 v5, v13, v7, vcc_lo
	v_cndmask_b32_e32 v7, v3, v13, vcc_lo
	v_cndmask_b32_e64 v8, v14, v18, s1
	v_cndmask_b32_e64 v14, v22, v14, s1
	;; [unrolled: 1-line block ×14, first 2 shown]
	s_waitcnt lgkmcnt(0)
	v_cndmask_b32_e64 v32, v44, v58, s4
	v_cndmask_b32_e64 v31, v43, v57, s4
	;; [unrolled: 1-line block ×6, first 2 shown]
	v_cmp_ge_u64_e32 vcc_lo, v[31:32], v[43:44]
	s_and_b32 s5, s5, vcc_lo
	s_or_b32 vcc_lo, s6, s5
	v_cndmask_b32_e32 v7, v62, v40, vcc_lo
	v_cndmask_b32_e32 v23, s14, v61, vcc_lo
	v_add_nc_u32_e32 v61, 1, v7
	v_add_nc_u32_e32 v15, -1, v23
	v_cndmask_b32_e64 v7, v13, v17, s1
	v_cndmask_b32_e64 v13, v21, v13, s1
	;; [unrolled: 1-line block ×4, first 2 shown]
	v_min_u32_e32 v15, v61, v15
	v_cndmask_b32_e64 v19, v16, v30, s3
	v_cndmask_b32_e32 v40, v40, v61, vcc_lo
	v_cndmask_b32_e64 v23, v13, v17, s2
	v_cndmask_b32_e64 v13, v25, v13, s2
	v_lshlrev_b32_e32 v15, 4, v15
	v_cndmask_b32_e64 v16, v18, v19, s4
	v_cndmask_b32_e32 v18, v32, v44, vcc_lo
	v_cndmask_b32_e64 v46, v19, v46, s4
	v_cmp_gt_u32_e64 s1, s9, v40
	ds_read_b128 v[47:50], v15
	v_cndmask_b32_e64 v15, v17, v25, s2
	v_cndmask_b32_e64 v17, v29, v13, s3
	;; [unrolled: 1-line block ×8, first 2 shown]
	v_cndmask_b32_e32 v17, v31, v43, vcc_lo
	v_cndmask_b32_e64 v45, v20, v45, s4
	v_cndmask_b32_e32 v20, v52, v46, vcc_lo
	v_cndmask_b32_e32 v19, v51, v45, vcc_lo
	s_waitcnt lgkmcnt(0)
	v_cndmask_b32_e32 v30, v48, v32, vcc_lo
	v_cndmask_b32_e32 v29, v47, v31, vcc_lo
	;; [unrolled: 1-line block ×8, first 2 shown]
	v_cmp_ge_u64_e64 s0, v[29:30], v[31:32]
	v_cmp_le_u32_e64 s2, s14, v43
	v_cndmask_b32_e32 v43, v50, v52, vcc_lo
	s_and_b32 s0, s1, s0
	s_or_b32 vcc_lo, s2, s0
	v_cndmask_b32_e32 v30, v30, v32, vcc_lo
	v_cndmask_b32_e32 v29, v29, v31, vcc_lo
	;; [unrolled: 1-line block ×4, first 2 shown]
.LBB478_58:
	s_or_b32 exec_lo, exec_lo, s7
	v_lshlrev_b32_e32 v40, 2, v0
	s_mov_b32 s9, 0
	s_sub_i32 s4, s20, s8
	s_lshl_b64 s[2:3], s[8:9], 3
	v_and_b32_e32 v40, 0x3f0, v40
	s_add_u32 s0, s18, s2
	s_barrier
	buffer_gl0_inv
	s_addc_u32 s1, s19, s3
	v_lshl_add_u32 v40, v41, 4, v40
	s_add_u32 s2, s10, s2
	s_addc_u32 s3, s11, s3
	s_cmpk_gt_u32 s4, 0x7ff
	ds_write_b128 v40, v[9:12]
	ds_write_b128 v40, v[1:4] offset:16
	ds_write_b128 v40, v[5:8] offset:32
	;; [unrolled: 1-line block ×4, first 2 shown]
	v_lshrrev_b32_e32 v11, 1, v33
	v_lshrrev_b32_e32 v10, 1, v34
	;; [unrolled: 1-line block ×7, first 2 shown]
	ds_write_b128 v40, v[13:16] offset:80
	ds_write_b128 v40, v[17:20] offset:96
	;; [unrolled: 1-line block ×3, first 2 shown]
	s_waitcnt lgkmcnt(0)
	s_cbranch_scc0 .LBB478_60
; %bb.59:
	v_lshrrev_b32_e32 v1, 1, v0
	s_barrier
	buffer_gl0_inv
	v_and_b32_e32 v2, 0xf0, v11
	v_and_b32_e32 v3, 0x1f0, v10
	;; [unrolled: 1-line block ×7, first 2 shown]
	v_add_nc_u32_e32 v1, v1, v42
	v_and_b32_e32 v19, 0x3f0, v5
	v_add_co_u32 v32, s5, s0, v41
	v_add_nc_u32_e32 v43, v17, v42
	ds_read_b128 v[12:15], v1
	v_add_nc_u32_e32 v1, v2, v42
	v_add_nc_u32_e32 v2, v3, v42
	;; [unrolled: 1-line block ×6, first 2 shown]
	ds_read_b128 v[16:19], v2 offset:8192
	ds_read_b128 v[20:23], v3 offset:12288
	;; [unrolled: 1-line block ×7, first 2 shown]
	v_add_co_ci_u32_e64 v40, null, s1, 0, s5
	v_add_co_u32 v53, s5, s2, v41
	v_add_co_ci_u32_e64 v54, null, s3, 0, s5
	s_mov_b32 s9, -1
	s_waitcnt lgkmcnt(7)
	global_store_dwordx2 v41, v[12:13], s[0:1]
	global_store_dwordx2 v41, v[14:15], s[2:3]
	v_add_co_u32 v12, vcc_lo, v32, 0x1000
	v_add_co_ci_u32_e64 v13, null, 0, v40, vcc_lo
	v_add_co_u32 v14, vcc_lo, v53, 0x1000
	v_add_co_ci_u32_e64 v15, null, 0, v54, vcc_lo
	;; [unrolled: 2-line block ×3, first 2 shown]
	s_waitcnt lgkmcnt(4)
	global_store_dwordx2 v[12:13], v[24:25], off offset:-2048
	global_store_dwordx2 v[14:15], v[26:27], off offset:-2048
	global_store_dwordx2 v[12:13], v[16:17], off
	global_store_dwordx2 v[14:15], v[18:19], off
	global_store_dwordx2 v[51:52], v[20:21], off offset:-2048
	v_add_co_u32 v12, vcc_lo, v53, 0x2000
	v_add_co_ci_u32_e64 v13, null, 0, v54, vcc_lo
	v_add_co_u32 v14, vcc_lo, v32, 0x3000
	v_add_co_ci_u32_e64 v15, null, 0, v40, vcc_lo
	;; [unrolled: 2-line block ×3, first 2 shown]
	global_store_dwordx2 v[12:13], v[22:23], off offset:-2048
	s_waitcnt lgkmcnt(3)
	global_store_dwordx2 v[51:52], v[28:29], off
	global_store_dwordx2 v[12:13], v[30:31], off
	s_waitcnt lgkmcnt(2)
	global_store_dwordx2 v[14:15], v[43:44], off offset:-2048
	global_store_dwordx2 v[16:17], v[45:46], off offset:-2048
	s_waitcnt lgkmcnt(1)
	global_store_dwordx2 v[14:15], v[47:48], off
	global_store_dwordx2 v[16:17], v[49:50], off
	s_cbranch_execz .LBB478_61
	s_branch .LBB478_70
.LBB478_60:
                                        ; implicit-def: $vgpr3_vgpr4
.LBB478_61:
	s_waitcnt lgkmcnt(0)
	v_and_b32_e32 v1, 0xf0, v11
	v_and_b32_e32 v2, 0x1f0, v10
	;; [unrolled: 1-line block ×5, first 2 shown]
	v_add_nc_u32_e32 v1, v1, v42
	v_add_nc_u32_e32 v2, v2, v42
	s_barrier
	s_waitcnt_vscnt null, 0x0
	buffer_gl0_inv
	v_add_nc_u32_e32 v3, v3, v42
	ds_read_b128 v[25:28], v1 offset:4096
	ds_read_b128 v[21:24], v2 offset:8192
	v_and_b32_e32 v1, 0x3f0, v6
	v_and_b32_e32 v2, 0x3f0, v5
	v_add_nc_u32_e32 v4, v4, v42
	v_add_nc_u32_e32 v5, v7, v42
	v_add_co_u32 v31, s5, s0, v41
	v_add_nc_u32_e32 v1, v1, v42
	v_add_nc_u32_e32 v2, v2, v42
	ds_read_b128 v[17:20], v3 offset:12288
	ds_read_b128 v[13:16], v4 offset:16384
	;; [unrolled: 1-line block ×5, first 2 shown]
	v_add_co_ci_u32_e64 v32, null, s1, 0, s5
	v_add_co_u32 v29, s5, s2, v41
	v_add_co_ci_u32_e64 v30, null, s3, 0, s5
	s_mov_b32 s5, exec_lo
	v_cmpx_gt_u32_e64 s4, v0
	s_cbranch_execnz .LBB478_73
; %bb.62:
	s_or_b32 exec_lo, exec_lo, s5
	s_mov_b32 s5, exec_lo
	v_cmpx_gt_u32_e64 s4, v33
	s_cbranch_execnz .LBB478_74
.LBB478_63:
	s_or_b32 exec_lo, exec_lo, s5
	s_mov_b32 s5, exec_lo
	v_cmpx_gt_u32_e64 s4, v34
	s_cbranch_execnz .LBB478_75
.LBB478_64:
	s_or_b32 exec_lo, exec_lo, s5
	s_mov_b32 s5, exec_lo
	v_cmpx_gt_u32_e64 s4, v35
	s_cbranch_execnz .LBB478_76
.LBB478_65:
	s_or_b32 exec_lo, exec_lo, s5
	s_mov_b32 s5, exec_lo
	v_cmpx_gt_u32_e64 s4, v36
	s_cbranch_execnz .LBB478_77
.LBB478_66:
	s_or_b32 exec_lo, exec_lo, s5
	s_mov_b32 s5, exec_lo
	v_cmpx_gt_u32_e64 s4, v37
	s_cbranch_execnz .LBB478_78
.LBB478_67:
	s_or_b32 exec_lo, exec_lo, s5
	s_mov_b32 s5, exec_lo
	v_cmpx_gt_u32_e64 s4, v38
	s_cbranch_execz .LBB478_69
.LBB478_68:
	s_waitcnt lgkmcnt(2)
	v_add_co_u32 v9, vcc_lo, 0x3000, v31
	v_add_co_ci_u32_e64 v10, null, 0, v32, vcc_lo
	v_add_co_u32 v11, vcc_lo, 0x3000, v29
	v_add_co_ci_u32_e64 v12, null, 0, v30, vcc_lo
	s_waitcnt lgkmcnt(1)
	global_store_dwordx2 v[9:10], v[5:6], off
	global_store_dwordx2 v[11:12], v[7:8], off
.LBB478_69:
	s_or_b32 exec_lo, exec_lo, s5
	v_cmp_gt_u32_e64 s9, s4, v39
.LBB478_70:
	s_and_saveexec_b32 s4, s9
	s_cbranch_execnz .LBB478_72
; %bb.71:
	s_endpgm
.LBB478_72:
	v_add_co_u32 v0, s0, s0, v41
	s_waitcnt lgkmcnt(1)
	v_add_co_ci_u32_e64 v6, null, s1, 0, s0
	v_add_co_u32 v7, s0, s2, v41
	v_add_co_ci_u32_e64 v8, null, s3, 0, s0
	v_add_co_u32 v5, vcc_lo, 0x3800, v0
	v_add_co_ci_u32_e64 v6, null, 0, v6, vcc_lo
	v_add_co_u32 v7, vcc_lo, 0x3800, v7
	v_add_co_ci_u32_e64 v8, null, 0, v8, vcc_lo
	s_waitcnt lgkmcnt(0)
	global_store_dwordx2 v[5:6], v[1:2], off
	global_store_dwordx2 v[7:8], v[3:4], off
	s_endpgm
.LBB478_73:
	v_lshrrev_b32_e32 v40, 1, v0
	v_and_b32_e32 v40, 0x70, v40
	v_lshl_add_u32 v0, v0, 4, v40
	ds_read_b128 v[42:45], v0
	s_waitcnt lgkmcnt(0)
	global_store_dwordx2 v[31:32], v[42:43], off
	global_store_dwordx2 v[29:30], v[44:45], off
	s_or_b32 exec_lo, exec_lo, s5
	s_mov_b32 s5, exec_lo
	v_cmpx_gt_u32_e64 s4, v33
	s_cbranch_execz .LBB478_63
.LBB478_74:
	v_add_co_u32 v42, vcc_lo, 0x800, v31
	v_add_co_ci_u32_e64 v43, null, 0, v32, vcc_lo
	v_add_co_u32 v44, vcc_lo, 0x800, v29
	v_add_co_ci_u32_e64 v45, null, 0, v30, vcc_lo
	s_waitcnt lgkmcnt(6)
	global_store_dwordx2 v[42:43], v[25:26], off
	global_store_dwordx2 v[44:45], v[27:28], off
	s_or_b32 exec_lo, exec_lo, s5
	s_mov_b32 s5, exec_lo
	v_cmpx_gt_u32_e64 s4, v34
	s_cbranch_execz .LBB478_64
.LBB478_75:
	s_waitcnt lgkmcnt(6)
	v_add_co_u32 v25, vcc_lo, 0x1000, v31
	v_add_co_ci_u32_e64 v26, null, 0, v32, vcc_lo
	v_add_co_u32 v27, vcc_lo, 0x1000, v29
	v_add_co_ci_u32_e64 v28, null, 0, v30, vcc_lo
	s_waitcnt lgkmcnt(5)
	global_store_dwordx2 v[25:26], v[21:22], off
	global_store_dwordx2 v[27:28], v[23:24], off
	s_or_b32 exec_lo, exec_lo, s5
	s_mov_b32 s5, exec_lo
	v_cmpx_gt_u32_e64 s4, v35
	s_cbranch_execz .LBB478_65
.LBB478_76:
	s_waitcnt lgkmcnt(5)
	v_add_co_u32 v21, vcc_lo, 0x1800, v31
	v_add_co_ci_u32_e64 v22, null, 0, v32, vcc_lo
	v_add_co_u32 v23, vcc_lo, 0x1800, v29
	v_add_co_ci_u32_e64 v24, null, 0, v30, vcc_lo
	s_waitcnt lgkmcnt(4)
	global_store_dwordx2 v[21:22], v[17:18], off
	global_store_dwordx2 v[23:24], v[19:20], off
	s_or_b32 exec_lo, exec_lo, s5
	s_mov_b32 s5, exec_lo
	v_cmpx_gt_u32_e64 s4, v36
	s_cbranch_execz .LBB478_66
.LBB478_77:
	s_waitcnt lgkmcnt(4)
	v_add_co_u32 v17, vcc_lo, 0x2000, v31
	v_add_co_ci_u32_e64 v18, null, 0, v32, vcc_lo
	v_add_co_u32 v19, vcc_lo, 0x2000, v29
	v_add_co_ci_u32_e64 v20, null, 0, v30, vcc_lo
	s_waitcnt lgkmcnt(3)
	global_store_dwordx2 v[17:18], v[13:14], off
	global_store_dwordx2 v[19:20], v[15:16], off
	s_or_b32 exec_lo, exec_lo, s5
	s_mov_b32 s5, exec_lo
	v_cmpx_gt_u32_e64 s4, v37
	s_cbranch_execz .LBB478_67
.LBB478_78:
	s_waitcnt lgkmcnt(3)
	v_add_co_u32 v13, vcc_lo, 0x2800, v31
	v_add_co_ci_u32_e64 v14, null, 0, v32, vcc_lo
	v_add_co_u32 v15, vcc_lo, 0x2800, v29
	v_add_co_ci_u32_e64 v16, null, 0, v30, vcc_lo
	s_waitcnt lgkmcnt(2)
	global_store_dwordx2 v[13:14], v[9:10], off
	global_store_dwordx2 v[15:16], v[11:12], off
	s_or_b32 exec_lo, exec_lo, s5
	s_mov_b32 s5, exec_lo
	v_cmpx_gt_u32_e64 s4, v38
	s_cbranch_execnz .LBB478_68
	s_branch .LBB478_69
	.section	.rodata,"a",@progbits
	.p2align	6, 0x0
	.amdhsa_kernel _ZN7rocprim17ROCPRIM_400000_NS6detail17trampoline_kernelINS0_14default_configENS1_21merge_config_selectorINS0_5tupleIJyyEEENS0_10empty_typeEEEZNS1_10merge_implIS3_NS0_12zip_iteratorINS5_IJN6thrust23THRUST_200600_302600_NS6detail15normal_iteratorINSC_10device_ptrIKyEEEESI_EEEEESK_NSA_INS5_IJNSE_INSF_IyEEEESM_EEEEEPS7_SP_SP_NSC_11hip_rocprim7__merge17predicate_wrapperIyyNSC_4lessImEEEEEE10hipError_tPvRmT0_T1_T2_T3_T4_T5_mmT6_P12ihipStream_tbEUlT_E0_NS1_11comp_targetILNS1_3genE8ELNS1_11target_archE1030ELNS1_3gpuE2ELNS1_3repE0EEENS1_30default_config_static_selectorELNS0_4arch9wavefront6targetE0EEEvS10_
		.amdhsa_group_segment_fixed_size 33792
		.amdhsa_private_segment_fixed_size 0
		.amdhsa_kernarg_size 112
		.amdhsa_user_sgpr_count 6
		.amdhsa_user_sgpr_private_segment_buffer 1
		.amdhsa_user_sgpr_dispatch_ptr 0
		.amdhsa_user_sgpr_queue_ptr 0
		.amdhsa_user_sgpr_kernarg_segment_ptr 1
		.amdhsa_user_sgpr_dispatch_id 0
		.amdhsa_user_sgpr_flat_scratch_init 0
		.amdhsa_user_sgpr_private_segment_size 0
		.amdhsa_wavefront_size32 1
		.amdhsa_uses_dynamic_stack 0
		.amdhsa_system_sgpr_private_segment_wavefront_offset 0
		.amdhsa_system_sgpr_workgroup_id_x 1
		.amdhsa_system_sgpr_workgroup_id_y 0
		.amdhsa_system_sgpr_workgroup_id_z 0
		.amdhsa_system_sgpr_workgroup_info 0
		.amdhsa_system_vgpr_workitem_id 0
		.amdhsa_next_free_vgpr 145
		.amdhsa_next_free_sgpr 26
		.amdhsa_reserve_vcc 1
		.amdhsa_reserve_flat_scratch 0
		.amdhsa_float_round_mode_32 0
		.amdhsa_float_round_mode_16_64 0
		.amdhsa_float_denorm_mode_32 3
		.amdhsa_float_denorm_mode_16_64 3
		.amdhsa_dx10_clamp 1
		.amdhsa_ieee_mode 1
		.amdhsa_fp16_overflow 0
		.amdhsa_workgroup_processor_mode 1
		.amdhsa_memory_ordered 1
		.amdhsa_forward_progress 1
		.amdhsa_shared_vgpr_count 0
		.amdhsa_exception_fp_ieee_invalid_op 0
		.amdhsa_exception_fp_denorm_src 0
		.amdhsa_exception_fp_ieee_div_zero 0
		.amdhsa_exception_fp_ieee_overflow 0
		.amdhsa_exception_fp_ieee_underflow 0
		.amdhsa_exception_fp_ieee_inexact 0
		.amdhsa_exception_int_div_zero 0
	.end_amdhsa_kernel
	.section	.text._ZN7rocprim17ROCPRIM_400000_NS6detail17trampoline_kernelINS0_14default_configENS1_21merge_config_selectorINS0_5tupleIJyyEEENS0_10empty_typeEEEZNS1_10merge_implIS3_NS0_12zip_iteratorINS5_IJN6thrust23THRUST_200600_302600_NS6detail15normal_iteratorINSC_10device_ptrIKyEEEESI_EEEEESK_NSA_INS5_IJNSE_INSF_IyEEEESM_EEEEEPS7_SP_SP_NSC_11hip_rocprim7__merge17predicate_wrapperIyyNSC_4lessImEEEEEE10hipError_tPvRmT0_T1_T2_T3_T4_T5_mmT6_P12ihipStream_tbEUlT_E0_NS1_11comp_targetILNS1_3genE8ELNS1_11target_archE1030ELNS1_3gpuE2ELNS1_3repE0EEENS1_30default_config_static_selectorELNS0_4arch9wavefront6targetE0EEEvS10_,"axG",@progbits,_ZN7rocprim17ROCPRIM_400000_NS6detail17trampoline_kernelINS0_14default_configENS1_21merge_config_selectorINS0_5tupleIJyyEEENS0_10empty_typeEEEZNS1_10merge_implIS3_NS0_12zip_iteratorINS5_IJN6thrust23THRUST_200600_302600_NS6detail15normal_iteratorINSC_10device_ptrIKyEEEESI_EEEEESK_NSA_INS5_IJNSE_INSF_IyEEEESM_EEEEEPS7_SP_SP_NSC_11hip_rocprim7__merge17predicate_wrapperIyyNSC_4lessImEEEEEE10hipError_tPvRmT0_T1_T2_T3_T4_T5_mmT6_P12ihipStream_tbEUlT_E0_NS1_11comp_targetILNS1_3genE8ELNS1_11target_archE1030ELNS1_3gpuE2ELNS1_3repE0EEENS1_30default_config_static_selectorELNS0_4arch9wavefront6targetE0EEEvS10_,comdat
.Lfunc_end478:
	.size	_ZN7rocprim17ROCPRIM_400000_NS6detail17trampoline_kernelINS0_14default_configENS1_21merge_config_selectorINS0_5tupleIJyyEEENS0_10empty_typeEEEZNS1_10merge_implIS3_NS0_12zip_iteratorINS5_IJN6thrust23THRUST_200600_302600_NS6detail15normal_iteratorINSC_10device_ptrIKyEEEESI_EEEEESK_NSA_INS5_IJNSE_INSF_IyEEEESM_EEEEEPS7_SP_SP_NSC_11hip_rocprim7__merge17predicate_wrapperIyyNSC_4lessImEEEEEE10hipError_tPvRmT0_T1_T2_T3_T4_T5_mmT6_P12ihipStream_tbEUlT_E0_NS1_11comp_targetILNS1_3genE8ELNS1_11target_archE1030ELNS1_3gpuE2ELNS1_3repE0EEENS1_30default_config_static_selectorELNS0_4arch9wavefront6targetE0EEEvS10_, .Lfunc_end478-_ZN7rocprim17ROCPRIM_400000_NS6detail17trampoline_kernelINS0_14default_configENS1_21merge_config_selectorINS0_5tupleIJyyEEENS0_10empty_typeEEEZNS1_10merge_implIS3_NS0_12zip_iteratorINS5_IJN6thrust23THRUST_200600_302600_NS6detail15normal_iteratorINSC_10device_ptrIKyEEEESI_EEEEESK_NSA_INS5_IJNSE_INSF_IyEEEESM_EEEEEPS7_SP_SP_NSC_11hip_rocprim7__merge17predicate_wrapperIyyNSC_4lessImEEEEEE10hipError_tPvRmT0_T1_T2_T3_T4_T5_mmT6_P12ihipStream_tbEUlT_E0_NS1_11comp_targetILNS1_3genE8ELNS1_11target_archE1030ELNS1_3gpuE2ELNS1_3repE0EEENS1_30default_config_static_selectorELNS0_4arch9wavefront6targetE0EEEvS10_
                                        ; -- End function
	.set _ZN7rocprim17ROCPRIM_400000_NS6detail17trampoline_kernelINS0_14default_configENS1_21merge_config_selectorINS0_5tupleIJyyEEENS0_10empty_typeEEEZNS1_10merge_implIS3_NS0_12zip_iteratorINS5_IJN6thrust23THRUST_200600_302600_NS6detail15normal_iteratorINSC_10device_ptrIKyEEEESI_EEEEESK_NSA_INS5_IJNSE_INSF_IyEEEESM_EEEEEPS7_SP_SP_NSC_11hip_rocprim7__merge17predicate_wrapperIyyNSC_4lessImEEEEEE10hipError_tPvRmT0_T1_T2_T3_T4_T5_mmT6_P12ihipStream_tbEUlT_E0_NS1_11comp_targetILNS1_3genE8ELNS1_11target_archE1030ELNS1_3gpuE2ELNS1_3repE0EEENS1_30default_config_static_selectorELNS0_4arch9wavefront6targetE0EEEvS10_.num_vgpr, 63
	.set _ZN7rocprim17ROCPRIM_400000_NS6detail17trampoline_kernelINS0_14default_configENS1_21merge_config_selectorINS0_5tupleIJyyEEENS0_10empty_typeEEEZNS1_10merge_implIS3_NS0_12zip_iteratorINS5_IJN6thrust23THRUST_200600_302600_NS6detail15normal_iteratorINSC_10device_ptrIKyEEEESI_EEEEESK_NSA_INS5_IJNSE_INSF_IyEEEESM_EEEEEPS7_SP_SP_NSC_11hip_rocprim7__merge17predicate_wrapperIyyNSC_4lessImEEEEEE10hipError_tPvRmT0_T1_T2_T3_T4_T5_mmT6_P12ihipStream_tbEUlT_E0_NS1_11comp_targetILNS1_3genE8ELNS1_11target_archE1030ELNS1_3gpuE2ELNS1_3repE0EEENS1_30default_config_static_selectorELNS0_4arch9wavefront6targetE0EEEvS10_.num_agpr, 0
	.set _ZN7rocprim17ROCPRIM_400000_NS6detail17trampoline_kernelINS0_14default_configENS1_21merge_config_selectorINS0_5tupleIJyyEEENS0_10empty_typeEEEZNS1_10merge_implIS3_NS0_12zip_iteratorINS5_IJN6thrust23THRUST_200600_302600_NS6detail15normal_iteratorINSC_10device_ptrIKyEEEESI_EEEEESK_NSA_INS5_IJNSE_INSF_IyEEEESM_EEEEEPS7_SP_SP_NSC_11hip_rocprim7__merge17predicate_wrapperIyyNSC_4lessImEEEEEE10hipError_tPvRmT0_T1_T2_T3_T4_T5_mmT6_P12ihipStream_tbEUlT_E0_NS1_11comp_targetILNS1_3genE8ELNS1_11target_archE1030ELNS1_3gpuE2ELNS1_3repE0EEENS1_30default_config_static_selectorELNS0_4arch9wavefront6targetE0EEEvS10_.numbered_sgpr, 26
	.set _ZN7rocprim17ROCPRIM_400000_NS6detail17trampoline_kernelINS0_14default_configENS1_21merge_config_selectorINS0_5tupleIJyyEEENS0_10empty_typeEEEZNS1_10merge_implIS3_NS0_12zip_iteratorINS5_IJN6thrust23THRUST_200600_302600_NS6detail15normal_iteratorINSC_10device_ptrIKyEEEESI_EEEEESK_NSA_INS5_IJNSE_INSF_IyEEEESM_EEEEEPS7_SP_SP_NSC_11hip_rocprim7__merge17predicate_wrapperIyyNSC_4lessImEEEEEE10hipError_tPvRmT0_T1_T2_T3_T4_T5_mmT6_P12ihipStream_tbEUlT_E0_NS1_11comp_targetILNS1_3genE8ELNS1_11target_archE1030ELNS1_3gpuE2ELNS1_3repE0EEENS1_30default_config_static_selectorELNS0_4arch9wavefront6targetE0EEEvS10_.num_named_barrier, 0
	.set _ZN7rocprim17ROCPRIM_400000_NS6detail17trampoline_kernelINS0_14default_configENS1_21merge_config_selectorINS0_5tupleIJyyEEENS0_10empty_typeEEEZNS1_10merge_implIS3_NS0_12zip_iteratorINS5_IJN6thrust23THRUST_200600_302600_NS6detail15normal_iteratorINSC_10device_ptrIKyEEEESI_EEEEESK_NSA_INS5_IJNSE_INSF_IyEEEESM_EEEEEPS7_SP_SP_NSC_11hip_rocprim7__merge17predicate_wrapperIyyNSC_4lessImEEEEEE10hipError_tPvRmT0_T1_T2_T3_T4_T5_mmT6_P12ihipStream_tbEUlT_E0_NS1_11comp_targetILNS1_3genE8ELNS1_11target_archE1030ELNS1_3gpuE2ELNS1_3repE0EEENS1_30default_config_static_selectorELNS0_4arch9wavefront6targetE0EEEvS10_.private_seg_size, 0
	.set _ZN7rocprim17ROCPRIM_400000_NS6detail17trampoline_kernelINS0_14default_configENS1_21merge_config_selectorINS0_5tupleIJyyEEENS0_10empty_typeEEEZNS1_10merge_implIS3_NS0_12zip_iteratorINS5_IJN6thrust23THRUST_200600_302600_NS6detail15normal_iteratorINSC_10device_ptrIKyEEEESI_EEEEESK_NSA_INS5_IJNSE_INSF_IyEEEESM_EEEEEPS7_SP_SP_NSC_11hip_rocprim7__merge17predicate_wrapperIyyNSC_4lessImEEEEEE10hipError_tPvRmT0_T1_T2_T3_T4_T5_mmT6_P12ihipStream_tbEUlT_E0_NS1_11comp_targetILNS1_3genE8ELNS1_11target_archE1030ELNS1_3gpuE2ELNS1_3repE0EEENS1_30default_config_static_selectorELNS0_4arch9wavefront6targetE0EEEvS10_.uses_vcc, 1
	.set _ZN7rocprim17ROCPRIM_400000_NS6detail17trampoline_kernelINS0_14default_configENS1_21merge_config_selectorINS0_5tupleIJyyEEENS0_10empty_typeEEEZNS1_10merge_implIS3_NS0_12zip_iteratorINS5_IJN6thrust23THRUST_200600_302600_NS6detail15normal_iteratorINSC_10device_ptrIKyEEEESI_EEEEESK_NSA_INS5_IJNSE_INSF_IyEEEESM_EEEEEPS7_SP_SP_NSC_11hip_rocprim7__merge17predicate_wrapperIyyNSC_4lessImEEEEEE10hipError_tPvRmT0_T1_T2_T3_T4_T5_mmT6_P12ihipStream_tbEUlT_E0_NS1_11comp_targetILNS1_3genE8ELNS1_11target_archE1030ELNS1_3gpuE2ELNS1_3repE0EEENS1_30default_config_static_selectorELNS0_4arch9wavefront6targetE0EEEvS10_.uses_flat_scratch, 0
	.set _ZN7rocprim17ROCPRIM_400000_NS6detail17trampoline_kernelINS0_14default_configENS1_21merge_config_selectorINS0_5tupleIJyyEEENS0_10empty_typeEEEZNS1_10merge_implIS3_NS0_12zip_iteratorINS5_IJN6thrust23THRUST_200600_302600_NS6detail15normal_iteratorINSC_10device_ptrIKyEEEESI_EEEEESK_NSA_INS5_IJNSE_INSF_IyEEEESM_EEEEEPS7_SP_SP_NSC_11hip_rocprim7__merge17predicate_wrapperIyyNSC_4lessImEEEEEE10hipError_tPvRmT0_T1_T2_T3_T4_T5_mmT6_P12ihipStream_tbEUlT_E0_NS1_11comp_targetILNS1_3genE8ELNS1_11target_archE1030ELNS1_3gpuE2ELNS1_3repE0EEENS1_30default_config_static_selectorELNS0_4arch9wavefront6targetE0EEEvS10_.has_dyn_sized_stack, 0
	.set _ZN7rocprim17ROCPRIM_400000_NS6detail17trampoline_kernelINS0_14default_configENS1_21merge_config_selectorINS0_5tupleIJyyEEENS0_10empty_typeEEEZNS1_10merge_implIS3_NS0_12zip_iteratorINS5_IJN6thrust23THRUST_200600_302600_NS6detail15normal_iteratorINSC_10device_ptrIKyEEEESI_EEEEESK_NSA_INS5_IJNSE_INSF_IyEEEESM_EEEEEPS7_SP_SP_NSC_11hip_rocprim7__merge17predicate_wrapperIyyNSC_4lessImEEEEEE10hipError_tPvRmT0_T1_T2_T3_T4_T5_mmT6_P12ihipStream_tbEUlT_E0_NS1_11comp_targetILNS1_3genE8ELNS1_11target_archE1030ELNS1_3gpuE2ELNS1_3repE0EEENS1_30default_config_static_selectorELNS0_4arch9wavefront6targetE0EEEvS10_.has_recursion, 0
	.set _ZN7rocprim17ROCPRIM_400000_NS6detail17trampoline_kernelINS0_14default_configENS1_21merge_config_selectorINS0_5tupleIJyyEEENS0_10empty_typeEEEZNS1_10merge_implIS3_NS0_12zip_iteratorINS5_IJN6thrust23THRUST_200600_302600_NS6detail15normal_iteratorINSC_10device_ptrIKyEEEESI_EEEEESK_NSA_INS5_IJNSE_INSF_IyEEEESM_EEEEEPS7_SP_SP_NSC_11hip_rocprim7__merge17predicate_wrapperIyyNSC_4lessImEEEEEE10hipError_tPvRmT0_T1_T2_T3_T4_T5_mmT6_P12ihipStream_tbEUlT_E0_NS1_11comp_targetILNS1_3genE8ELNS1_11target_archE1030ELNS1_3gpuE2ELNS1_3repE0EEENS1_30default_config_static_selectorELNS0_4arch9wavefront6targetE0EEEvS10_.has_indirect_call, 0
	.section	.AMDGPU.csdata,"",@progbits
; Kernel info:
; codeLenInByte = 4616
; TotalNumSgprs: 28
; NumVgprs: 63
; ScratchSize: 0
; MemoryBound: 0
; FloatMode: 240
; IeeeMode: 1
; LDSByteSize: 33792 bytes/workgroup (compile time only)
; SGPRBlocks: 0
; VGPRBlocks: 18
; NumSGPRsForWavesPerEU: 28
; NumVGPRsForWavesPerEU: 145
; Occupancy: 6
; WaveLimiterHint : 1
; COMPUTE_PGM_RSRC2:SCRATCH_EN: 0
; COMPUTE_PGM_RSRC2:USER_SGPR: 6
; COMPUTE_PGM_RSRC2:TRAP_HANDLER: 0
; COMPUTE_PGM_RSRC2:TGID_X_EN: 1
; COMPUTE_PGM_RSRC2:TGID_Y_EN: 0
; COMPUTE_PGM_RSRC2:TGID_Z_EN: 0
; COMPUTE_PGM_RSRC2:TIDIG_COMP_CNT: 0
	.section	.text._ZN7rocprim17ROCPRIM_400000_NS6detail17trampoline_kernelINS0_14default_configENS1_21merge_config_selectorINS0_5tupleIJddEEENS0_10empty_typeEEEZNS1_10merge_implIS3_NS0_12zip_iteratorINS5_IJN6thrust23THRUST_200600_302600_NS6detail15normal_iteratorINSC_10device_ptrIKdEEEESI_EEEEESK_NSA_INS5_IJNSC_16discard_iteratorINSC_11use_defaultEEESN_EEEEEPS7_SQ_SQ_NSC_11hip_rocprim7__merge17predicate_wrapperIddNSC_4lessIdEEEEEE10hipError_tPvRmT0_T1_T2_T3_T4_T5_mmT6_P12ihipStream_tbEUlT_E_NS1_11comp_targetILNS1_3genE0ELNS1_11target_archE4294967295ELNS1_3gpuE0ELNS1_3repE0EEENS1_30default_config_static_selectorELNS0_4arch9wavefront6targetE0EEEvS11_,"axG",@progbits,_ZN7rocprim17ROCPRIM_400000_NS6detail17trampoline_kernelINS0_14default_configENS1_21merge_config_selectorINS0_5tupleIJddEEENS0_10empty_typeEEEZNS1_10merge_implIS3_NS0_12zip_iteratorINS5_IJN6thrust23THRUST_200600_302600_NS6detail15normal_iteratorINSC_10device_ptrIKdEEEESI_EEEEESK_NSA_INS5_IJNSC_16discard_iteratorINSC_11use_defaultEEESN_EEEEEPS7_SQ_SQ_NSC_11hip_rocprim7__merge17predicate_wrapperIddNSC_4lessIdEEEEEE10hipError_tPvRmT0_T1_T2_T3_T4_T5_mmT6_P12ihipStream_tbEUlT_E_NS1_11comp_targetILNS1_3genE0ELNS1_11target_archE4294967295ELNS1_3gpuE0ELNS1_3repE0EEENS1_30default_config_static_selectorELNS0_4arch9wavefront6targetE0EEEvS11_,comdat
	.protected	_ZN7rocprim17ROCPRIM_400000_NS6detail17trampoline_kernelINS0_14default_configENS1_21merge_config_selectorINS0_5tupleIJddEEENS0_10empty_typeEEEZNS1_10merge_implIS3_NS0_12zip_iteratorINS5_IJN6thrust23THRUST_200600_302600_NS6detail15normal_iteratorINSC_10device_ptrIKdEEEESI_EEEEESK_NSA_INS5_IJNSC_16discard_iteratorINSC_11use_defaultEEESN_EEEEEPS7_SQ_SQ_NSC_11hip_rocprim7__merge17predicate_wrapperIddNSC_4lessIdEEEEEE10hipError_tPvRmT0_T1_T2_T3_T4_T5_mmT6_P12ihipStream_tbEUlT_E_NS1_11comp_targetILNS1_3genE0ELNS1_11target_archE4294967295ELNS1_3gpuE0ELNS1_3repE0EEENS1_30default_config_static_selectorELNS0_4arch9wavefront6targetE0EEEvS11_ ; -- Begin function _ZN7rocprim17ROCPRIM_400000_NS6detail17trampoline_kernelINS0_14default_configENS1_21merge_config_selectorINS0_5tupleIJddEEENS0_10empty_typeEEEZNS1_10merge_implIS3_NS0_12zip_iteratorINS5_IJN6thrust23THRUST_200600_302600_NS6detail15normal_iteratorINSC_10device_ptrIKdEEEESI_EEEEESK_NSA_INS5_IJNSC_16discard_iteratorINSC_11use_defaultEEESN_EEEEEPS7_SQ_SQ_NSC_11hip_rocprim7__merge17predicate_wrapperIddNSC_4lessIdEEEEEE10hipError_tPvRmT0_T1_T2_T3_T4_T5_mmT6_P12ihipStream_tbEUlT_E_NS1_11comp_targetILNS1_3genE0ELNS1_11target_archE4294967295ELNS1_3gpuE0ELNS1_3repE0EEENS1_30default_config_static_selectorELNS0_4arch9wavefront6targetE0EEEvS11_
	.globl	_ZN7rocprim17ROCPRIM_400000_NS6detail17trampoline_kernelINS0_14default_configENS1_21merge_config_selectorINS0_5tupleIJddEEENS0_10empty_typeEEEZNS1_10merge_implIS3_NS0_12zip_iteratorINS5_IJN6thrust23THRUST_200600_302600_NS6detail15normal_iteratorINSC_10device_ptrIKdEEEESI_EEEEESK_NSA_INS5_IJNSC_16discard_iteratorINSC_11use_defaultEEESN_EEEEEPS7_SQ_SQ_NSC_11hip_rocprim7__merge17predicate_wrapperIddNSC_4lessIdEEEEEE10hipError_tPvRmT0_T1_T2_T3_T4_T5_mmT6_P12ihipStream_tbEUlT_E_NS1_11comp_targetILNS1_3genE0ELNS1_11target_archE4294967295ELNS1_3gpuE0ELNS1_3repE0EEENS1_30default_config_static_selectorELNS0_4arch9wavefront6targetE0EEEvS11_
	.p2align	8
	.type	_ZN7rocprim17ROCPRIM_400000_NS6detail17trampoline_kernelINS0_14default_configENS1_21merge_config_selectorINS0_5tupleIJddEEENS0_10empty_typeEEEZNS1_10merge_implIS3_NS0_12zip_iteratorINS5_IJN6thrust23THRUST_200600_302600_NS6detail15normal_iteratorINSC_10device_ptrIKdEEEESI_EEEEESK_NSA_INS5_IJNSC_16discard_iteratorINSC_11use_defaultEEESN_EEEEEPS7_SQ_SQ_NSC_11hip_rocprim7__merge17predicate_wrapperIddNSC_4lessIdEEEEEE10hipError_tPvRmT0_T1_T2_T3_T4_T5_mmT6_P12ihipStream_tbEUlT_E_NS1_11comp_targetILNS1_3genE0ELNS1_11target_archE4294967295ELNS1_3gpuE0ELNS1_3repE0EEENS1_30default_config_static_selectorELNS0_4arch9wavefront6targetE0EEEvS11_,@function
_ZN7rocprim17ROCPRIM_400000_NS6detail17trampoline_kernelINS0_14default_configENS1_21merge_config_selectorINS0_5tupleIJddEEENS0_10empty_typeEEEZNS1_10merge_implIS3_NS0_12zip_iteratorINS5_IJN6thrust23THRUST_200600_302600_NS6detail15normal_iteratorINSC_10device_ptrIKdEEEESI_EEEEESK_NSA_INS5_IJNSC_16discard_iteratorINSC_11use_defaultEEESN_EEEEEPS7_SQ_SQ_NSC_11hip_rocprim7__merge17predicate_wrapperIddNSC_4lessIdEEEEEE10hipError_tPvRmT0_T1_T2_T3_T4_T5_mmT6_P12ihipStream_tbEUlT_E_NS1_11comp_targetILNS1_3genE0ELNS1_11target_archE4294967295ELNS1_3gpuE0ELNS1_3repE0EEENS1_30default_config_static_selectorELNS0_4arch9wavefront6targetE0EEEvS11_: ; @_ZN7rocprim17ROCPRIM_400000_NS6detail17trampoline_kernelINS0_14default_configENS1_21merge_config_selectorINS0_5tupleIJddEEENS0_10empty_typeEEEZNS1_10merge_implIS3_NS0_12zip_iteratorINS5_IJN6thrust23THRUST_200600_302600_NS6detail15normal_iteratorINSC_10device_ptrIKdEEEESI_EEEEESK_NSA_INS5_IJNSC_16discard_iteratorINSC_11use_defaultEEESN_EEEEEPS7_SQ_SQ_NSC_11hip_rocprim7__merge17predicate_wrapperIddNSC_4lessIdEEEEEE10hipError_tPvRmT0_T1_T2_T3_T4_T5_mmT6_P12ihipStream_tbEUlT_E_NS1_11comp_targetILNS1_3genE0ELNS1_11target_archE4294967295ELNS1_3gpuE0ELNS1_3repE0EEENS1_30default_config_static_selectorELNS0_4arch9wavefront6targetE0EEEvS11_
; %bb.0:
	.section	.rodata,"a",@progbits
	.p2align	6, 0x0
	.amdhsa_kernel _ZN7rocprim17ROCPRIM_400000_NS6detail17trampoline_kernelINS0_14default_configENS1_21merge_config_selectorINS0_5tupleIJddEEENS0_10empty_typeEEEZNS1_10merge_implIS3_NS0_12zip_iteratorINS5_IJN6thrust23THRUST_200600_302600_NS6detail15normal_iteratorINSC_10device_ptrIKdEEEESI_EEEEESK_NSA_INS5_IJNSC_16discard_iteratorINSC_11use_defaultEEESN_EEEEEPS7_SQ_SQ_NSC_11hip_rocprim7__merge17predicate_wrapperIddNSC_4lessIdEEEEEE10hipError_tPvRmT0_T1_T2_T3_T4_T5_mmT6_P12ihipStream_tbEUlT_E_NS1_11comp_targetILNS1_3genE0ELNS1_11target_archE4294967295ELNS1_3gpuE0ELNS1_3repE0EEENS1_30default_config_static_selectorELNS0_4arch9wavefront6targetE0EEEvS11_
		.amdhsa_group_segment_fixed_size 0
		.amdhsa_private_segment_fixed_size 0
		.amdhsa_kernarg_size 64
		.amdhsa_user_sgpr_count 6
		.amdhsa_user_sgpr_private_segment_buffer 1
		.amdhsa_user_sgpr_dispatch_ptr 0
		.amdhsa_user_sgpr_queue_ptr 0
		.amdhsa_user_sgpr_kernarg_segment_ptr 1
		.amdhsa_user_sgpr_dispatch_id 0
		.amdhsa_user_sgpr_flat_scratch_init 0
		.amdhsa_user_sgpr_private_segment_size 0
		.amdhsa_wavefront_size32 1
		.amdhsa_uses_dynamic_stack 0
		.amdhsa_system_sgpr_private_segment_wavefront_offset 0
		.amdhsa_system_sgpr_workgroup_id_x 1
		.amdhsa_system_sgpr_workgroup_id_y 0
		.amdhsa_system_sgpr_workgroup_id_z 0
		.amdhsa_system_sgpr_workgroup_info 0
		.amdhsa_system_vgpr_workitem_id 0
		.amdhsa_next_free_vgpr 1
		.amdhsa_next_free_sgpr 1
		.amdhsa_reserve_vcc 0
		.amdhsa_reserve_flat_scratch 0
		.amdhsa_float_round_mode_32 0
		.amdhsa_float_round_mode_16_64 0
		.amdhsa_float_denorm_mode_32 3
		.amdhsa_float_denorm_mode_16_64 3
		.amdhsa_dx10_clamp 1
		.amdhsa_ieee_mode 1
		.amdhsa_fp16_overflow 0
		.amdhsa_workgroup_processor_mode 1
		.amdhsa_memory_ordered 1
		.amdhsa_forward_progress 1
		.amdhsa_shared_vgpr_count 0
		.amdhsa_exception_fp_ieee_invalid_op 0
		.amdhsa_exception_fp_denorm_src 0
		.amdhsa_exception_fp_ieee_div_zero 0
		.amdhsa_exception_fp_ieee_overflow 0
		.amdhsa_exception_fp_ieee_underflow 0
		.amdhsa_exception_fp_ieee_inexact 0
		.amdhsa_exception_int_div_zero 0
	.end_amdhsa_kernel
	.section	.text._ZN7rocprim17ROCPRIM_400000_NS6detail17trampoline_kernelINS0_14default_configENS1_21merge_config_selectorINS0_5tupleIJddEEENS0_10empty_typeEEEZNS1_10merge_implIS3_NS0_12zip_iteratorINS5_IJN6thrust23THRUST_200600_302600_NS6detail15normal_iteratorINSC_10device_ptrIKdEEEESI_EEEEESK_NSA_INS5_IJNSC_16discard_iteratorINSC_11use_defaultEEESN_EEEEEPS7_SQ_SQ_NSC_11hip_rocprim7__merge17predicate_wrapperIddNSC_4lessIdEEEEEE10hipError_tPvRmT0_T1_T2_T3_T4_T5_mmT6_P12ihipStream_tbEUlT_E_NS1_11comp_targetILNS1_3genE0ELNS1_11target_archE4294967295ELNS1_3gpuE0ELNS1_3repE0EEENS1_30default_config_static_selectorELNS0_4arch9wavefront6targetE0EEEvS11_,"axG",@progbits,_ZN7rocprim17ROCPRIM_400000_NS6detail17trampoline_kernelINS0_14default_configENS1_21merge_config_selectorINS0_5tupleIJddEEENS0_10empty_typeEEEZNS1_10merge_implIS3_NS0_12zip_iteratorINS5_IJN6thrust23THRUST_200600_302600_NS6detail15normal_iteratorINSC_10device_ptrIKdEEEESI_EEEEESK_NSA_INS5_IJNSC_16discard_iteratorINSC_11use_defaultEEESN_EEEEEPS7_SQ_SQ_NSC_11hip_rocprim7__merge17predicate_wrapperIddNSC_4lessIdEEEEEE10hipError_tPvRmT0_T1_T2_T3_T4_T5_mmT6_P12ihipStream_tbEUlT_E_NS1_11comp_targetILNS1_3genE0ELNS1_11target_archE4294967295ELNS1_3gpuE0ELNS1_3repE0EEENS1_30default_config_static_selectorELNS0_4arch9wavefront6targetE0EEEvS11_,comdat
.Lfunc_end479:
	.size	_ZN7rocprim17ROCPRIM_400000_NS6detail17trampoline_kernelINS0_14default_configENS1_21merge_config_selectorINS0_5tupleIJddEEENS0_10empty_typeEEEZNS1_10merge_implIS3_NS0_12zip_iteratorINS5_IJN6thrust23THRUST_200600_302600_NS6detail15normal_iteratorINSC_10device_ptrIKdEEEESI_EEEEESK_NSA_INS5_IJNSC_16discard_iteratorINSC_11use_defaultEEESN_EEEEEPS7_SQ_SQ_NSC_11hip_rocprim7__merge17predicate_wrapperIddNSC_4lessIdEEEEEE10hipError_tPvRmT0_T1_T2_T3_T4_T5_mmT6_P12ihipStream_tbEUlT_E_NS1_11comp_targetILNS1_3genE0ELNS1_11target_archE4294967295ELNS1_3gpuE0ELNS1_3repE0EEENS1_30default_config_static_selectorELNS0_4arch9wavefront6targetE0EEEvS11_, .Lfunc_end479-_ZN7rocprim17ROCPRIM_400000_NS6detail17trampoline_kernelINS0_14default_configENS1_21merge_config_selectorINS0_5tupleIJddEEENS0_10empty_typeEEEZNS1_10merge_implIS3_NS0_12zip_iteratorINS5_IJN6thrust23THRUST_200600_302600_NS6detail15normal_iteratorINSC_10device_ptrIKdEEEESI_EEEEESK_NSA_INS5_IJNSC_16discard_iteratorINSC_11use_defaultEEESN_EEEEEPS7_SQ_SQ_NSC_11hip_rocprim7__merge17predicate_wrapperIddNSC_4lessIdEEEEEE10hipError_tPvRmT0_T1_T2_T3_T4_T5_mmT6_P12ihipStream_tbEUlT_E_NS1_11comp_targetILNS1_3genE0ELNS1_11target_archE4294967295ELNS1_3gpuE0ELNS1_3repE0EEENS1_30default_config_static_selectorELNS0_4arch9wavefront6targetE0EEEvS11_
                                        ; -- End function
	.set _ZN7rocprim17ROCPRIM_400000_NS6detail17trampoline_kernelINS0_14default_configENS1_21merge_config_selectorINS0_5tupleIJddEEENS0_10empty_typeEEEZNS1_10merge_implIS3_NS0_12zip_iteratorINS5_IJN6thrust23THRUST_200600_302600_NS6detail15normal_iteratorINSC_10device_ptrIKdEEEESI_EEEEESK_NSA_INS5_IJNSC_16discard_iteratorINSC_11use_defaultEEESN_EEEEEPS7_SQ_SQ_NSC_11hip_rocprim7__merge17predicate_wrapperIddNSC_4lessIdEEEEEE10hipError_tPvRmT0_T1_T2_T3_T4_T5_mmT6_P12ihipStream_tbEUlT_E_NS1_11comp_targetILNS1_3genE0ELNS1_11target_archE4294967295ELNS1_3gpuE0ELNS1_3repE0EEENS1_30default_config_static_selectorELNS0_4arch9wavefront6targetE0EEEvS11_.num_vgpr, 0
	.set _ZN7rocprim17ROCPRIM_400000_NS6detail17trampoline_kernelINS0_14default_configENS1_21merge_config_selectorINS0_5tupleIJddEEENS0_10empty_typeEEEZNS1_10merge_implIS3_NS0_12zip_iteratorINS5_IJN6thrust23THRUST_200600_302600_NS6detail15normal_iteratorINSC_10device_ptrIKdEEEESI_EEEEESK_NSA_INS5_IJNSC_16discard_iteratorINSC_11use_defaultEEESN_EEEEEPS7_SQ_SQ_NSC_11hip_rocprim7__merge17predicate_wrapperIddNSC_4lessIdEEEEEE10hipError_tPvRmT0_T1_T2_T3_T4_T5_mmT6_P12ihipStream_tbEUlT_E_NS1_11comp_targetILNS1_3genE0ELNS1_11target_archE4294967295ELNS1_3gpuE0ELNS1_3repE0EEENS1_30default_config_static_selectorELNS0_4arch9wavefront6targetE0EEEvS11_.num_agpr, 0
	.set _ZN7rocprim17ROCPRIM_400000_NS6detail17trampoline_kernelINS0_14default_configENS1_21merge_config_selectorINS0_5tupleIJddEEENS0_10empty_typeEEEZNS1_10merge_implIS3_NS0_12zip_iteratorINS5_IJN6thrust23THRUST_200600_302600_NS6detail15normal_iteratorINSC_10device_ptrIKdEEEESI_EEEEESK_NSA_INS5_IJNSC_16discard_iteratorINSC_11use_defaultEEESN_EEEEEPS7_SQ_SQ_NSC_11hip_rocprim7__merge17predicate_wrapperIddNSC_4lessIdEEEEEE10hipError_tPvRmT0_T1_T2_T3_T4_T5_mmT6_P12ihipStream_tbEUlT_E_NS1_11comp_targetILNS1_3genE0ELNS1_11target_archE4294967295ELNS1_3gpuE0ELNS1_3repE0EEENS1_30default_config_static_selectorELNS0_4arch9wavefront6targetE0EEEvS11_.numbered_sgpr, 0
	.set _ZN7rocprim17ROCPRIM_400000_NS6detail17trampoline_kernelINS0_14default_configENS1_21merge_config_selectorINS0_5tupleIJddEEENS0_10empty_typeEEEZNS1_10merge_implIS3_NS0_12zip_iteratorINS5_IJN6thrust23THRUST_200600_302600_NS6detail15normal_iteratorINSC_10device_ptrIKdEEEESI_EEEEESK_NSA_INS5_IJNSC_16discard_iteratorINSC_11use_defaultEEESN_EEEEEPS7_SQ_SQ_NSC_11hip_rocprim7__merge17predicate_wrapperIddNSC_4lessIdEEEEEE10hipError_tPvRmT0_T1_T2_T3_T4_T5_mmT6_P12ihipStream_tbEUlT_E_NS1_11comp_targetILNS1_3genE0ELNS1_11target_archE4294967295ELNS1_3gpuE0ELNS1_3repE0EEENS1_30default_config_static_selectorELNS0_4arch9wavefront6targetE0EEEvS11_.num_named_barrier, 0
	.set _ZN7rocprim17ROCPRIM_400000_NS6detail17trampoline_kernelINS0_14default_configENS1_21merge_config_selectorINS0_5tupleIJddEEENS0_10empty_typeEEEZNS1_10merge_implIS3_NS0_12zip_iteratorINS5_IJN6thrust23THRUST_200600_302600_NS6detail15normal_iteratorINSC_10device_ptrIKdEEEESI_EEEEESK_NSA_INS5_IJNSC_16discard_iteratorINSC_11use_defaultEEESN_EEEEEPS7_SQ_SQ_NSC_11hip_rocprim7__merge17predicate_wrapperIddNSC_4lessIdEEEEEE10hipError_tPvRmT0_T1_T2_T3_T4_T5_mmT6_P12ihipStream_tbEUlT_E_NS1_11comp_targetILNS1_3genE0ELNS1_11target_archE4294967295ELNS1_3gpuE0ELNS1_3repE0EEENS1_30default_config_static_selectorELNS0_4arch9wavefront6targetE0EEEvS11_.private_seg_size, 0
	.set _ZN7rocprim17ROCPRIM_400000_NS6detail17trampoline_kernelINS0_14default_configENS1_21merge_config_selectorINS0_5tupleIJddEEENS0_10empty_typeEEEZNS1_10merge_implIS3_NS0_12zip_iteratorINS5_IJN6thrust23THRUST_200600_302600_NS6detail15normal_iteratorINSC_10device_ptrIKdEEEESI_EEEEESK_NSA_INS5_IJNSC_16discard_iteratorINSC_11use_defaultEEESN_EEEEEPS7_SQ_SQ_NSC_11hip_rocprim7__merge17predicate_wrapperIddNSC_4lessIdEEEEEE10hipError_tPvRmT0_T1_T2_T3_T4_T5_mmT6_P12ihipStream_tbEUlT_E_NS1_11comp_targetILNS1_3genE0ELNS1_11target_archE4294967295ELNS1_3gpuE0ELNS1_3repE0EEENS1_30default_config_static_selectorELNS0_4arch9wavefront6targetE0EEEvS11_.uses_vcc, 0
	.set _ZN7rocprim17ROCPRIM_400000_NS6detail17trampoline_kernelINS0_14default_configENS1_21merge_config_selectorINS0_5tupleIJddEEENS0_10empty_typeEEEZNS1_10merge_implIS3_NS0_12zip_iteratorINS5_IJN6thrust23THRUST_200600_302600_NS6detail15normal_iteratorINSC_10device_ptrIKdEEEESI_EEEEESK_NSA_INS5_IJNSC_16discard_iteratorINSC_11use_defaultEEESN_EEEEEPS7_SQ_SQ_NSC_11hip_rocprim7__merge17predicate_wrapperIddNSC_4lessIdEEEEEE10hipError_tPvRmT0_T1_T2_T3_T4_T5_mmT6_P12ihipStream_tbEUlT_E_NS1_11comp_targetILNS1_3genE0ELNS1_11target_archE4294967295ELNS1_3gpuE0ELNS1_3repE0EEENS1_30default_config_static_selectorELNS0_4arch9wavefront6targetE0EEEvS11_.uses_flat_scratch, 0
	.set _ZN7rocprim17ROCPRIM_400000_NS6detail17trampoline_kernelINS0_14default_configENS1_21merge_config_selectorINS0_5tupleIJddEEENS0_10empty_typeEEEZNS1_10merge_implIS3_NS0_12zip_iteratorINS5_IJN6thrust23THRUST_200600_302600_NS6detail15normal_iteratorINSC_10device_ptrIKdEEEESI_EEEEESK_NSA_INS5_IJNSC_16discard_iteratorINSC_11use_defaultEEESN_EEEEEPS7_SQ_SQ_NSC_11hip_rocprim7__merge17predicate_wrapperIddNSC_4lessIdEEEEEE10hipError_tPvRmT0_T1_T2_T3_T4_T5_mmT6_P12ihipStream_tbEUlT_E_NS1_11comp_targetILNS1_3genE0ELNS1_11target_archE4294967295ELNS1_3gpuE0ELNS1_3repE0EEENS1_30default_config_static_selectorELNS0_4arch9wavefront6targetE0EEEvS11_.has_dyn_sized_stack, 0
	.set _ZN7rocprim17ROCPRIM_400000_NS6detail17trampoline_kernelINS0_14default_configENS1_21merge_config_selectorINS0_5tupleIJddEEENS0_10empty_typeEEEZNS1_10merge_implIS3_NS0_12zip_iteratorINS5_IJN6thrust23THRUST_200600_302600_NS6detail15normal_iteratorINSC_10device_ptrIKdEEEESI_EEEEESK_NSA_INS5_IJNSC_16discard_iteratorINSC_11use_defaultEEESN_EEEEEPS7_SQ_SQ_NSC_11hip_rocprim7__merge17predicate_wrapperIddNSC_4lessIdEEEEEE10hipError_tPvRmT0_T1_T2_T3_T4_T5_mmT6_P12ihipStream_tbEUlT_E_NS1_11comp_targetILNS1_3genE0ELNS1_11target_archE4294967295ELNS1_3gpuE0ELNS1_3repE0EEENS1_30default_config_static_selectorELNS0_4arch9wavefront6targetE0EEEvS11_.has_recursion, 0
	.set _ZN7rocprim17ROCPRIM_400000_NS6detail17trampoline_kernelINS0_14default_configENS1_21merge_config_selectorINS0_5tupleIJddEEENS0_10empty_typeEEEZNS1_10merge_implIS3_NS0_12zip_iteratorINS5_IJN6thrust23THRUST_200600_302600_NS6detail15normal_iteratorINSC_10device_ptrIKdEEEESI_EEEEESK_NSA_INS5_IJNSC_16discard_iteratorINSC_11use_defaultEEESN_EEEEEPS7_SQ_SQ_NSC_11hip_rocprim7__merge17predicate_wrapperIddNSC_4lessIdEEEEEE10hipError_tPvRmT0_T1_T2_T3_T4_T5_mmT6_P12ihipStream_tbEUlT_E_NS1_11comp_targetILNS1_3genE0ELNS1_11target_archE4294967295ELNS1_3gpuE0ELNS1_3repE0EEENS1_30default_config_static_selectorELNS0_4arch9wavefront6targetE0EEEvS11_.has_indirect_call, 0
	.section	.AMDGPU.csdata,"",@progbits
; Kernel info:
; codeLenInByte = 0
; TotalNumSgprs: 0
; NumVgprs: 0
; ScratchSize: 0
; MemoryBound: 0
; FloatMode: 240
; IeeeMode: 1
; LDSByteSize: 0 bytes/workgroup (compile time only)
; SGPRBlocks: 0
; VGPRBlocks: 0
; NumSGPRsForWavesPerEU: 1
; NumVGPRsForWavesPerEU: 1
; Occupancy: 16
; WaveLimiterHint : 0
; COMPUTE_PGM_RSRC2:SCRATCH_EN: 0
; COMPUTE_PGM_RSRC2:USER_SGPR: 6
; COMPUTE_PGM_RSRC2:TRAP_HANDLER: 0
; COMPUTE_PGM_RSRC2:TGID_X_EN: 1
; COMPUTE_PGM_RSRC2:TGID_Y_EN: 0
; COMPUTE_PGM_RSRC2:TGID_Z_EN: 0
; COMPUTE_PGM_RSRC2:TIDIG_COMP_CNT: 0
	.section	.text._ZN7rocprim17ROCPRIM_400000_NS6detail17trampoline_kernelINS0_14default_configENS1_21merge_config_selectorINS0_5tupleIJddEEENS0_10empty_typeEEEZNS1_10merge_implIS3_NS0_12zip_iteratorINS5_IJN6thrust23THRUST_200600_302600_NS6detail15normal_iteratorINSC_10device_ptrIKdEEEESI_EEEEESK_NSA_INS5_IJNSC_16discard_iteratorINSC_11use_defaultEEESN_EEEEEPS7_SQ_SQ_NSC_11hip_rocprim7__merge17predicate_wrapperIddNSC_4lessIdEEEEEE10hipError_tPvRmT0_T1_T2_T3_T4_T5_mmT6_P12ihipStream_tbEUlT_E_NS1_11comp_targetILNS1_3genE5ELNS1_11target_archE942ELNS1_3gpuE9ELNS1_3repE0EEENS1_30default_config_static_selectorELNS0_4arch9wavefront6targetE0EEEvS11_,"axG",@progbits,_ZN7rocprim17ROCPRIM_400000_NS6detail17trampoline_kernelINS0_14default_configENS1_21merge_config_selectorINS0_5tupleIJddEEENS0_10empty_typeEEEZNS1_10merge_implIS3_NS0_12zip_iteratorINS5_IJN6thrust23THRUST_200600_302600_NS6detail15normal_iteratorINSC_10device_ptrIKdEEEESI_EEEEESK_NSA_INS5_IJNSC_16discard_iteratorINSC_11use_defaultEEESN_EEEEEPS7_SQ_SQ_NSC_11hip_rocprim7__merge17predicate_wrapperIddNSC_4lessIdEEEEEE10hipError_tPvRmT0_T1_T2_T3_T4_T5_mmT6_P12ihipStream_tbEUlT_E_NS1_11comp_targetILNS1_3genE5ELNS1_11target_archE942ELNS1_3gpuE9ELNS1_3repE0EEENS1_30default_config_static_selectorELNS0_4arch9wavefront6targetE0EEEvS11_,comdat
	.protected	_ZN7rocprim17ROCPRIM_400000_NS6detail17trampoline_kernelINS0_14default_configENS1_21merge_config_selectorINS0_5tupleIJddEEENS0_10empty_typeEEEZNS1_10merge_implIS3_NS0_12zip_iteratorINS5_IJN6thrust23THRUST_200600_302600_NS6detail15normal_iteratorINSC_10device_ptrIKdEEEESI_EEEEESK_NSA_INS5_IJNSC_16discard_iteratorINSC_11use_defaultEEESN_EEEEEPS7_SQ_SQ_NSC_11hip_rocprim7__merge17predicate_wrapperIddNSC_4lessIdEEEEEE10hipError_tPvRmT0_T1_T2_T3_T4_T5_mmT6_P12ihipStream_tbEUlT_E_NS1_11comp_targetILNS1_3genE5ELNS1_11target_archE942ELNS1_3gpuE9ELNS1_3repE0EEENS1_30default_config_static_selectorELNS0_4arch9wavefront6targetE0EEEvS11_ ; -- Begin function _ZN7rocprim17ROCPRIM_400000_NS6detail17trampoline_kernelINS0_14default_configENS1_21merge_config_selectorINS0_5tupleIJddEEENS0_10empty_typeEEEZNS1_10merge_implIS3_NS0_12zip_iteratorINS5_IJN6thrust23THRUST_200600_302600_NS6detail15normal_iteratorINSC_10device_ptrIKdEEEESI_EEEEESK_NSA_INS5_IJNSC_16discard_iteratorINSC_11use_defaultEEESN_EEEEEPS7_SQ_SQ_NSC_11hip_rocprim7__merge17predicate_wrapperIddNSC_4lessIdEEEEEE10hipError_tPvRmT0_T1_T2_T3_T4_T5_mmT6_P12ihipStream_tbEUlT_E_NS1_11comp_targetILNS1_3genE5ELNS1_11target_archE942ELNS1_3gpuE9ELNS1_3repE0EEENS1_30default_config_static_selectorELNS0_4arch9wavefront6targetE0EEEvS11_
	.globl	_ZN7rocprim17ROCPRIM_400000_NS6detail17trampoline_kernelINS0_14default_configENS1_21merge_config_selectorINS0_5tupleIJddEEENS0_10empty_typeEEEZNS1_10merge_implIS3_NS0_12zip_iteratorINS5_IJN6thrust23THRUST_200600_302600_NS6detail15normal_iteratorINSC_10device_ptrIKdEEEESI_EEEEESK_NSA_INS5_IJNSC_16discard_iteratorINSC_11use_defaultEEESN_EEEEEPS7_SQ_SQ_NSC_11hip_rocprim7__merge17predicate_wrapperIddNSC_4lessIdEEEEEE10hipError_tPvRmT0_T1_T2_T3_T4_T5_mmT6_P12ihipStream_tbEUlT_E_NS1_11comp_targetILNS1_3genE5ELNS1_11target_archE942ELNS1_3gpuE9ELNS1_3repE0EEENS1_30default_config_static_selectorELNS0_4arch9wavefront6targetE0EEEvS11_
	.p2align	8
	.type	_ZN7rocprim17ROCPRIM_400000_NS6detail17trampoline_kernelINS0_14default_configENS1_21merge_config_selectorINS0_5tupleIJddEEENS0_10empty_typeEEEZNS1_10merge_implIS3_NS0_12zip_iteratorINS5_IJN6thrust23THRUST_200600_302600_NS6detail15normal_iteratorINSC_10device_ptrIKdEEEESI_EEEEESK_NSA_INS5_IJNSC_16discard_iteratorINSC_11use_defaultEEESN_EEEEEPS7_SQ_SQ_NSC_11hip_rocprim7__merge17predicate_wrapperIddNSC_4lessIdEEEEEE10hipError_tPvRmT0_T1_T2_T3_T4_T5_mmT6_P12ihipStream_tbEUlT_E_NS1_11comp_targetILNS1_3genE5ELNS1_11target_archE942ELNS1_3gpuE9ELNS1_3repE0EEENS1_30default_config_static_selectorELNS0_4arch9wavefront6targetE0EEEvS11_,@function
_ZN7rocprim17ROCPRIM_400000_NS6detail17trampoline_kernelINS0_14default_configENS1_21merge_config_selectorINS0_5tupleIJddEEENS0_10empty_typeEEEZNS1_10merge_implIS3_NS0_12zip_iteratorINS5_IJN6thrust23THRUST_200600_302600_NS6detail15normal_iteratorINSC_10device_ptrIKdEEEESI_EEEEESK_NSA_INS5_IJNSC_16discard_iteratorINSC_11use_defaultEEESN_EEEEEPS7_SQ_SQ_NSC_11hip_rocprim7__merge17predicate_wrapperIddNSC_4lessIdEEEEEE10hipError_tPvRmT0_T1_T2_T3_T4_T5_mmT6_P12ihipStream_tbEUlT_E_NS1_11comp_targetILNS1_3genE5ELNS1_11target_archE942ELNS1_3gpuE9ELNS1_3repE0EEENS1_30default_config_static_selectorELNS0_4arch9wavefront6targetE0EEEvS11_: ; @_ZN7rocprim17ROCPRIM_400000_NS6detail17trampoline_kernelINS0_14default_configENS1_21merge_config_selectorINS0_5tupleIJddEEENS0_10empty_typeEEEZNS1_10merge_implIS3_NS0_12zip_iteratorINS5_IJN6thrust23THRUST_200600_302600_NS6detail15normal_iteratorINSC_10device_ptrIKdEEEESI_EEEEESK_NSA_INS5_IJNSC_16discard_iteratorINSC_11use_defaultEEESN_EEEEEPS7_SQ_SQ_NSC_11hip_rocprim7__merge17predicate_wrapperIddNSC_4lessIdEEEEEE10hipError_tPvRmT0_T1_T2_T3_T4_T5_mmT6_P12ihipStream_tbEUlT_E_NS1_11comp_targetILNS1_3genE5ELNS1_11target_archE942ELNS1_3gpuE9ELNS1_3repE0EEENS1_30default_config_static_selectorELNS0_4arch9wavefront6targetE0EEEvS11_
; %bb.0:
	.section	.rodata,"a",@progbits
	.p2align	6, 0x0
	.amdhsa_kernel _ZN7rocprim17ROCPRIM_400000_NS6detail17trampoline_kernelINS0_14default_configENS1_21merge_config_selectorINS0_5tupleIJddEEENS0_10empty_typeEEEZNS1_10merge_implIS3_NS0_12zip_iteratorINS5_IJN6thrust23THRUST_200600_302600_NS6detail15normal_iteratorINSC_10device_ptrIKdEEEESI_EEEEESK_NSA_INS5_IJNSC_16discard_iteratorINSC_11use_defaultEEESN_EEEEEPS7_SQ_SQ_NSC_11hip_rocprim7__merge17predicate_wrapperIddNSC_4lessIdEEEEEE10hipError_tPvRmT0_T1_T2_T3_T4_T5_mmT6_P12ihipStream_tbEUlT_E_NS1_11comp_targetILNS1_3genE5ELNS1_11target_archE942ELNS1_3gpuE9ELNS1_3repE0EEENS1_30default_config_static_selectorELNS0_4arch9wavefront6targetE0EEEvS11_
		.amdhsa_group_segment_fixed_size 0
		.amdhsa_private_segment_fixed_size 0
		.amdhsa_kernarg_size 64
		.amdhsa_user_sgpr_count 6
		.amdhsa_user_sgpr_private_segment_buffer 1
		.amdhsa_user_sgpr_dispatch_ptr 0
		.amdhsa_user_sgpr_queue_ptr 0
		.amdhsa_user_sgpr_kernarg_segment_ptr 1
		.amdhsa_user_sgpr_dispatch_id 0
		.amdhsa_user_sgpr_flat_scratch_init 0
		.amdhsa_user_sgpr_private_segment_size 0
		.amdhsa_wavefront_size32 1
		.amdhsa_uses_dynamic_stack 0
		.amdhsa_system_sgpr_private_segment_wavefront_offset 0
		.amdhsa_system_sgpr_workgroup_id_x 1
		.amdhsa_system_sgpr_workgroup_id_y 0
		.amdhsa_system_sgpr_workgroup_id_z 0
		.amdhsa_system_sgpr_workgroup_info 0
		.amdhsa_system_vgpr_workitem_id 0
		.amdhsa_next_free_vgpr 1
		.amdhsa_next_free_sgpr 1
		.amdhsa_reserve_vcc 0
		.amdhsa_reserve_flat_scratch 0
		.amdhsa_float_round_mode_32 0
		.amdhsa_float_round_mode_16_64 0
		.amdhsa_float_denorm_mode_32 3
		.amdhsa_float_denorm_mode_16_64 3
		.amdhsa_dx10_clamp 1
		.amdhsa_ieee_mode 1
		.amdhsa_fp16_overflow 0
		.amdhsa_workgroup_processor_mode 1
		.amdhsa_memory_ordered 1
		.amdhsa_forward_progress 1
		.amdhsa_shared_vgpr_count 0
		.amdhsa_exception_fp_ieee_invalid_op 0
		.amdhsa_exception_fp_denorm_src 0
		.amdhsa_exception_fp_ieee_div_zero 0
		.amdhsa_exception_fp_ieee_overflow 0
		.amdhsa_exception_fp_ieee_underflow 0
		.amdhsa_exception_fp_ieee_inexact 0
		.amdhsa_exception_int_div_zero 0
	.end_amdhsa_kernel
	.section	.text._ZN7rocprim17ROCPRIM_400000_NS6detail17trampoline_kernelINS0_14default_configENS1_21merge_config_selectorINS0_5tupleIJddEEENS0_10empty_typeEEEZNS1_10merge_implIS3_NS0_12zip_iteratorINS5_IJN6thrust23THRUST_200600_302600_NS6detail15normal_iteratorINSC_10device_ptrIKdEEEESI_EEEEESK_NSA_INS5_IJNSC_16discard_iteratorINSC_11use_defaultEEESN_EEEEEPS7_SQ_SQ_NSC_11hip_rocprim7__merge17predicate_wrapperIddNSC_4lessIdEEEEEE10hipError_tPvRmT0_T1_T2_T3_T4_T5_mmT6_P12ihipStream_tbEUlT_E_NS1_11comp_targetILNS1_3genE5ELNS1_11target_archE942ELNS1_3gpuE9ELNS1_3repE0EEENS1_30default_config_static_selectorELNS0_4arch9wavefront6targetE0EEEvS11_,"axG",@progbits,_ZN7rocprim17ROCPRIM_400000_NS6detail17trampoline_kernelINS0_14default_configENS1_21merge_config_selectorINS0_5tupleIJddEEENS0_10empty_typeEEEZNS1_10merge_implIS3_NS0_12zip_iteratorINS5_IJN6thrust23THRUST_200600_302600_NS6detail15normal_iteratorINSC_10device_ptrIKdEEEESI_EEEEESK_NSA_INS5_IJNSC_16discard_iteratorINSC_11use_defaultEEESN_EEEEEPS7_SQ_SQ_NSC_11hip_rocprim7__merge17predicate_wrapperIddNSC_4lessIdEEEEEE10hipError_tPvRmT0_T1_T2_T3_T4_T5_mmT6_P12ihipStream_tbEUlT_E_NS1_11comp_targetILNS1_3genE5ELNS1_11target_archE942ELNS1_3gpuE9ELNS1_3repE0EEENS1_30default_config_static_selectorELNS0_4arch9wavefront6targetE0EEEvS11_,comdat
.Lfunc_end480:
	.size	_ZN7rocprim17ROCPRIM_400000_NS6detail17trampoline_kernelINS0_14default_configENS1_21merge_config_selectorINS0_5tupleIJddEEENS0_10empty_typeEEEZNS1_10merge_implIS3_NS0_12zip_iteratorINS5_IJN6thrust23THRUST_200600_302600_NS6detail15normal_iteratorINSC_10device_ptrIKdEEEESI_EEEEESK_NSA_INS5_IJNSC_16discard_iteratorINSC_11use_defaultEEESN_EEEEEPS7_SQ_SQ_NSC_11hip_rocprim7__merge17predicate_wrapperIddNSC_4lessIdEEEEEE10hipError_tPvRmT0_T1_T2_T3_T4_T5_mmT6_P12ihipStream_tbEUlT_E_NS1_11comp_targetILNS1_3genE5ELNS1_11target_archE942ELNS1_3gpuE9ELNS1_3repE0EEENS1_30default_config_static_selectorELNS0_4arch9wavefront6targetE0EEEvS11_, .Lfunc_end480-_ZN7rocprim17ROCPRIM_400000_NS6detail17trampoline_kernelINS0_14default_configENS1_21merge_config_selectorINS0_5tupleIJddEEENS0_10empty_typeEEEZNS1_10merge_implIS3_NS0_12zip_iteratorINS5_IJN6thrust23THRUST_200600_302600_NS6detail15normal_iteratorINSC_10device_ptrIKdEEEESI_EEEEESK_NSA_INS5_IJNSC_16discard_iteratorINSC_11use_defaultEEESN_EEEEEPS7_SQ_SQ_NSC_11hip_rocprim7__merge17predicate_wrapperIddNSC_4lessIdEEEEEE10hipError_tPvRmT0_T1_T2_T3_T4_T5_mmT6_P12ihipStream_tbEUlT_E_NS1_11comp_targetILNS1_3genE5ELNS1_11target_archE942ELNS1_3gpuE9ELNS1_3repE0EEENS1_30default_config_static_selectorELNS0_4arch9wavefront6targetE0EEEvS11_
                                        ; -- End function
	.set _ZN7rocprim17ROCPRIM_400000_NS6detail17trampoline_kernelINS0_14default_configENS1_21merge_config_selectorINS0_5tupleIJddEEENS0_10empty_typeEEEZNS1_10merge_implIS3_NS0_12zip_iteratorINS5_IJN6thrust23THRUST_200600_302600_NS6detail15normal_iteratorINSC_10device_ptrIKdEEEESI_EEEEESK_NSA_INS5_IJNSC_16discard_iteratorINSC_11use_defaultEEESN_EEEEEPS7_SQ_SQ_NSC_11hip_rocprim7__merge17predicate_wrapperIddNSC_4lessIdEEEEEE10hipError_tPvRmT0_T1_T2_T3_T4_T5_mmT6_P12ihipStream_tbEUlT_E_NS1_11comp_targetILNS1_3genE5ELNS1_11target_archE942ELNS1_3gpuE9ELNS1_3repE0EEENS1_30default_config_static_selectorELNS0_4arch9wavefront6targetE0EEEvS11_.num_vgpr, 0
	.set _ZN7rocprim17ROCPRIM_400000_NS6detail17trampoline_kernelINS0_14default_configENS1_21merge_config_selectorINS0_5tupleIJddEEENS0_10empty_typeEEEZNS1_10merge_implIS3_NS0_12zip_iteratorINS5_IJN6thrust23THRUST_200600_302600_NS6detail15normal_iteratorINSC_10device_ptrIKdEEEESI_EEEEESK_NSA_INS5_IJNSC_16discard_iteratorINSC_11use_defaultEEESN_EEEEEPS7_SQ_SQ_NSC_11hip_rocprim7__merge17predicate_wrapperIddNSC_4lessIdEEEEEE10hipError_tPvRmT0_T1_T2_T3_T4_T5_mmT6_P12ihipStream_tbEUlT_E_NS1_11comp_targetILNS1_3genE5ELNS1_11target_archE942ELNS1_3gpuE9ELNS1_3repE0EEENS1_30default_config_static_selectorELNS0_4arch9wavefront6targetE0EEEvS11_.num_agpr, 0
	.set _ZN7rocprim17ROCPRIM_400000_NS6detail17trampoline_kernelINS0_14default_configENS1_21merge_config_selectorINS0_5tupleIJddEEENS0_10empty_typeEEEZNS1_10merge_implIS3_NS0_12zip_iteratorINS5_IJN6thrust23THRUST_200600_302600_NS6detail15normal_iteratorINSC_10device_ptrIKdEEEESI_EEEEESK_NSA_INS5_IJNSC_16discard_iteratorINSC_11use_defaultEEESN_EEEEEPS7_SQ_SQ_NSC_11hip_rocprim7__merge17predicate_wrapperIddNSC_4lessIdEEEEEE10hipError_tPvRmT0_T1_T2_T3_T4_T5_mmT6_P12ihipStream_tbEUlT_E_NS1_11comp_targetILNS1_3genE5ELNS1_11target_archE942ELNS1_3gpuE9ELNS1_3repE0EEENS1_30default_config_static_selectorELNS0_4arch9wavefront6targetE0EEEvS11_.numbered_sgpr, 0
	.set _ZN7rocprim17ROCPRIM_400000_NS6detail17trampoline_kernelINS0_14default_configENS1_21merge_config_selectorINS0_5tupleIJddEEENS0_10empty_typeEEEZNS1_10merge_implIS3_NS0_12zip_iteratorINS5_IJN6thrust23THRUST_200600_302600_NS6detail15normal_iteratorINSC_10device_ptrIKdEEEESI_EEEEESK_NSA_INS5_IJNSC_16discard_iteratorINSC_11use_defaultEEESN_EEEEEPS7_SQ_SQ_NSC_11hip_rocprim7__merge17predicate_wrapperIddNSC_4lessIdEEEEEE10hipError_tPvRmT0_T1_T2_T3_T4_T5_mmT6_P12ihipStream_tbEUlT_E_NS1_11comp_targetILNS1_3genE5ELNS1_11target_archE942ELNS1_3gpuE9ELNS1_3repE0EEENS1_30default_config_static_selectorELNS0_4arch9wavefront6targetE0EEEvS11_.num_named_barrier, 0
	.set _ZN7rocprim17ROCPRIM_400000_NS6detail17trampoline_kernelINS0_14default_configENS1_21merge_config_selectorINS0_5tupleIJddEEENS0_10empty_typeEEEZNS1_10merge_implIS3_NS0_12zip_iteratorINS5_IJN6thrust23THRUST_200600_302600_NS6detail15normal_iteratorINSC_10device_ptrIKdEEEESI_EEEEESK_NSA_INS5_IJNSC_16discard_iteratorINSC_11use_defaultEEESN_EEEEEPS7_SQ_SQ_NSC_11hip_rocprim7__merge17predicate_wrapperIddNSC_4lessIdEEEEEE10hipError_tPvRmT0_T1_T2_T3_T4_T5_mmT6_P12ihipStream_tbEUlT_E_NS1_11comp_targetILNS1_3genE5ELNS1_11target_archE942ELNS1_3gpuE9ELNS1_3repE0EEENS1_30default_config_static_selectorELNS0_4arch9wavefront6targetE0EEEvS11_.private_seg_size, 0
	.set _ZN7rocprim17ROCPRIM_400000_NS6detail17trampoline_kernelINS0_14default_configENS1_21merge_config_selectorINS0_5tupleIJddEEENS0_10empty_typeEEEZNS1_10merge_implIS3_NS0_12zip_iteratorINS5_IJN6thrust23THRUST_200600_302600_NS6detail15normal_iteratorINSC_10device_ptrIKdEEEESI_EEEEESK_NSA_INS5_IJNSC_16discard_iteratorINSC_11use_defaultEEESN_EEEEEPS7_SQ_SQ_NSC_11hip_rocprim7__merge17predicate_wrapperIddNSC_4lessIdEEEEEE10hipError_tPvRmT0_T1_T2_T3_T4_T5_mmT6_P12ihipStream_tbEUlT_E_NS1_11comp_targetILNS1_3genE5ELNS1_11target_archE942ELNS1_3gpuE9ELNS1_3repE0EEENS1_30default_config_static_selectorELNS0_4arch9wavefront6targetE0EEEvS11_.uses_vcc, 0
	.set _ZN7rocprim17ROCPRIM_400000_NS6detail17trampoline_kernelINS0_14default_configENS1_21merge_config_selectorINS0_5tupleIJddEEENS0_10empty_typeEEEZNS1_10merge_implIS3_NS0_12zip_iteratorINS5_IJN6thrust23THRUST_200600_302600_NS6detail15normal_iteratorINSC_10device_ptrIKdEEEESI_EEEEESK_NSA_INS5_IJNSC_16discard_iteratorINSC_11use_defaultEEESN_EEEEEPS7_SQ_SQ_NSC_11hip_rocprim7__merge17predicate_wrapperIddNSC_4lessIdEEEEEE10hipError_tPvRmT0_T1_T2_T3_T4_T5_mmT6_P12ihipStream_tbEUlT_E_NS1_11comp_targetILNS1_3genE5ELNS1_11target_archE942ELNS1_3gpuE9ELNS1_3repE0EEENS1_30default_config_static_selectorELNS0_4arch9wavefront6targetE0EEEvS11_.uses_flat_scratch, 0
	.set _ZN7rocprim17ROCPRIM_400000_NS6detail17trampoline_kernelINS0_14default_configENS1_21merge_config_selectorINS0_5tupleIJddEEENS0_10empty_typeEEEZNS1_10merge_implIS3_NS0_12zip_iteratorINS5_IJN6thrust23THRUST_200600_302600_NS6detail15normal_iteratorINSC_10device_ptrIKdEEEESI_EEEEESK_NSA_INS5_IJNSC_16discard_iteratorINSC_11use_defaultEEESN_EEEEEPS7_SQ_SQ_NSC_11hip_rocprim7__merge17predicate_wrapperIddNSC_4lessIdEEEEEE10hipError_tPvRmT0_T1_T2_T3_T4_T5_mmT6_P12ihipStream_tbEUlT_E_NS1_11comp_targetILNS1_3genE5ELNS1_11target_archE942ELNS1_3gpuE9ELNS1_3repE0EEENS1_30default_config_static_selectorELNS0_4arch9wavefront6targetE0EEEvS11_.has_dyn_sized_stack, 0
	.set _ZN7rocprim17ROCPRIM_400000_NS6detail17trampoline_kernelINS0_14default_configENS1_21merge_config_selectorINS0_5tupleIJddEEENS0_10empty_typeEEEZNS1_10merge_implIS3_NS0_12zip_iteratorINS5_IJN6thrust23THRUST_200600_302600_NS6detail15normal_iteratorINSC_10device_ptrIKdEEEESI_EEEEESK_NSA_INS5_IJNSC_16discard_iteratorINSC_11use_defaultEEESN_EEEEEPS7_SQ_SQ_NSC_11hip_rocprim7__merge17predicate_wrapperIddNSC_4lessIdEEEEEE10hipError_tPvRmT0_T1_T2_T3_T4_T5_mmT6_P12ihipStream_tbEUlT_E_NS1_11comp_targetILNS1_3genE5ELNS1_11target_archE942ELNS1_3gpuE9ELNS1_3repE0EEENS1_30default_config_static_selectorELNS0_4arch9wavefront6targetE0EEEvS11_.has_recursion, 0
	.set _ZN7rocprim17ROCPRIM_400000_NS6detail17trampoline_kernelINS0_14default_configENS1_21merge_config_selectorINS0_5tupleIJddEEENS0_10empty_typeEEEZNS1_10merge_implIS3_NS0_12zip_iteratorINS5_IJN6thrust23THRUST_200600_302600_NS6detail15normal_iteratorINSC_10device_ptrIKdEEEESI_EEEEESK_NSA_INS5_IJNSC_16discard_iteratorINSC_11use_defaultEEESN_EEEEEPS7_SQ_SQ_NSC_11hip_rocprim7__merge17predicate_wrapperIddNSC_4lessIdEEEEEE10hipError_tPvRmT0_T1_T2_T3_T4_T5_mmT6_P12ihipStream_tbEUlT_E_NS1_11comp_targetILNS1_3genE5ELNS1_11target_archE942ELNS1_3gpuE9ELNS1_3repE0EEENS1_30default_config_static_selectorELNS0_4arch9wavefront6targetE0EEEvS11_.has_indirect_call, 0
	.section	.AMDGPU.csdata,"",@progbits
; Kernel info:
; codeLenInByte = 0
; TotalNumSgprs: 0
; NumVgprs: 0
; ScratchSize: 0
; MemoryBound: 0
; FloatMode: 240
; IeeeMode: 1
; LDSByteSize: 0 bytes/workgroup (compile time only)
; SGPRBlocks: 0
; VGPRBlocks: 0
; NumSGPRsForWavesPerEU: 1
; NumVGPRsForWavesPerEU: 1
; Occupancy: 16
; WaveLimiterHint : 0
; COMPUTE_PGM_RSRC2:SCRATCH_EN: 0
; COMPUTE_PGM_RSRC2:USER_SGPR: 6
; COMPUTE_PGM_RSRC2:TRAP_HANDLER: 0
; COMPUTE_PGM_RSRC2:TGID_X_EN: 1
; COMPUTE_PGM_RSRC2:TGID_Y_EN: 0
; COMPUTE_PGM_RSRC2:TGID_Z_EN: 0
; COMPUTE_PGM_RSRC2:TIDIG_COMP_CNT: 0
	.section	.text._ZN7rocprim17ROCPRIM_400000_NS6detail17trampoline_kernelINS0_14default_configENS1_21merge_config_selectorINS0_5tupleIJddEEENS0_10empty_typeEEEZNS1_10merge_implIS3_NS0_12zip_iteratorINS5_IJN6thrust23THRUST_200600_302600_NS6detail15normal_iteratorINSC_10device_ptrIKdEEEESI_EEEEESK_NSA_INS5_IJNSC_16discard_iteratorINSC_11use_defaultEEESN_EEEEEPS7_SQ_SQ_NSC_11hip_rocprim7__merge17predicate_wrapperIddNSC_4lessIdEEEEEE10hipError_tPvRmT0_T1_T2_T3_T4_T5_mmT6_P12ihipStream_tbEUlT_E_NS1_11comp_targetILNS1_3genE4ELNS1_11target_archE910ELNS1_3gpuE8ELNS1_3repE0EEENS1_30default_config_static_selectorELNS0_4arch9wavefront6targetE0EEEvS11_,"axG",@progbits,_ZN7rocprim17ROCPRIM_400000_NS6detail17trampoline_kernelINS0_14default_configENS1_21merge_config_selectorINS0_5tupleIJddEEENS0_10empty_typeEEEZNS1_10merge_implIS3_NS0_12zip_iteratorINS5_IJN6thrust23THRUST_200600_302600_NS6detail15normal_iteratorINSC_10device_ptrIKdEEEESI_EEEEESK_NSA_INS5_IJNSC_16discard_iteratorINSC_11use_defaultEEESN_EEEEEPS7_SQ_SQ_NSC_11hip_rocprim7__merge17predicate_wrapperIddNSC_4lessIdEEEEEE10hipError_tPvRmT0_T1_T2_T3_T4_T5_mmT6_P12ihipStream_tbEUlT_E_NS1_11comp_targetILNS1_3genE4ELNS1_11target_archE910ELNS1_3gpuE8ELNS1_3repE0EEENS1_30default_config_static_selectorELNS0_4arch9wavefront6targetE0EEEvS11_,comdat
	.protected	_ZN7rocprim17ROCPRIM_400000_NS6detail17trampoline_kernelINS0_14default_configENS1_21merge_config_selectorINS0_5tupleIJddEEENS0_10empty_typeEEEZNS1_10merge_implIS3_NS0_12zip_iteratorINS5_IJN6thrust23THRUST_200600_302600_NS6detail15normal_iteratorINSC_10device_ptrIKdEEEESI_EEEEESK_NSA_INS5_IJNSC_16discard_iteratorINSC_11use_defaultEEESN_EEEEEPS7_SQ_SQ_NSC_11hip_rocprim7__merge17predicate_wrapperIddNSC_4lessIdEEEEEE10hipError_tPvRmT0_T1_T2_T3_T4_T5_mmT6_P12ihipStream_tbEUlT_E_NS1_11comp_targetILNS1_3genE4ELNS1_11target_archE910ELNS1_3gpuE8ELNS1_3repE0EEENS1_30default_config_static_selectorELNS0_4arch9wavefront6targetE0EEEvS11_ ; -- Begin function _ZN7rocprim17ROCPRIM_400000_NS6detail17trampoline_kernelINS0_14default_configENS1_21merge_config_selectorINS0_5tupleIJddEEENS0_10empty_typeEEEZNS1_10merge_implIS3_NS0_12zip_iteratorINS5_IJN6thrust23THRUST_200600_302600_NS6detail15normal_iteratorINSC_10device_ptrIKdEEEESI_EEEEESK_NSA_INS5_IJNSC_16discard_iteratorINSC_11use_defaultEEESN_EEEEEPS7_SQ_SQ_NSC_11hip_rocprim7__merge17predicate_wrapperIddNSC_4lessIdEEEEEE10hipError_tPvRmT0_T1_T2_T3_T4_T5_mmT6_P12ihipStream_tbEUlT_E_NS1_11comp_targetILNS1_3genE4ELNS1_11target_archE910ELNS1_3gpuE8ELNS1_3repE0EEENS1_30default_config_static_selectorELNS0_4arch9wavefront6targetE0EEEvS11_
	.globl	_ZN7rocprim17ROCPRIM_400000_NS6detail17trampoline_kernelINS0_14default_configENS1_21merge_config_selectorINS0_5tupleIJddEEENS0_10empty_typeEEEZNS1_10merge_implIS3_NS0_12zip_iteratorINS5_IJN6thrust23THRUST_200600_302600_NS6detail15normal_iteratorINSC_10device_ptrIKdEEEESI_EEEEESK_NSA_INS5_IJNSC_16discard_iteratorINSC_11use_defaultEEESN_EEEEEPS7_SQ_SQ_NSC_11hip_rocprim7__merge17predicate_wrapperIddNSC_4lessIdEEEEEE10hipError_tPvRmT0_T1_T2_T3_T4_T5_mmT6_P12ihipStream_tbEUlT_E_NS1_11comp_targetILNS1_3genE4ELNS1_11target_archE910ELNS1_3gpuE8ELNS1_3repE0EEENS1_30default_config_static_selectorELNS0_4arch9wavefront6targetE0EEEvS11_
	.p2align	8
	.type	_ZN7rocprim17ROCPRIM_400000_NS6detail17trampoline_kernelINS0_14default_configENS1_21merge_config_selectorINS0_5tupleIJddEEENS0_10empty_typeEEEZNS1_10merge_implIS3_NS0_12zip_iteratorINS5_IJN6thrust23THRUST_200600_302600_NS6detail15normal_iteratorINSC_10device_ptrIKdEEEESI_EEEEESK_NSA_INS5_IJNSC_16discard_iteratorINSC_11use_defaultEEESN_EEEEEPS7_SQ_SQ_NSC_11hip_rocprim7__merge17predicate_wrapperIddNSC_4lessIdEEEEEE10hipError_tPvRmT0_T1_T2_T3_T4_T5_mmT6_P12ihipStream_tbEUlT_E_NS1_11comp_targetILNS1_3genE4ELNS1_11target_archE910ELNS1_3gpuE8ELNS1_3repE0EEENS1_30default_config_static_selectorELNS0_4arch9wavefront6targetE0EEEvS11_,@function
_ZN7rocprim17ROCPRIM_400000_NS6detail17trampoline_kernelINS0_14default_configENS1_21merge_config_selectorINS0_5tupleIJddEEENS0_10empty_typeEEEZNS1_10merge_implIS3_NS0_12zip_iteratorINS5_IJN6thrust23THRUST_200600_302600_NS6detail15normal_iteratorINSC_10device_ptrIKdEEEESI_EEEEESK_NSA_INS5_IJNSC_16discard_iteratorINSC_11use_defaultEEESN_EEEEEPS7_SQ_SQ_NSC_11hip_rocprim7__merge17predicate_wrapperIddNSC_4lessIdEEEEEE10hipError_tPvRmT0_T1_T2_T3_T4_T5_mmT6_P12ihipStream_tbEUlT_E_NS1_11comp_targetILNS1_3genE4ELNS1_11target_archE910ELNS1_3gpuE8ELNS1_3repE0EEENS1_30default_config_static_selectorELNS0_4arch9wavefront6targetE0EEEvS11_: ; @_ZN7rocprim17ROCPRIM_400000_NS6detail17trampoline_kernelINS0_14default_configENS1_21merge_config_selectorINS0_5tupleIJddEEENS0_10empty_typeEEEZNS1_10merge_implIS3_NS0_12zip_iteratorINS5_IJN6thrust23THRUST_200600_302600_NS6detail15normal_iteratorINSC_10device_ptrIKdEEEESI_EEEEESK_NSA_INS5_IJNSC_16discard_iteratorINSC_11use_defaultEEESN_EEEEEPS7_SQ_SQ_NSC_11hip_rocprim7__merge17predicate_wrapperIddNSC_4lessIdEEEEEE10hipError_tPvRmT0_T1_T2_T3_T4_T5_mmT6_P12ihipStream_tbEUlT_E_NS1_11comp_targetILNS1_3genE4ELNS1_11target_archE910ELNS1_3gpuE8ELNS1_3repE0EEENS1_30default_config_static_selectorELNS0_4arch9wavefront6targetE0EEEvS11_
; %bb.0:
	.section	.rodata,"a",@progbits
	.p2align	6, 0x0
	.amdhsa_kernel _ZN7rocprim17ROCPRIM_400000_NS6detail17trampoline_kernelINS0_14default_configENS1_21merge_config_selectorINS0_5tupleIJddEEENS0_10empty_typeEEEZNS1_10merge_implIS3_NS0_12zip_iteratorINS5_IJN6thrust23THRUST_200600_302600_NS6detail15normal_iteratorINSC_10device_ptrIKdEEEESI_EEEEESK_NSA_INS5_IJNSC_16discard_iteratorINSC_11use_defaultEEESN_EEEEEPS7_SQ_SQ_NSC_11hip_rocprim7__merge17predicate_wrapperIddNSC_4lessIdEEEEEE10hipError_tPvRmT0_T1_T2_T3_T4_T5_mmT6_P12ihipStream_tbEUlT_E_NS1_11comp_targetILNS1_3genE4ELNS1_11target_archE910ELNS1_3gpuE8ELNS1_3repE0EEENS1_30default_config_static_selectorELNS0_4arch9wavefront6targetE0EEEvS11_
		.amdhsa_group_segment_fixed_size 0
		.amdhsa_private_segment_fixed_size 0
		.amdhsa_kernarg_size 64
		.amdhsa_user_sgpr_count 6
		.amdhsa_user_sgpr_private_segment_buffer 1
		.amdhsa_user_sgpr_dispatch_ptr 0
		.amdhsa_user_sgpr_queue_ptr 0
		.amdhsa_user_sgpr_kernarg_segment_ptr 1
		.amdhsa_user_sgpr_dispatch_id 0
		.amdhsa_user_sgpr_flat_scratch_init 0
		.amdhsa_user_sgpr_private_segment_size 0
		.amdhsa_wavefront_size32 1
		.amdhsa_uses_dynamic_stack 0
		.amdhsa_system_sgpr_private_segment_wavefront_offset 0
		.amdhsa_system_sgpr_workgroup_id_x 1
		.amdhsa_system_sgpr_workgroup_id_y 0
		.amdhsa_system_sgpr_workgroup_id_z 0
		.amdhsa_system_sgpr_workgroup_info 0
		.amdhsa_system_vgpr_workitem_id 0
		.amdhsa_next_free_vgpr 1
		.amdhsa_next_free_sgpr 1
		.amdhsa_reserve_vcc 0
		.amdhsa_reserve_flat_scratch 0
		.amdhsa_float_round_mode_32 0
		.amdhsa_float_round_mode_16_64 0
		.amdhsa_float_denorm_mode_32 3
		.amdhsa_float_denorm_mode_16_64 3
		.amdhsa_dx10_clamp 1
		.amdhsa_ieee_mode 1
		.amdhsa_fp16_overflow 0
		.amdhsa_workgroup_processor_mode 1
		.amdhsa_memory_ordered 1
		.amdhsa_forward_progress 1
		.amdhsa_shared_vgpr_count 0
		.amdhsa_exception_fp_ieee_invalid_op 0
		.amdhsa_exception_fp_denorm_src 0
		.amdhsa_exception_fp_ieee_div_zero 0
		.amdhsa_exception_fp_ieee_overflow 0
		.amdhsa_exception_fp_ieee_underflow 0
		.amdhsa_exception_fp_ieee_inexact 0
		.amdhsa_exception_int_div_zero 0
	.end_amdhsa_kernel
	.section	.text._ZN7rocprim17ROCPRIM_400000_NS6detail17trampoline_kernelINS0_14default_configENS1_21merge_config_selectorINS0_5tupleIJddEEENS0_10empty_typeEEEZNS1_10merge_implIS3_NS0_12zip_iteratorINS5_IJN6thrust23THRUST_200600_302600_NS6detail15normal_iteratorINSC_10device_ptrIKdEEEESI_EEEEESK_NSA_INS5_IJNSC_16discard_iteratorINSC_11use_defaultEEESN_EEEEEPS7_SQ_SQ_NSC_11hip_rocprim7__merge17predicate_wrapperIddNSC_4lessIdEEEEEE10hipError_tPvRmT0_T1_T2_T3_T4_T5_mmT6_P12ihipStream_tbEUlT_E_NS1_11comp_targetILNS1_3genE4ELNS1_11target_archE910ELNS1_3gpuE8ELNS1_3repE0EEENS1_30default_config_static_selectorELNS0_4arch9wavefront6targetE0EEEvS11_,"axG",@progbits,_ZN7rocprim17ROCPRIM_400000_NS6detail17trampoline_kernelINS0_14default_configENS1_21merge_config_selectorINS0_5tupleIJddEEENS0_10empty_typeEEEZNS1_10merge_implIS3_NS0_12zip_iteratorINS5_IJN6thrust23THRUST_200600_302600_NS6detail15normal_iteratorINSC_10device_ptrIKdEEEESI_EEEEESK_NSA_INS5_IJNSC_16discard_iteratorINSC_11use_defaultEEESN_EEEEEPS7_SQ_SQ_NSC_11hip_rocprim7__merge17predicate_wrapperIddNSC_4lessIdEEEEEE10hipError_tPvRmT0_T1_T2_T3_T4_T5_mmT6_P12ihipStream_tbEUlT_E_NS1_11comp_targetILNS1_3genE4ELNS1_11target_archE910ELNS1_3gpuE8ELNS1_3repE0EEENS1_30default_config_static_selectorELNS0_4arch9wavefront6targetE0EEEvS11_,comdat
.Lfunc_end481:
	.size	_ZN7rocprim17ROCPRIM_400000_NS6detail17trampoline_kernelINS0_14default_configENS1_21merge_config_selectorINS0_5tupleIJddEEENS0_10empty_typeEEEZNS1_10merge_implIS3_NS0_12zip_iteratorINS5_IJN6thrust23THRUST_200600_302600_NS6detail15normal_iteratorINSC_10device_ptrIKdEEEESI_EEEEESK_NSA_INS5_IJNSC_16discard_iteratorINSC_11use_defaultEEESN_EEEEEPS7_SQ_SQ_NSC_11hip_rocprim7__merge17predicate_wrapperIddNSC_4lessIdEEEEEE10hipError_tPvRmT0_T1_T2_T3_T4_T5_mmT6_P12ihipStream_tbEUlT_E_NS1_11comp_targetILNS1_3genE4ELNS1_11target_archE910ELNS1_3gpuE8ELNS1_3repE0EEENS1_30default_config_static_selectorELNS0_4arch9wavefront6targetE0EEEvS11_, .Lfunc_end481-_ZN7rocprim17ROCPRIM_400000_NS6detail17trampoline_kernelINS0_14default_configENS1_21merge_config_selectorINS0_5tupleIJddEEENS0_10empty_typeEEEZNS1_10merge_implIS3_NS0_12zip_iteratorINS5_IJN6thrust23THRUST_200600_302600_NS6detail15normal_iteratorINSC_10device_ptrIKdEEEESI_EEEEESK_NSA_INS5_IJNSC_16discard_iteratorINSC_11use_defaultEEESN_EEEEEPS7_SQ_SQ_NSC_11hip_rocprim7__merge17predicate_wrapperIddNSC_4lessIdEEEEEE10hipError_tPvRmT0_T1_T2_T3_T4_T5_mmT6_P12ihipStream_tbEUlT_E_NS1_11comp_targetILNS1_3genE4ELNS1_11target_archE910ELNS1_3gpuE8ELNS1_3repE0EEENS1_30default_config_static_selectorELNS0_4arch9wavefront6targetE0EEEvS11_
                                        ; -- End function
	.set _ZN7rocprim17ROCPRIM_400000_NS6detail17trampoline_kernelINS0_14default_configENS1_21merge_config_selectorINS0_5tupleIJddEEENS0_10empty_typeEEEZNS1_10merge_implIS3_NS0_12zip_iteratorINS5_IJN6thrust23THRUST_200600_302600_NS6detail15normal_iteratorINSC_10device_ptrIKdEEEESI_EEEEESK_NSA_INS5_IJNSC_16discard_iteratorINSC_11use_defaultEEESN_EEEEEPS7_SQ_SQ_NSC_11hip_rocprim7__merge17predicate_wrapperIddNSC_4lessIdEEEEEE10hipError_tPvRmT0_T1_T2_T3_T4_T5_mmT6_P12ihipStream_tbEUlT_E_NS1_11comp_targetILNS1_3genE4ELNS1_11target_archE910ELNS1_3gpuE8ELNS1_3repE0EEENS1_30default_config_static_selectorELNS0_4arch9wavefront6targetE0EEEvS11_.num_vgpr, 0
	.set _ZN7rocprim17ROCPRIM_400000_NS6detail17trampoline_kernelINS0_14default_configENS1_21merge_config_selectorINS0_5tupleIJddEEENS0_10empty_typeEEEZNS1_10merge_implIS3_NS0_12zip_iteratorINS5_IJN6thrust23THRUST_200600_302600_NS6detail15normal_iteratorINSC_10device_ptrIKdEEEESI_EEEEESK_NSA_INS5_IJNSC_16discard_iteratorINSC_11use_defaultEEESN_EEEEEPS7_SQ_SQ_NSC_11hip_rocprim7__merge17predicate_wrapperIddNSC_4lessIdEEEEEE10hipError_tPvRmT0_T1_T2_T3_T4_T5_mmT6_P12ihipStream_tbEUlT_E_NS1_11comp_targetILNS1_3genE4ELNS1_11target_archE910ELNS1_3gpuE8ELNS1_3repE0EEENS1_30default_config_static_selectorELNS0_4arch9wavefront6targetE0EEEvS11_.num_agpr, 0
	.set _ZN7rocprim17ROCPRIM_400000_NS6detail17trampoline_kernelINS0_14default_configENS1_21merge_config_selectorINS0_5tupleIJddEEENS0_10empty_typeEEEZNS1_10merge_implIS3_NS0_12zip_iteratorINS5_IJN6thrust23THRUST_200600_302600_NS6detail15normal_iteratorINSC_10device_ptrIKdEEEESI_EEEEESK_NSA_INS5_IJNSC_16discard_iteratorINSC_11use_defaultEEESN_EEEEEPS7_SQ_SQ_NSC_11hip_rocprim7__merge17predicate_wrapperIddNSC_4lessIdEEEEEE10hipError_tPvRmT0_T1_T2_T3_T4_T5_mmT6_P12ihipStream_tbEUlT_E_NS1_11comp_targetILNS1_3genE4ELNS1_11target_archE910ELNS1_3gpuE8ELNS1_3repE0EEENS1_30default_config_static_selectorELNS0_4arch9wavefront6targetE0EEEvS11_.numbered_sgpr, 0
	.set _ZN7rocprim17ROCPRIM_400000_NS6detail17trampoline_kernelINS0_14default_configENS1_21merge_config_selectorINS0_5tupleIJddEEENS0_10empty_typeEEEZNS1_10merge_implIS3_NS0_12zip_iteratorINS5_IJN6thrust23THRUST_200600_302600_NS6detail15normal_iteratorINSC_10device_ptrIKdEEEESI_EEEEESK_NSA_INS5_IJNSC_16discard_iteratorINSC_11use_defaultEEESN_EEEEEPS7_SQ_SQ_NSC_11hip_rocprim7__merge17predicate_wrapperIddNSC_4lessIdEEEEEE10hipError_tPvRmT0_T1_T2_T3_T4_T5_mmT6_P12ihipStream_tbEUlT_E_NS1_11comp_targetILNS1_3genE4ELNS1_11target_archE910ELNS1_3gpuE8ELNS1_3repE0EEENS1_30default_config_static_selectorELNS0_4arch9wavefront6targetE0EEEvS11_.num_named_barrier, 0
	.set _ZN7rocprim17ROCPRIM_400000_NS6detail17trampoline_kernelINS0_14default_configENS1_21merge_config_selectorINS0_5tupleIJddEEENS0_10empty_typeEEEZNS1_10merge_implIS3_NS0_12zip_iteratorINS5_IJN6thrust23THRUST_200600_302600_NS6detail15normal_iteratorINSC_10device_ptrIKdEEEESI_EEEEESK_NSA_INS5_IJNSC_16discard_iteratorINSC_11use_defaultEEESN_EEEEEPS7_SQ_SQ_NSC_11hip_rocprim7__merge17predicate_wrapperIddNSC_4lessIdEEEEEE10hipError_tPvRmT0_T1_T2_T3_T4_T5_mmT6_P12ihipStream_tbEUlT_E_NS1_11comp_targetILNS1_3genE4ELNS1_11target_archE910ELNS1_3gpuE8ELNS1_3repE0EEENS1_30default_config_static_selectorELNS0_4arch9wavefront6targetE0EEEvS11_.private_seg_size, 0
	.set _ZN7rocprim17ROCPRIM_400000_NS6detail17trampoline_kernelINS0_14default_configENS1_21merge_config_selectorINS0_5tupleIJddEEENS0_10empty_typeEEEZNS1_10merge_implIS3_NS0_12zip_iteratorINS5_IJN6thrust23THRUST_200600_302600_NS6detail15normal_iteratorINSC_10device_ptrIKdEEEESI_EEEEESK_NSA_INS5_IJNSC_16discard_iteratorINSC_11use_defaultEEESN_EEEEEPS7_SQ_SQ_NSC_11hip_rocprim7__merge17predicate_wrapperIddNSC_4lessIdEEEEEE10hipError_tPvRmT0_T1_T2_T3_T4_T5_mmT6_P12ihipStream_tbEUlT_E_NS1_11comp_targetILNS1_3genE4ELNS1_11target_archE910ELNS1_3gpuE8ELNS1_3repE0EEENS1_30default_config_static_selectorELNS0_4arch9wavefront6targetE0EEEvS11_.uses_vcc, 0
	.set _ZN7rocprim17ROCPRIM_400000_NS6detail17trampoline_kernelINS0_14default_configENS1_21merge_config_selectorINS0_5tupleIJddEEENS0_10empty_typeEEEZNS1_10merge_implIS3_NS0_12zip_iteratorINS5_IJN6thrust23THRUST_200600_302600_NS6detail15normal_iteratorINSC_10device_ptrIKdEEEESI_EEEEESK_NSA_INS5_IJNSC_16discard_iteratorINSC_11use_defaultEEESN_EEEEEPS7_SQ_SQ_NSC_11hip_rocprim7__merge17predicate_wrapperIddNSC_4lessIdEEEEEE10hipError_tPvRmT0_T1_T2_T3_T4_T5_mmT6_P12ihipStream_tbEUlT_E_NS1_11comp_targetILNS1_3genE4ELNS1_11target_archE910ELNS1_3gpuE8ELNS1_3repE0EEENS1_30default_config_static_selectorELNS0_4arch9wavefront6targetE0EEEvS11_.uses_flat_scratch, 0
	.set _ZN7rocprim17ROCPRIM_400000_NS6detail17trampoline_kernelINS0_14default_configENS1_21merge_config_selectorINS0_5tupleIJddEEENS0_10empty_typeEEEZNS1_10merge_implIS3_NS0_12zip_iteratorINS5_IJN6thrust23THRUST_200600_302600_NS6detail15normal_iteratorINSC_10device_ptrIKdEEEESI_EEEEESK_NSA_INS5_IJNSC_16discard_iteratorINSC_11use_defaultEEESN_EEEEEPS7_SQ_SQ_NSC_11hip_rocprim7__merge17predicate_wrapperIddNSC_4lessIdEEEEEE10hipError_tPvRmT0_T1_T2_T3_T4_T5_mmT6_P12ihipStream_tbEUlT_E_NS1_11comp_targetILNS1_3genE4ELNS1_11target_archE910ELNS1_3gpuE8ELNS1_3repE0EEENS1_30default_config_static_selectorELNS0_4arch9wavefront6targetE0EEEvS11_.has_dyn_sized_stack, 0
	.set _ZN7rocprim17ROCPRIM_400000_NS6detail17trampoline_kernelINS0_14default_configENS1_21merge_config_selectorINS0_5tupleIJddEEENS0_10empty_typeEEEZNS1_10merge_implIS3_NS0_12zip_iteratorINS5_IJN6thrust23THRUST_200600_302600_NS6detail15normal_iteratorINSC_10device_ptrIKdEEEESI_EEEEESK_NSA_INS5_IJNSC_16discard_iteratorINSC_11use_defaultEEESN_EEEEEPS7_SQ_SQ_NSC_11hip_rocprim7__merge17predicate_wrapperIddNSC_4lessIdEEEEEE10hipError_tPvRmT0_T1_T2_T3_T4_T5_mmT6_P12ihipStream_tbEUlT_E_NS1_11comp_targetILNS1_3genE4ELNS1_11target_archE910ELNS1_3gpuE8ELNS1_3repE0EEENS1_30default_config_static_selectorELNS0_4arch9wavefront6targetE0EEEvS11_.has_recursion, 0
	.set _ZN7rocprim17ROCPRIM_400000_NS6detail17trampoline_kernelINS0_14default_configENS1_21merge_config_selectorINS0_5tupleIJddEEENS0_10empty_typeEEEZNS1_10merge_implIS3_NS0_12zip_iteratorINS5_IJN6thrust23THRUST_200600_302600_NS6detail15normal_iteratorINSC_10device_ptrIKdEEEESI_EEEEESK_NSA_INS5_IJNSC_16discard_iteratorINSC_11use_defaultEEESN_EEEEEPS7_SQ_SQ_NSC_11hip_rocprim7__merge17predicate_wrapperIddNSC_4lessIdEEEEEE10hipError_tPvRmT0_T1_T2_T3_T4_T5_mmT6_P12ihipStream_tbEUlT_E_NS1_11comp_targetILNS1_3genE4ELNS1_11target_archE910ELNS1_3gpuE8ELNS1_3repE0EEENS1_30default_config_static_selectorELNS0_4arch9wavefront6targetE0EEEvS11_.has_indirect_call, 0
	.section	.AMDGPU.csdata,"",@progbits
; Kernel info:
; codeLenInByte = 0
; TotalNumSgprs: 0
; NumVgprs: 0
; ScratchSize: 0
; MemoryBound: 0
; FloatMode: 240
; IeeeMode: 1
; LDSByteSize: 0 bytes/workgroup (compile time only)
; SGPRBlocks: 0
; VGPRBlocks: 0
; NumSGPRsForWavesPerEU: 1
; NumVGPRsForWavesPerEU: 1
; Occupancy: 16
; WaveLimiterHint : 0
; COMPUTE_PGM_RSRC2:SCRATCH_EN: 0
; COMPUTE_PGM_RSRC2:USER_SGPR: 6
; COMPUTE_PGM_RSRC2:TRAP_HANDLER: 0
; COMPUTE_PGM_RSRC2:TGID_X_EN: 1
; COMPUTE_PGM_RSRC2:TGID_Y_EN: 0
; COMPUTE_PGM_RSRC2:TGID_Z_EN: 0
; COMPUTE_PGM_RSRC2:TIDIG_COMP_CNT: 0
	.section	.text._ZN7rocprim17ROCPRIM_400000_NS6detail17trampoline_kernelINS0_14default_configENS1_21merge_config_selectorINS0_5tupleIJddEEENS0_10empty_typeEEEZNS1_10merge_implIS3_NS0_12zip_iteratorINS5_IJN6thrust23THRUST_200600_302600_NS6detail15normal_iteratorINSC_10device_ptrIKdEEEESI_EEEEESK_NSA_INS5_IJNSC_16discard_iteratorINSC_11use_defaultEEESN_EEEEEPS7_SQ_SQ_NSC_11hip_rocprim7__merge17predicate_wrapperIddNSC_4lessIdEEEEEE10hipError_tPvRmT0_T1_T2_T3_T4_T5_mmT6_P12ihipStream_tbEUlT_E_NS1_11comp_targetILNS1_3genE3ELNS1_11target_archE908ELNS1_3gpuE7ELNS1_3repE0EEENS1_30default_config_static_selectorELNS0_4arch9wavefront6targetE0EEEvS11_,"axG",@progbits,_ZN7rocprim17ROCPRIM_400000_NS6detail17trampoline_kernelINS0_14default_configENS1_21merge_config_selectorINS0_5tupleIJddEEENS0_10empty_typeEEEZNS1_10merge_implIS3_NS0_12zip_iteratorINS5_IJN6thrust23THRUST_200600_302600_NS6detail15normal_iteratorINSC_10device_ptrIKdEEEESI_EEEEESK_NSA_INS5_IJNSC_16discard_iteratorINSC_11use_defaultEEESN_EEEEEPS7_SQ_SQ_NSC_11hip_rocprim7__merge17predicate_wrapperIddNSC_4lessIdEEEEEE10hipError_tPvRmT0_T1_T2_T3_T4_T5_mmT6_P12ihipStream_tbEUlT_E_NS1_11comp_targetILNS1_3genE3ELNS1_11target_archE908ELNS1_3gpuE7ELNS1_3repE0EEENS1_30default_config_static_selectorELNS0_4arch9wavefront6targetE0EEEvS11_,comdat
	.protected	_ZN7rocprim17ROCPRIM_400000_NS6detail17trampoline_kernelINS0_14default_configENS1_21merge_config_selectorINS0_5tupleIJddEEENS0_10empty_typeEEEZNS1_10merge_implIS3_NS0_12zip_iteratorINS5_IJN6thrust23THRUST_200600_302600_NS6detail15normal_iteratorINSC_10device_ptrIKdEEEESI_EEEEESK_NSA_INS5_IJNSC_16discard_iteratorINSC_11use_defaultEEESN_EEEEEPS7_SQ_SQ_NSC_11hip_rocprim7__merge17predicate_wrapperIddNSC_4lessIdEEEEEE10hipError_tPvRmT0_T1_T2_T3_T4_T5_mmT6_P12ihipStream_tbEUlT_E_NS1_11comp_targetILNS1_3genE3ELNS1_11target_archE908ELNS1_3gpuE7ELNS1_3repE0EEENS1_30default_config_static_selectorELNS0_4arch9wavefront6targetE0EEEvS11_ ; -- Begin function _ZN7rocprim17ROCPRIM_400000_NS6detail17trampoline_kernelINS0_14default_configENS1_21merge_config_selectorINS0_5tupleIJddEEENS0_10empty_typeEEEZNS1_10merge_implIS3_NS0_12zip_iteratorINS5_IJN6thrust23THRUST_200600_302600_NS6detail15normal_iteratorINSC_10device_ptrIKdEEEESI_EEEEESK_NSA_INS5_IJNSC_16discard_iteratorINSC_11use_defaultEEESN_EEEEEPS7_SQ_SQ_NSC_11hip_rocprim7__merge17predicate_wrapperIddNSC_4lessIdEEEEEE10hipError_tPvRmT0_T1_T2_T3_T4_T5_mmT6_P12ihipStream_tbEUlT_E_NS1_11comp_targetILNS1_3genE3ELNS1_11target_archE908ELNS1_3gpuE7ELNS1_3repE0EEENS1_30default_config_static_selectorELNS0_4arch9wavefront6targetE0EEEvS11_
	.globl	_ZN7rocprim17ROCPRIM_400000_NS6detail17trampoline_kernelINS0_14default_configENS1_21merge_config_selectorINS0_5tupleIJddEEENS0_10empty_typeEEEZNS1_10merge_implIS3_NS0_12zip_iteratorINS5_IJN6thrust23THRUST_200600_302600_NS6detail15normal_iteratorINSC_10device_ptrIKdEEEESI_EEEEESK_NSA_INS5_IJNSC_16discard_iteratorINSC_11use_defaultEEESN_EEEEEPS7_SQ_SQ_NSC_11hip_rocprim7__merge17predicate_wrapperIddNSC_4lessIdEEEEEE10hipError_tPvRmT0_T1_T2_T3_T4_T5_mmT6_P12ihipStream_tbEUlT_E_NS1_11comp_targetILNS1_3genE3ELNS1_11target_archE908ELNS1_3gpuE7ELNS1_3repE0EEENS1_30default_config_static_selectorELNS0_4arch9wavefront6targetE0EEEvS11_
	.p2align	8
	.type	_ZN7rocprim17ROCPRIM_400000_NS6detail17trampoline_kernelINS0_14default_configENS1_21merge_config_selectorINS0_5tupleIJddEEENS0_10empty_typeEEEZNS1_10merge_implIS3_NS0_12zip_iteratorINS5_IJN6thrust23THRUST_200600_302600_NS6detail15normal_iteratorINSC_10device_ptrIKdEEEESI_EEEEESK_NSA_INS5_IJNSC_16discard_iteratorINSC_11use_defaultEEESN_EEEEEPS7_SQ_SQ_NSC_11hip_rocprim7__merge17predicate_wrapperIddNSC_4lessIdEEEEEE10hipError_tPvRmT0_T1_T2_T3_T4_T5_mmT6_P12ihipStream_tbEUlT_E_NS1_11comp_targetILNS1_3genE3ELNS1_11target_archE908ELNS1_3gpuE7ELNS1_3repE0EEENS1_30default_config_static_selectorELNS0_4arch9wavefront6targetE0EEEvS11_,@function
_ZN7rocprim17ROCPRIM_400000_NS6detail17trampoline_kernelINS0_14default_configENS1_21merge_config_selectorINS0_5tupleIJddEEENS0_10empty_typeEEEZNS1_10merge_implIS3_NS0_12zip_iteratorINS5_IJN6thrust23THRUST_200600_302600_NS6detail15normal_iteratorINSC_10device_ptrIKdEEEESI_EEEEESK_NSA_INS5_IJNSC_16discard_iteratorINSC_11use_defaultEEESN_EEEEEPS7_SQ_SQ_NSC_11hip_rocprim7__merge17predicate_wrapperIddNSC_4lessIdEEEEEE10hipError_tPvRmT0_T1_T2_T3_T4_T5_mmT6_P12ihipStream_tbEUlT_E_NS1_11comp_targetILNS1_3genE3ELNS1_11target_archE908ELNS1_3gpuE7ELNS1_3repE0EEENS1_30default_config_static_selectorELNS0_4arch9wavefront6targetE0EEEvS11_: ; @_ZN7rocprim17ROCPRIM_400000_NS6detail17trampoline_kernelINS0_14default_configENS1_21merge_config_selectorINS0_5tupleIJddEEENS0_10empty_typeEEEZNS1_10merge_implIS3_NS0_12zip_iteratorINS5_IJN6thrust23THRUST_200600_302600_NS6detail15normal_iteratorINSC_10device_ptrIKdEEEESI_EEEEESK_NSA_INS5_IJNSC_16discard_iteratorINSC_11use_defaultEEESN_EEEEEPS7_SQ_SQ_NSC_11hip_rocprim7__merge17predicate_wrapperIddNSC_4lessIdEEEEEE10hipError_tPvRmT0_T1_T2_T3_T4_T5_mmT6_P12ihipStream_tbEUlT_E_NS1_11comp_targetILNS1_3genE3ELNS1_11target_archE908ELNS1_3gpuE7ELNS1_3repE0EEENS1_30default_config_static_selectorELNS0_4arch9wavefront6targetE0EEEvS11_
; %bb.0:
	.section	.rodata,"a",@progbits
	.p2align	6, 0x0
	.amdhsa_kernel _ZN7rocprim17ROCPRIM_400000_NS6detail17trampoline_kernelINS0_14default_configENS1_21merge_config_selectorINS0_5tupleIJddEEENS0_10empty_typeEEEZNS1_10merge_implIS3_NS0_12zip_iteratorINS5_IJN6thrust23THRUST_200600_302600_NS6detail15normal_iteratorINSC_10device_ptrIKdEEEESI_EEEEESK_NSA_INS5_IJNSC_16discard_iteratorINSC_11use_defaultEEESN_EEEEEPS7_SQ_SQ_NSC_11hip_rocprim7__merge17predicate_wrapperIddNSC_4lessIdEEEEEE10hipError_tPvRmT0_T1_T2_T3_T4_T5_mmT6_P12ihipStream_tbEUlT_E_NS1_11comp_targetILNS1_3genE3ELNS1_11target_archE908ELNS1_3gpuE7ELNS1_3repE0EEENS1_30default_config_static_selectorELNS0_4arch9wavefront6targetE0EEEvS11_
		.amdhsa_group_segment_fixed_size 0
		.amdhsa_private_segment_fixed_size 0
		.amdhsa_kernarg_size 64
		.amdhsa_user_sgpr_count 6
		.amdhsa_user_sgpr_private_segment_buffer 1
		.amdhsa_user_sgpr_dispatch_ptr 0
		.amdhsa_user_sgpr_queue_ptr 0
		.amdhsa_user_sgpr_kernarg_segment_ptr 1
		.amdhsa_user_sgpr_dispatch_id 0
		.amdhsa_user_sgpr_flat_scratch_init 0
		.amdhsa_user_sgpr_private_segment_size 0
		.amdhsa_wavefront_size32 1
		.amdhsa_uses_dynamic_stack 0
		.amdhsa_system_sgpr_private_segment_wavefront_offset 0
		.amdhsa_system_sgpr_workgroup_id_x 1
		.amdhsa_system_sgpr_workgroup_id_y 0
		.amdhsa_system_sgpr_workgroup_id_z 0
		.amdhsa_system_sgpr_workgroup_info 0
		.amdhsa_system_vgpr_workitem_id 0
		.amdhsa_next_free_vgpr 1
		.amdhsa_next_free_sgpr 1
		.amdhsa_reserve_vcc 0
		.amdhsa_reserve_flat_scratch 0
		.amdhsa_float_round_mode_32 0
		.amdhsa_float_round_mode_16_64 0
		.amdhsa_float_denorm_mode_32 3
		.amdhsa_float_denorm_mode_16_64 3
		.amdhsa_dx10_clamp 1
		.amdhsa_ieee_mode 1
		.amdhsa_fp16_overflow 0
		.amdhsa_workgroup_processor_mode 1
		.amdhsa_memory_ordered 1
		.amdhsa_forward_progress 1
		.amdhsa_shared_vgpr_count 0
		.amdhsa_exception_fp_ieee_invalid_op 0
		.amdhsa_exception_fp_denorm_src 0
		.amdhsa_exception_fp_ieee_div_zero 0
		.amdhsa_exception_fp_ieee_overflow 0
		.amdhsa_exception_fp_ieee_underflow 0
		.amdhsa_exception_fp_ieee_inexact 0
		.amdhsa_exception_int_div_zero 0
	.end_amdhsa_kernel
	.section	.text._ZN7rocprim17ROCPRIM_400000_NS6detail17trampoline_kernelINS0_14default_configENS1_21merge_config_selectorINS0_5tupleIJddEEENS0_10empty_typeEEEZNS1_10merge_implIS3_NS0_12zip_iteratorINS5_IJN6thrust23THRUST_200600_302600_NS6detail15normal_iteratorINSC_10device_ptrIKdEEEESI_EEEEESK_NSA_INS5_IJNSC_16discard_iteratorINSC_11use_defaultEEESN_EEEEEPS7_SQ_SQ_NSC_11hip_rocprim7__merge17predicate_wrapperIddNSC_4lessIdEEEEEE10hipError_tPvRmT0_T1_T2_T3_T4_T5_mmT6_P12ihipStream_tbEUlT_E_NS1_11comp_targetILNS1_3genE3ELNS1_11target_archE908ELNS1_3gpuE7ELNS1_3repE0EEENS1_30default_config_static_selectorELNS0_4arch9wavefront6targetE0EEEvS11_,"axG",@progbits,_ZN7rocprim17ROCPRIM_400000_NS6detail17trampoline_kernelINS0_14default_configENS1_21merge_config_selectorINS0_5tupleIJddEEENS0_10empty_typeEEEZNS1_10merge_implIS3_NS0_12zip_iteratorINS5_IJN6thrust23THRUST_200600_302600_NS6detail15normal_iteratorINSC_10device_ptrIKdEEEESI_EEEEESK_NSA_INS5_IJNSC_16discard_iteratorINSC_11use_defaultEEESN_EEEEEPS7_SQ_SQ_NSC_11hip_rocprim7__merge17predicate_wrapperIddNSC_4lessIdEEEEEE10hipError_tPvRmT0_T1_T2_T3_T4_T5_mmT6_P12ihipStream_tbEUlT_E_NS1_11comp_targetILNS1_3genE3ELNS1_11target_archE908ELNS1_3gpuE7ELNS1_3repE0EEENS1_30default_config_static_selectorELNS0_4arch9wavefront6targetE0EEEvS11_,comdat
.Lfunc_end482:
	.size	_ZN7rocprim17ROCPRIM_400000_NS6detail17trampoline_kernelINS0_14default_configENS1_21merge_config_selectorINS0_5tupleIJddEEENS0_10empty_typeEEEZNS1_10merge_implIS3_NS0_12zip_iteratorINS5_IJN6thrust23THRUST_200600_302600_NS6detail15normal_iteratorINSC_10device_ptrIKdEEEESI_EEEEESK_NSA_INS5_IJNSC_16discard_iteratorINSC_11use_defaultEEESN_EEEEEPS7_SQ_SQ_NSC_11hip_rocprim7__merge17predicate_wrapperIddNSC_4lessIdEEEEEE10hipError_tPvRmT0_T1_T2_T3_T4_T5_mmT6_P12ihipStream_tbEUlT_E_NS1_11comp_targetILNS1_3genE3ELNS1_11target_archE908ELNS1_3gpuE7ELNS1_3repE0EEENS1_30default_config_static_selectorELNS0_4arch9wavefront6targetE0EEEvS11_, .Lfunc_end482-_ZN7rocprim17ROCPRIM_400000_NS6detail17trampoline_kernelINS0_14default_configENS1_21merge_config_selectorINS0_5tupleIJddEEENS0_10empty_typeEEEZNS1_10merge_implIS3_NS0_12zip_iteratorINS5_IJN6thrust23THRUST_200600_302600_NS6detail15normal_iteratorINSC_10device_ptrIKdEEEESI_EEEEESK_NSA_INS5_IJNSC_16discard_iteratorINSC_11use_defaultEEESN_EEEEEPS7_SQ_SQ_NSC_11hip_rocprim7__merge17predicate_wrapperIddNSC_4lessIdEEEEEE10hipError_tPvRmT0_T1_T2_T3_T4_T5_mmT6_P12ihipStream_tbEUlT_E_NS1_11comp_targetILNS1_3genE3ELNS1_11target_archE908ELNS1_3gpuE7ELNS1_3repE0EEENS1_30default_config_static_selectorELNS0_4arch9wavefront6targetE0EEEvS11_
                                        ; -- End function
	.set _ZN7rocprim17ROCPRIM_400000_NS6detail17trampoline_kernelINS0_14default_configENS1_21merge_config_selectorINS0_5tupleIJddEEENS0_10empty_typeEEEZNS1_10merge_implIS3_NS0_12zip_iteratorINS5_IJN6thrust23THRUST_200600_302600_NS6detail15normal_iteratorINSC_10device_ptrIKdEEEESI_EEEEESK_NSA_INS5_IJNSC_16discard_iteratorINSC_11use_defaultEEESN_EEEEEPS7_SQ_SQ_NSC_11hip_rocprim7__merge17predicate_wrapperIddNSC_4lessIdEEEEEE10hipError_tPvRmT0_T1_T2_T3_T4_T5_mmT6_P12ihipStream_tbEUlT_E_NS1_11comp_targetILNS1_3genE3ELNS1_11target_archE908ELNS1_3gpuE7ELNS1_3repE0EEENS1_30default_config_static_selectorELNS0_4arch9wavefront6targetE0EEEvS11_.num_vgpr, 0
	.set _ZN7rocprim17ROCPRIM_400000_NS6detail17trampoline_kernelINS0_14default_configENS1_21merge_config_selectorINS0_5tupleIJddEEENS0_10empty_typeEEEZNS1_10merge_implIS3_NS0_12zip_iteratorINS5_IJN6thrust23THRUST_200600_302600_NS6detail15normal_iteratorINSC_10device_ptrIKdEEEESI_EEEEESK_NSA_INS5_IJNSC_16discard_iteratorINSC_11use_defaultEEESN_EEEEEPS7_SQ_SQ_NSC_11hip_rocprim7__merge17predicate_wrapperIddNSC_4lessIdEEEEEE10hipError_tPvRmT0_T1_T2_T3_T4_T5_mmT6_P12ihipStream_tbEUlT_E_NS1_11comp_targetILNS1_3genE3ELNS1_11target_archE908ELNS1_3gpuE7ELNS1_3repE0EEENS1_30default_config_static_selectorELNS0_4arch9wavefront6targetE0EEEvS11_.num_agpr, 0
	.set _ZN7rocprim17ROCPRIM_400000_NS6detail17trampoline_kernelINS0_14default_configENS1_21merge_config_selectorINS0_5tupleIJddEEENS0_10empty_typeEEEZNS1_10merge_implIS3_NS0_12zip_iteratorINS5_IJN6thrust23THRUST_200600_302600_NS6detail15normal_iteratorINSC_10device_ptrIKdEEEESI_EEEEESK_NSA_INS5_IJNSC_16discard_iteratorINSC_11use_defaultEEESN_EEEEEPS7_SQ_SQ_NSC_11hip_rocprim7__merge17predicate_wrapperIddNSC_4lessIdEEEEEE10hipError_tPvRmT0_T1_T2_T3_T4_T5_mmT6_P12ihipStream_tbEUlT_E_NS1_11comp_targetILNS1_3genE3ELNS1_11target_archE908ELNS1_3gpuE7ELNS1_3repE0EEENS1_30default_config_static_selectorELNS0_4arch9wavefront6targetE0EEEvS11_.numbered_sgpr, 0
	.set _ZN7rocprim17ROCPRIM_400000_NS6detail17trampoline_kernelINS0_14default_configENS1_21merge_config_selectorINS0_5tupleIJddEEENS0_10empty_typeEEEZNS1_10merge_implIS3_NS0_12zip_iteratorINS5_IJN6thrust23THRUST_200600_302600_NS6detail15normal_iteratorINSC_10device_ptrIKdEEEESI_EEEEESK_NSA_INS5_IJNSC_16discard_iteratorINSC_11use_defaultEEESN_EEEEEPS7_SQ_SQ_NSC_11hip_rocprim7__merge17predicate_wrapperIddNSC_4lessIdEEEEEE10hipError_tPvRmT0_T1_T2_T3_T4_T5_mmT6_P12ihipStream_tbEUlT_E_NS1_11comp_targetILNS1_3genE3ELNS1_11target_archE908ELNS1_3gpuE7ELNS1_3repE0EEENS1_30default_config_static_selectorELNS0_4arch9wavefront6targetE0EEEvS11_.num_named_barrier, 0
	.set _ZN7rocprim17ROCPRIM_400000_NS6detail17trampoline_kernelINS0_14default_configENS1_21merge_config_selectorINS0_5tupleIJddEEENS0_10empty_typeEEEZNS1_10merge_implIS3_NS0_12zip_iteratorINS5_IJN6thrust23THRUST_200600_302600_NS6detail15normal_iteratorINSC_10device_ptrIKdEEEESI_EEEEESK_NSA_INS5_IJNSC_16discard_iteratorINSC_11use_defaultEEESN_EEEEEPS7_SQ_SQ_NSC_11hip_rocprim7__merge17predicate_wrapperIddNSC_4lessIdEEEEEE10hipError_tPvRmT0_T1_T2_T3_T4_T5_mmT6_P12ihipStream_tbEUlT_E_NS1_11comp_targetILNS1_3genE3ELNS1_11target_archE908ELNS1_3gpuE7ELNS1_3repE0EEENS1_30default_config_static_selectorELNS0_4arch9wavefront6targetE0EEEvS11_.private_seg_size, 0
	.set _ZN7rocprim17ROCPRIM_400000_NS6detail17trampoline_kernelINS0_14default_configENS1_21merge_config_selectorINS0_5tupleIJddEEENS0_10empty_typeEEEZNS1_10merge_implIS3_NS0_12zip_iteratorINS5_IJN6thrust23THRUST_200600_302600_NS6detail15normal_iteratorINSC_10device_ptrIKdEEEESI_EEEEESK_NSA_INS5_IJNSC_16discard_iteratorINSC_11use_defaultEEESN_EEEEEPS7_SQ_SQ_NSC_11hip_rocprim7__merge17predicate_wrapperIddNSC_4lessIdEEEEEE10hipError_tPvRmT0_T1_T2_T3_T4_T5_mmT6_P12ihipStream_tbEUlT_E_NS1_11comp_targetILNS1_3genE3ELNS1_11target_archE908ELNS1_3gpuE7ELNS1_3repE0EEENS1_30default_config_static_selectorELNS0_4arch9wavefront6targetE0EEEvS11_.uses_vcc, 0
	.set _ZN7rocprim17ROCPRIM_400000_NS6detail17trampoline_kernelINS0_14default_configENS1_21merge_config_selectorINS0_5tupleIJddEEENS0_10empty_typeEEEZNS1_10merge_implIS3_NS0_12zip_iteratorINS5_IJN6thrust23THRUST_200600_302600_NS6detail15normal_iteratorINSC_10device_ptrIKdEEEESI_EEEEESK_NSA_INS5_IJNSC_16discard_iteratorINSC_11use_defaultEEESN_EEEEEPS7_SQ_SQ_NSC_11hip_rocprim7__merge17predicate_wrapperIddNSC_4lessIdEEEEEE10hipError_tPvRmT0_T1_T2_T3_T4_T5_mmT6_P12ihipStream_tbEUlT_E_NS1_11comp_targetILNS1_3genE3ELNS1_11target_archE908ELNS1_3gpuE7ELNS1_3repE0EEENS1_30default_config_static_selectorELNS0_4arch9wavefront6targetE0EEEvS11_.uses_flat_scratch, 0
	.set _ZN7rocprim17ROCPRIM_400000_NS6detail17trampoline_kernelINS0_14default_configENS1_21merge_config_selectorINS0_5tupleIJddEEENS0_10empty_typeEEEZNS1_10merge_implIS3_NS0_12zip_iteratorINS5_IJN6thrust23THRUST_200600_302600_NS6detail15normal_iteratorINSC_10device_ptrIKdEEEESI_EEEEESK_NSA_INS5_IJNSC_16discard_iteratorINSC_11use_defaultEEESN_EEEEEPS7_SQ_SQ_NSC_11hip_rocprim7__merge17predicate_wrapperIddNSC_4lessIdEEEEEE10hipError_tPvRmT0_T1_T2_T3_T4_T5_mmT6_P12ihipStream_tbEUlT_E_NS1_11comp_targetILNS1_3genE3ELNS1_11target_archE908ELNS1_3gpuE7ELNS1_3repE0EEENS1_30default_config_static_selectorELNS0_4arch9wavefront6targetE0EEEvS11_.has_dyn_sized_stack, 0
	.set _ZN7rocprim17ROCPRIM_400000_NS6detail17trampoline_kernelINS0_14default_configENS1_21merge_config_selectorINS0_5tupleIJddEEENS0_10empty_typeEEEZNS1_10merge_implIS3_NS0_12zip_iteratorINS5_IJN6thrust23THRUST_200600_302600_NS6detail15normal_iteratorINSC_10device_ptrIKdEEEESI_EEEEESK_NSA_INS5_IJNSC_16discard_iteratorINSC_11use_defaultEEESN_EEEEEPS7_SQ_SQ_NSC_11hip_rocprim7__merge17predicate_wrapperIddNSC_4lessIdEEEEEE10hipError_tPvRmT0_T1_T2_T3_T4_T5_mmT6_P12ihipStream_tbEUlT_E_NS1_11comp_targetILNS1_3genE3ELNS1_11target_archE908ELNS1_3gpuE7ELNS1_3repE0EEENS1_30default_config_static_selectorELNS0_4arch9wavefront6targetE0EEEvS11_.has_recursion, 0
	.set _ZN7rocprim17ROCPRIM_400000_NS6detail17trampoline_kernelINS0_14default_configENS1_21merge_config_selectorINS0_5tupleIJddEEENS0_10empty_typeEEEZNS1_10merge_implIS3_NS0_12zip_iteratorINS5_IJN6thrust23THRUST_200600_302600_NS6detail15normal_iteratorINSC_10device_ptrIKdEEEESI_EEEEESK_NSA_INS5_IJNSC_16discard_iteratorINSC_11use_defaultEEESN_EEEEEPS7_SQ_SQ_NSC_11hip_rocprim7__merge17predicate_wrapperIddNSC_4lessIdEEEEEE10hipError_tPvRmT0_T1_T2_T3_T4_T5_mmT6_P12ihipStream_tbEUlT_E_NS1_11comp_targetILNS1_3genE3ELNS1_11target_archE908ELNS1_3gpuE7ELNS1_3repE0EEENS1_30default_config_static_selectorELNS0_4arch9wavefront6targetE0EEEvS11_.has_indirect_call, 0
	.section	.AMDGPU.csdata,"",@progbits
; Kernel info:
; codeLenInByte = 0
; TotalNumSgprs: 0
; NumVgprs: 0
; ScratchSize: 0
; MemoryBound: 0
; FloatMode: 240
; IeeeMode: 1
; LDSByteSize: 0 bytes/workgroup (compile time only)
; SGPRBlocks: 0
; VGPRBlocks: 0
; NumSGPRsForWavesPerEU: 1
; NumVGPRsForWavesPerEU: 1
; Occupancy: 16
; WaveLimiterHint : 0
; COMPUTE_PGM_RSRC2:SCRATCH_EN: 0
; COMPUTE_PGM_RSRC2:USER_SGPR: 6
; COMPUTE_PGM_RSRC2:TRAP_HANDLER: 0
; COMPUTE_PGM_RSRC2:TGID_X_EN: 1
; COMPUTE_PGM_RSRC2:TGID_Y_EN: 0
; COMPUTE_PGM_RSRC2:TGID_Z_EN: 0
; COMPUTE_PGM_RSRC2:TIDIG_COMP_CNT: 0
	.section	.text._ZN7rocprim17ROCPRIM_400000_NS6detail17trampoline_kernelINS0_14default_configENS1_21merge_config_selectorINS0_5tupleIJddEEENS0_10empty_typeEEEZNS1_10merge_implIS3_NS0_12zip_iteratorINS5_IJN6thrust23THRUST_200600_302600_NS6detail15normal_iteratorINSC_10device_ptrIKdEEEESI_EEEEESK_NSA_INS5_IJNSC_16discard_iteratorINSC_11use_defaultEEESN_EEEEEPS7_SQ_SQ_NSC_11hip_rocprim7__merge17predicate_wrapperIddNSC_4lessIdEEEEEE10hipError_tPvRmT0_T1_T2_T3_T4_T5_mmT6_P12ihipStream_tbEUlT_E_NS1_11comp_targetILNS1_3genE2ELNS1_11target_archE906ELNS1_3gpuE6ELNS1_3repE0EEENS1_30default_config_static_selectorELNS0_4arch9wavefront6targetE0EEEvS11_,"axG",@progbits,_ZN7rocprim17ROCPRIM_400000_NS6detail17trampoline_kernelINS0_14default_configENS1_21merge_config_selectorINS0_5tupleIJddEEENS0_10empty_typeEEEZNS1_10merge_implIS3_NS0_12zip_iteratorINS5_IJN6thrust23THRUST_200600_302600_NS6detail15normal_iteratorINSC_10device_ptrIKdEEEESI_EEEEESK_NSA_INS5_IJNSC_16discard_iteratorINSC_11use_defaultEEESN_EEEEEPS7_SQ_SQ_NSC_11hip_rocprim7__merge17predicate_wrapperIddNSC_4lessIdEEEEEE10hipError_tPvRmT0_T1_T2_T3_T4_T5_mmT6_P12ihipStream_tbEUlT_E_NS1_11comp_targetILNS1_3genE2ELNS1_11target_archE906ELNS1_3gpuE6ELNS1_3repE0EEENS1_30default_config_static_selectorELNS0_4arch9wavefront6targetE0EEEvS11_,comdat
	.protected	_ZN7rocprim17ROCPRIM_400000_NS6detail17trampoline_kernelINS0_14default_configENS1_21merge_config_selectorINS0_5tupleIJddEEENS0_10empty_typeEEEZNS1_10merge_implIS3_NS0_12zip_iteratorINS5_IJN6thrust23THRUST_200600_302600_NS6detail15normal_iteratorINSC_10device_ptrIKdEEEESI_EEEEESK_NSA_INS5_IJNSC_16discard_iteratorINSC_11use_defaultEEESN_EEEEEPS7_SQ_SQ_NSC_11hip_rocprim7__merge17predicate_wrapperIddNSC_4lessIdEEEEEE10hipError_tPvRmT0_T1_T2_T3_T4_T5_mmT6_P12ihipStream_tbEUlT_E_NS1_11comp_targetILNS1_3genE2ELNS1_11target_archE906ELNS1_3gpuE6ELNS1_3repE0EEENS1_30default_config_static_selectorELNS0_4arch9wavefront6targetE0EEEvS11_ ; -- Begin function _ZN7rocprim17ROCPRIM_400000_NS6detail17trampoline_kernelINS0_14default_configENS1_21merge_config_selectorINS0_5tupleIJddEEENS0_10empty_typeEEEZNS1_10merge_implIS3_NS0_12zip_iteratorINS5_IJN6thrust23THRUST_200600_302600_NS6detail15normal_iteratorINSC_10device_ptrIKdEEEESI_EEEEESK_NSA_INS5_IJNSC_16discard_iteratorINSC_11use_defaultEEESN_EEEEEPS7_SQ_SQ_NSC_11hip_rocprim7__merge17predicate_wrapperIddNSC_4lessIdEEEEEE10hipError_tPvRmT0_T1_T2_T3_T4_T5_mmT6_P12ihipStream_tbEUlT_E_NS1_11comp_targetILNS1_3genE2ELNS1_11target_archE906ELNS1_3gpuE6ELNS1_3repE0EEENS1_30default_config_static_selectorELNS0_4arch9wavefront6targetE0EEEvS11_
	.globl	_ZN7rocprim17ROCPRIM_400000_NS6detail17trampoline_kernelINS0_14default_configENS1_21merge_config_selectorINS0_5tupleIJddEEENS0_10empty_typeEEEZNS1_10merge_implIS3_NS0_12zip_iteratorINS5_IJN6thrust23THRUST_200600_302600_NS6detail15normal_iteratorINSC_10device_ptrIKdEEEESI_EEEEESK_NSA_INS5_IJNSC_16discard_iteratorINSC_11use_defaultEEESN_EEEEEPS7_SQ_SQ_NSC_11hip_rocprim7__merge17predicate_wrapperIddNSC_4lessIdEEEEEE10hipError_tPvRmT0_T1_T2_T3_T4_T5_mmT6_P12ihipStream_tbEUlT_E_NS1_11comp_targetILNS1_3genE2ELNS1_11target_archE906ELNS1_3gpuE6ELNS1_3repE0EEENS1_30default_config_static_selectorELNS0_4arch9wavefront6targetE0EEEvS11_
	.p2align	8
	.type	_ZN7rocprim17ROCPRIM_400000_NS6detail17trampoline_kernelINS0_14default_configENS1_21merge_config_selectorINS0_5tupleIJddEEENS0_10empty_typeEEEZNS1_10merge_implIS3_NS0_12zip_iteratorINS5_IJN6thrust23THRUST_200600_302600_NS6detail15normal_iteratorINSC_10device_ptrIKdEEEESI_EEEEESK_NSA_INS5_IJNSC_16discard_iteratorINSC_11use_defaultEEESN_EEEEEPS7_SQ_SQ_NSC_11hip_rocprim7__merge17predicate_wrapperIddNSC_4lessIdEEEEEE10hipError_tPvRmT0_T1_T2_T3_T4_T5_mmT6_P12ihipStream_tbEUlT_E_NS1_11comp_targetILNS1_3genE2ELNS1_11target_archE906ELNS1_3gpuE6ELNS1_3repE0EEENS1_30default_config_static_selectorELNS0_4arch9wavefront6targetE0EEEvS11_,@function
_ZN7rocprim17ROCPRIM_400000_NS6detail17trampoline_kernelINS0_14default_configENS1_21merge_config_selectorINS0_5tupleIJddEEENS0_10empty_typeEEEZNS1_10merge_implIS3_NS0_12zip_iteratorINS5_IJN6thrust23THRUST_200600_302600_NS6detail15normal_iteratorINSC_10device_ptrIKdEEEESI_EEEEESK_NSA_INS5_IJNSC_16discard_iteratorINSC_11use_defaultEEESN_EEEEEPS7_SQ_SQ_NSC_11hip_rocprim7__merge17predicate_wrapperIddNSC_4lessIdEEEEEE10hipError_tPvRmT0_T1_T2_T3_T4_T5_mmT6_P12ihipStream_tbEUlT_E_NS1_11comp_targetILNS1_3genE2ELNS1_11target_archE906ELNS1_3gpuE6ELNS1_3repE0EEENS1_30default_config_static_selectorELNS0_4arch9wavefront6targetE0EEEvS11_: ; @_ZN7rocprim17ROCPRIM_400000_NS6detail17trampoline_kernelINS0_14default_configENS1_21merge_config_selectorINS0_5tupleIJddEEENS0_10empty_typeEEEZNS1_10merge_implIS3_NS0_12zip_iteratorINS5_IJN6thrust23THRUST_200600_302600_NS6detail15normal_iteratorINSC_10device_ptrIKdEEEESI_EEEEESK_NSA_INS5_IJNSC_16discard_iteratorINSC_11use_defaultEEESN_EEEEEPS7_SQ_SQ_NSC_11hip_rocprim7__merge17predicate_wrapperIddNSC_4lessIdEEEEEE10hipError_tPvRmT0_T1_T2_T3_T4_T5_mmT6_P12ihipStream_tbEUlT_E_NS1_11comp_targetILNS1_3genE2ELNS1_11target_archE906ELNS1_3gpuE6ELNS1_3repE0EEENS1_30default_config_static_selectorELNS0_4arch9wavefront6targetE0EEEvS11_
; %bb.0:
	.section	.rodata,"a",@progbits
	.p2align	6, 0x0
	.amdhsa_kernel _ZN7rocprim17ROCPRIM_400000_NS6detail17trampoline_kernelINS0_14default_configENS1_21merge_config_selectorINS0_5tupleIJddEEENS0_10empty_typeEEEZNS1_10merge_implIS3_NS0_12zip_iteratorINS5_IJN6thrust23THRUST_200600_302600_NS6detail15normal_iteratorINSC_10device_ptrIKdEEEESI_EEEEESK_NSA_INS5_IJNSC_16discard_iteratorINSC_11use_defaultEEESN_EEEEEPS7_SQ_SQ_NSC_11hip_rocprim7__merge17predicate_wrapperIddNSC_4lessIdEEEEEE10hipError_tPvRmT0_T1_T2_T3_T4_T5_mmT6_P12ihipStream_tbEUlT_E_NS1_11comp_targetILNS1_3genE2ELNS1_11target_archE906ELNS1_3gpuE6ELNS1_3repE0EEENS1_30default_config_static_selectorELNS0_4arch9wavefront6targetE0EEEvS11_
		.amdhsa_group_segment_fixed_size 0
		.amdhsa_private_segment_fixed_size 0
		.amdhsa_kernarg_size 64
		.amdhsa_user_sgpr_count 6
		.amdhsa_user_sgpr_private_segment_buffer 1
		.amdhsa_user_sgpr_dispatch_ptr 0
		.amdhsa_user_sgpr_queue_ptr 0
		.amdhsa_user_sgpr_kernarg_segment_ptr 1
		.amdhsa_user_sgpr_dispatch_id 0
		.amdhsa_user_sgpr_flat_scratch_init 0
		.amdhsa_user_sgpr_private_segment_size 0
		.amdhsa_wavefront_size32 1
		.amdhsa_uses_dynamic_stack 0
		.amdhsa_system_sgpr_private_segment_wavefront_offset 0
		.amdhsa_system_sgpr_workgroup_id_x 1
		.amdhsa_system_sgpr_workgroup_id_y 0
		.amdhsa_system_sgpr_workgroup_id_z 0
		.amdhsa_system_sgpr_workgroup_info 0
		.amdhsa_system_vgpr_workitem_id 0
		.amdhsa_next_free_vgpr 1
		.amdhsa_next_free_sgpr 1
		.amdhsa_reserve_vcc 0
		.amdhsa_reserve_flat_scratch 0
		.amdhsa_float_round_mode_32 0
		.amdhsa_float_round_mode_16_64 0
		.amdhsa_float_denorm_mode_32 3
		.amdhsa_float_denorm_mode_16_64 3
		.amdhsa_dx10_clamp 1
		.amdhsa_ieee_mode 1
		.amdhsa_fp16_overflow 0
		.amdhsa_workgroup_processor_mode 1
		.amdhsa_memory_ordered 1
		.amdhsa_forward_progress 1
		.amdhsa_shared_vgpr_count 0
		.amdhsa_exception_fp_ieee_invalid_op 0
		.amdhsa_exception_fp_denorm_src 0
		.amdhsa_exception_fp_ieee_div_zero 0
		.amdhsa_exception_fp_ieee_overflow 0
		.amdhsa_exception_fp_ieee_underflow 0
		.amdhsa_exception_fp_ieee_inexact 0
		.amdhsa_exception_int_div_zero 0
	.end_amdhsa_kernel
	.section	.text._ZN7rocprim17ROCPRIM_400000_NS6detail17trampoline_kernelINS0_14default_configENS1_21merge_config_selectorINS0_5tupleIJddEEENS0_10empty_typeEEEZNS1_10merge_implIS3_NS0_12zip_iteratorINS5_IJN6thrust23THRUST_200600_302600_NS6detail15normal_iteratorINSC_10device_ptrIKdEEEESI_EEEEESK_NSA_INS5_IJNSC_16discard_iteratorINSC_11use_defaultEEESN_EEEEEPS7_SQ_SQ_NSC_11hip_rocprim7__merge17predicate_wrapperIddNSC_4lessIdEEEEEE10hipError_tPvRmT0_T1_T2_T3_T4_T5_mmT6_P12ihipStream_tbEUlT_E_NS1_11comp_targetILNS1_3genE2ELNS1_11target_archE906ELNS1_3gpuE6ELNS1_3repE0EEENS1_30default_config_static_selectorELNS0_4arch9wavefront6targetE0EEEvS11_,"axG",@progbits,_ZN7rocprim17ROCPRIM_400000_NS6detail17trampoline_kernelINS0_14default_configENS1_21merge_config_selectorINS0_5tupleIJddEEENS0_10empty_typeEEEZNS1_10merge_implIS3_NS0_12zip_iteratorINS5_IJN6thrust23THRUST_200600_302600_NS6detail15normal_iteratorINSC_10device_ptrIKdEEEESI_EEEEESK_NSA_INS5_IJNSC_16discard_iteratorINSC_11use_defaultEEESN_EEEEEPS7_SQ_SQ_NSC_11hip_rocprim7__merge17predicate_wrapperIddNSC_4lessIdEEEEEE10hipError_tPvRmT0_T1_T2_T3_T4_T5_mmT6_P12ihipStream_tbEUlT_E_NS1_11comp_targetILNS1_3genE2ELNS1_11target_archE906ELNS1_3gpuE6ELNS1_3repE0EEENS1_30default_config_static_selectorELNS0_4arch9wavefront6targetE0EEEvS11_,comdat
.Lfunc_end483:
	.size	_ZN7rocprim17ROCPRIM_400000_NS6detail17trampoline_kernelINS0_14default_configENS1_21merge_config_selectorINS0_5tupleIJddEEENS0_10empty_typeEEEZNS1_10merge_implIS3_NS0_12zip_iteratorINS5_IJN6thrust23THRUST_200600_302600_NS6detail15normal_iteratorINSC_10device_ptrIKdEEEESI_EEEEESK_NSA_INS5_IJNSC_16discard_iteratorINSC_11use_defaultEEESN_EEEEEPS7_SQ_SQ_NSC_11hip_rocprim7__merge17predicate_wrapperIddNSC_4lessIdEEEEEE10hipError_tPvRmT0_T1_T2_T3_T4_T5_mmT6_P12ihipStream_tbEUlT_E_NS1_11comp_targetILNS1_3genE2ELNS1_11target_archE906ELNS1_3gpuE6ELNS1_3repE0EEENS1_30default_config_static_selectorELNS0_4arch9wavefront6targetE0EEEvS11_, .Lfunc_end483-_ZN7rocprim17ROCPRIM_400000_NS6detail17trampoline_kernelINS0_14default_configENS1_21merge_config_selectorINS0_5tupleIJddEEENS0_10empty_typeEEEZNS1_10merge_implIS3_NS0_12zip_iteratorINS5_IJN6thrust23THRUST_200600_302600_NS6detail15normal_iteratorINSC_10device_ptrIKdEEEESI_EEEEESK_NSA_INS5_IJNSC_16discard_iteratorINSC_11use_defaultEEESN_EEEEEPS7_SQ_SQ_NSC_11hip_rocprim7__merge17predicate_wrapperIddNSC_4lessIdEEEEEE10hipError_tPvRmT0_T1_T2_T3_T4_T5_mmT6_P12ihipStream_tbEUlT_E_NS1_11comp_targetILNS1_3genE2ELNS1_11target_archE906ELNS1_3gpuE6ELNS1_3repE0EEENS1_30default_config_static_selectorELNS0_4arch9wavefront6targetE0EEEvS11_
                                        ; -- End function
	.set _ZN7rocprim17ROCPRIM_400000_NS6detail17trampoline_kernelINS0_14default_configENS1_21merge_config_selectorINS0_5tupleIJddEEENS0_10empty_typeEEEZNS1_10merge_implIS3_NS0_12zip_iteratorINS5_IJN6thrust23THRUST_200600_302600_NS6detail15normal_iteratorINSC_10device_ptrIKdEEEESI_EEEEESK_NSA_INS5_IJNSC_16discard_iteratorINSC_11use_defaultEEESN_EEEEEPS7_SQ_SQ_NSC_11hip_rocprim7__merge17predicate_wrapperIddNSC_4lessIdEEEEEE10hipError_tPvRmT0_T1_T2_T3_T4_T5_mmT6_P12ihipStream_tbEUlT_E_NS1_11comp_targetILNS1_3genE2ELNS1_11target_archE906ELNS1_3gpuE6ELNS1_3repE0EEENS1_30default_config_static_selectorELNS0_4arch9wavefront6targetE0EEEvS11_.num_vgpr, 0
	.set _ZN7rocprim17ROCPRIM_400000_NS6detail17trampoline_kernelINS0_14default_configENS1_21merge_config_selectorINS0_5tupleIJddEEENS0_10empty_typeEEEZNS1_10merge_implIS3_NS0_12zip_iteratorINS5_IJN6thrust23THRUST_200600_302600_NS6detail15normal_iteratorINSC_10device_ptrIKdEEEESI_EEEEESK_NSA_INS5_IJNSC_16discard_iteratorINSC_11use_defaultEEESN_EEEEEPS7_SQ_SQ_NSC_11hip_rocprim7__merge17predicate_wrapperIddNSC_4lessIdEEEEEE10hipError_tPvRmT0_T1_T2_T3_T4_T5_mmT6_P12ihipStream_tbEUlT_E_NS1_11comp_targetILNS1_3genE2ELNS1_11target_archE906ELNS1_3gpuE6ELNS1_3repE0EEENS1_30default_config_static_selectorELNS0_4arch9wavefront6targetE0EEEvS11_.num_agpr, 0
	.set _ZN7rocprim17ROCPRIM_400000_NS6detail17trampoline_kernelINS0_14default_configENS1_21merge_config_selectorINS0_5tupleIJddEEENS0_10empty_typeEEEZNS1_10merge_implIS3_NS0_12zip_iteratorINS5_IJN6thrust23THRUST_200600_302600_NS6detail15normal_iteratorINSC_10device_ptrIKdEEEESI_EEEEESK_NSA_INS5_IJNSC_16discard_iteratorINSC_11use_defaultEEESN_EEEEEPS7_SQ_SQ_NSC_11hip_rocprim7__merge17predicate_wrapperIddNSC_4lessIdEEEEEE10hipError_tPvRmT0_T1_T2_T3_T4_T5_mmT6_P12ihipStream_tbEUlT_E_NS1_11comp_targetILNS1_3genE2ELNS1_11target_archE906ELNS1_3gpuE6ELNS1_3repE0EEENS1_30default_config_static_selectorELNS0_4arch9wavefront6targetE0EEEvS11_.numbered_sgpr, 0
	.set _ZN7rocprim17ROCPRIM_400000_NS6detail17trampoline_kernelINS0_14default_configENS1_21merge_config_selectorINS0_5tupleIJddEEENS0_10empty_typeEEEZNS1_10merge_implIS3_NS0_12zip_iteratorINS5_IJN6thrust23THRUST_200600_302600_NS6detail15normal_iteratorINSC_10device_ptrIKdEEEESI_EEEEESK_NSA_INS5_IJNSC_16discard_iteratorINSC_11use_defaultEEESN_EEEEEPS7_SQ_SQ_NSC_11hip_rocprim7__merge17predicate_wrapperIddNSC_4lessIdEEEEEE10hipError_tPvRmT0_T1_T2_T3_T4_T5_mmT6_P12ihipStream_tbEUlT_E_NS1_11comp_targetILNS1_3genE2ELNS1_11target_archE906ELNS1_3gpuE6ELNS1_3repE0EEENS1_30default_config_static_selectorELNS0_4arch9wavefront6targetE0EEEvS11_.num_named_barrier, 0
	.set _ZN7rocprim17ROCPRIM_400000_NS6detail17trampoline_kernelINS0_14default_configENS1_21merge_config_selectorINS0_5tupleIJddEEENS0_10empty_typeEEEZNS1_10merge_implIS3_NS0_12zip_iteratorINS5_IJN6thrust23THRUST_200600_302600_NS6detail15normal_iteratorINSC_10device_ptrIKdEEEESI_EEEEESK_NSA_INS5_IJNSC_16discard_iteratorINSC_11use_defaultEEESN_EEEEEPS7_SQ_SQ_NSC_11hip_rocprim7__merge17predicate_wrapperIddNSC_4lessIdEEEEEE10hipError_tPvRmT0_T1_T2_T3_T4_T5_mmT6_P12ihipStream_tbEUlT_E_NS1_11comp_targetILNS1_3genE2ELNS1_11target_archE906ELNS1_3gpuE6ELNS1_3repE0EEENS1_30default_config_static_selectorELNS0_4arch9wavefront6targetE0EEEvS11_.private_seg_size, 0
	.set _ZN7rocprim17ROCPRIM_400000_NS6detail17trampoline_kernelINS0_14default_configENS1_21merge_config_selectorINS0_5tupleIJddEEENS0_10empty_typeEEEZNS1_10merge_implIS3_NS0_12zip_iteratorINS5_IJN6thrust23THRUST_200600_302600_NS6detail15normal_iteratorINSC_10device_ptrIKdEEEESI_EEEEESK_NSA_INS5_IJNSC_16discard_iteratorINSC_11use_defaultEEESN_EEEEEPS7_SQ_SQ_NSC_11hip_rocprim7__merge17predicate_wrapperIddNSC_4lessIdEEEEEE10hipError_tPvRmT0_T1_T2_T3_T4_T5_mmT6_P12ihipStream_tbEUlT_E_NS1_11comp_targetILNS1_3genE2ELNS1_11target_archE906ELNS1_3gpuE6ELNS1_3repE0EEENS1_30default_config_static_selectorELNS0_4arch9wavefront6targetE0EEEvS11_.uses_vcc, 0
	.set _ZN7rocprim17ROCPRIM_400000_NS6detail17trampoline_kernelINS0_14default_configENS1_21merge_config_selectorINS0_5tupleIJddEEENS0_10empty_typeEEEZNS1_10merge_implIS3_NS0_12zip_iteratorINS5_IJN6thrust23THRUST_200600_302600_NS6detail15normal_iteratorINSC_10device_ptrIKdEEEESI_EEEEESK_NSA_INS5_IJNSC_16discard_iteratorINSC_11use_defaultEEESN_EEEEEPS7_SQ_SQ_NSC_11hip_rocprim7__merge17predicate_wrapperIddNSC_4lessIdEEEEEE10hipError_tPvRmT0_T1_T2_T3_T4_T5_mmT6_P12ihipStream_tbEUlT_E_NS1_11comp_targetILNS1_3genE2ELNS1_11target_archE906ELNS1_3gpuE6ELNS1_3repE0EEENS1_30default_config_static_selectorELNS0_4arch9wavefront6targetE0EEEvS11_.uses_flat_scratch, 0
	.set _ZN7rocprim17ROCPRIM_400000_NS6detail17trampoline_kernelINS0_14default_configENS1_21merge_config_selectorINS0_5tupleIJddEEENS0_10empty_typeEEEZNS1_10merge_implIS3_NS0_12zip_iteratorINS5_IJN6thrust23THRUST_200600_302600_NS6detail15normal_iteratorINSC_10device_ptrIKdEEEESI_EEEEESK_NSA_INS5_IJNSC_16discard_iteratorINSC_11use_defaultEEESN_EEEEEPS7_SQ_SQ_NSC_11hip_rocprim7__merge17predicate_wrapperIddNSC_4lessIdEEEEEE10hipError_tPvRmT0_T1_T2_T3_T4_T5_mmT6_P12ihipStream_tbEUlT_E_NS1_11comp_targetILNS1_3genE2ELNS1_11target_archE906ELNS1_3gpuE6ELNS1_3repE0EEENS1_30default_config_static_selectorELNS0_4arch9wavefront6targetE0EEEvS11_.has_dyn_sized_stack, 0
	.set _ZN7rocprim17ROCPRIM_400000_NS6detail17trampoline_kernelINS0_14default_configENS1_21merge_config_selectorINS0_5tupleIJddEEENS0_10empty_typeEEEZNS1_10merge_implIS3_NS0_12zip_iteratorINS5_IJN6thrust23THRUST_200600_302600_NS6detail15normal_iteratorINSC_10device_ptrIKdEEEESI_EEEEESK_NSA_INS5_IJNSC_16discard_iteratorINSC_11use_defaultEEESN_EEEEEPS7_SQ_SQ_NSC_11hip_rocprim7__merge17predicate_wrapperIddNSC_4lessIdEEEEEE10hipError_tPvRmT0_T1_T2_T3_T4_T5_mmT6_P12ihipStream_tbEUlT_E_NS1_11comp_targetILNS1_3genE2ELNS1_11target_archE906ELNS1_3gpuE6ELNS1_3repE0EEENS1_30default_config_static_selectorELNS0_4arch9wavefront6targetE0EEEvS11_.has_recursion, 0
	.set _ZN7rocprim17ROCPRIM_400000_NS6detail17trampoline_kernelINS0_14default_configENS1_21merge_config_selectorINS0_5tupleIJddEEENS0_10empty_typeEEEZNS1_10merge_implIS3_NS0_12zip_iteratorINS5_IJN6thrust23THRUST_200600_302600_NS6detail15normal_iteratorINSC_10device_ptrIKdEEEESI_EEEEESK_NSA_INS5_IJNSC_16discard_iteratorINSC_11use_defaultEEESN_EEEEEPS7_SQ_SQ_NSC_11hip_rocprim7__merge17predicate_wrapperIddNSC_4lessIdEEEEEE10hipError_tPvRmT0_T1_T2_T3_T4_T5_mmT6_P12ihipStream_tbEUlT_E_NS1_11comp_targetILNS1_3genE2ELNS1_11target_archE906ELNS1_3gpuE6ELNS1_3repE0EEENS1_30default_config_static_selectorELNS0_4arch9wavefront6targetE0EEEvS11_.has_indirect_call, 0
	.section	.AMDGPU.csdata,"",@progbits
; Kernel info:
; codeLenInByte = 0
; TotalNumSgprs: 0
; NumVgprs: 0
; ScratchSize: 0
; MemoryBound: 0
; FloatMode: 240
; IeeeMode: 1
; LDSByteSize: 0 bytes/workgroup (compile time only)
; SGPRBlocks: 0
; VGPRBlocks: 0
; NumSGPRsForWavesPerEU: 1
; NumVGPRsForWavesPerEU: 1
; Occupancy: 16
; WaveLimiterHint : 0
; COMPUTE_PGM_RSRC2:SCRATCH_EN: 0
; COMPUTE_PGM_RSRC2:USER_SGPR: 6
; COMPUTE_PGM_RSRC2:TRAP_HANDLER: 0
; COMPUTE_PGM_RSRC2:TGID_X_EN: 1
; COMPUTE_PGM_RSRC2:TGID_Y_EN: 0
; COMPUTE_PGM_RSRC2:TGID_Z_EN: 0
; COMPUTE_PGM_RSRC2:TIDIG_COMP_CNT: 0
	.section	.text._ZN7rocprim17ROCPRIM_400000_NS6detail17trampoline_kernelINS0_14default_configENS1_21merge_config_selectorINS0_5tupleIJddEEENS0_10empty_typeEEEZNS1_10merge_implIS3_NS0_12zip_iteratorINS5_IJN6thrust23THRUST_200600_302600_NS6detail15normal_iteratorINSC_10device_ptrIKdEEEESI_EEEEESK_NSA_INS5_IJNSC_16discard_iteratorINSC_11use_defaultEEESN_EEEEEPS7_SQ_SQ_NSC_11hip_rocprim7__merge17predicate_wrapperIddNSC_4lessIdEEEEEE10hipError_tPvRmT0_T1_T2_T3_T4_T5_mmT6_P12ihipStream_tbEUlT_E_NS1_11comp_targetILNS1_3genE10ELNS1_11target_archE1201ELNS1_3gpuE5ELNS1_3repE0EEENS1_30default_config_static_selectorELNS0_4arch9wavefront6targetE0EEEvS11_,"axG",@progbits,_ZN7rocprim17ROCPRIM_400000_NS6detail17trampoline_kernelINS0_14default_configENS1_21merge_config_selectorINS0_5tupleIJddEEENS0_10empty_typeEEEZNS1_10merge_implIS3_NS0_12zip_iteratorINS5_IJN6thrust23THRUST_200600_302600_NS6detail15normal_iteratorINSC_10device_ptrIKdEEEESI_EEEEESK_NSA_INS5_IJNSC_16discard_iteratorINSC_11use_defaultEEESN_EEEEEPS7_SQ_SQ_NSC_11hip_rocprim7__merge17predicate_wrapperIddNSC_4lessIdEEEEEE10hipError_tPvRmT0_T1_T2_T3_T4_T5_mmT6_P12ihipStream_tbEUlT_E_NS1_11comp_targetILNS1_3genE10ELNS1_11target_archE1201ELNS1_3gpuE5ELNS1_3repE0EEENS1_30default_config_static_selectorELNS0_4arch9wavefront6targetE0EEEvS11_,comdat
	.protected	_ZN7rocprim17ROCPRIM_400000_NS6detail17trampoline_kernelINS0_14default_configENS1_21merge_config_selectorINS0_5tupleIJddEEENS0_10empty_typeEEEZNS1_10merge_implIS3_NS0_12zip_iteratorINS5_IJN6thrust23THRUST_200600_302600_NS6detail15normal_iteratorINSC_10device_ptrIKdEEEESI_EEEEESK_NSA_INS5_IJNSC_16discard_iteratorINSC_11use_defaultEEESN_EEEEEPS7_SQ_SQ_NSC_11hip_rocprim7__merge17predicate_wrapperIddNSC_4lessIdEEEEEE10hipError_tPvRmT0_T1_T2_T3_T4_T5_mmT6_P12ihipStream_tbEUlT_E_NS1_11comp_targetILNS1_3genE10ELNS1_11target_archE1201ELNS1_3gpuE5ELNS1_3repE0EEENS1_30default_config_static_selectorELNS0_4arch9wavefront6targetE0EEEvS11_ ; -- Begin function _ZN7rocprim17ROCPRIM_400000_NS6detail17trampoline_kernelINS0_14default_configENS1_21merge_config_selectorINS0_5tupleIJddEEENS0_10empty_typeEEEZNS1_10merge_implIS3_NS0_12zip_iteratorINS5_IJN6thrust23THRUST_200600_302600_NS6detail15normal_iteratorINSC_10device_ptrIKdEEEESI_EEEEESK_NSA_INS5_IJNSC_16discard_iteratorINSC_11use_defaultEEESN_EEEEEPS7_SQ_SQ_NSC_11hip_rocprim7__merge17predicate_wrapperIddNSC_4lessIdEEEEEE10hipError_tPvRmT0_T1_T2_T3_T4_T5_mmT6_P12ihipStream_tbEUlT_E_NS1_11comp_targetILNS1_3genE10ELNS1_11target_archE1201ELNS1_3gpuE5ELNS1_3repE0EEENS1_30default_config_static_selectorELNS0_4arch9wavefront6targetE0EEEvS11_
	.globl	_ZN7rocprim17ROCPRIM_400000_NS6detail17trampoline_kernelINS0_14default_configENS1_21merge_config_selectorINS0_5tupleIJddEEENS0_10empty_typeEEEZNS1_10merge_implIS3_NS0_12zip_iteratorINS5_IJN6thrust23THRUST_200600_302600_NS6detail15normal_iteratorINSC_10device_ptrIKdEEEESI_EEEEESK_NSA_INS5_IJNSC_16discard_iteratorINSC_11use_defaultEEESN_EEEEEPS7_SQ_SQ_NSC_11hip_rocprim7__merge17predicate_wrapperIddNSC_4lessIdEEEEEE10hipError_tPvRmT0_T1_T2_T3_T4_T5_mmT6_P12ihipStream_tbEUlT_E_NS1_11comp_targetILNS1_3genE10ELNS1_11target_archE1201ELNS1_3gpuE5ELNS1_3repE0EEENS1_30default_config_static_selectorELNS0_4arch9wavefront6targetE0EEEvS11_
	.p2align	8
	.type	_ZN7rocprim17ROCPRIM_400000_NS6detail17trampoline_kernelINS0_14default_configENS1_21merge_config_selectorINS0_5tupleIJddEEENS0_10empty_typeEEEZNS1_10merge_implIS3_NS0_12zip_iteratorINS5_IJN6thrust23THRUST_200600_302600_NS6detail15normal_iteratorINSC_10device_ptrIKdEEEESI_EEEEESK_NSA_INS5_IJNSC_16discard_iteratorINSC_11use_defaultEEESN_EEEEEPS7_SQ_SQ_NSC_11hip_rocprim7__merge17predicate_wrapperIddNSC_4lessIdEEEEEE10hipError_tPvRmT0_T1_T2_T3_T4_T5_mmT6_P12ihipStream_tbEUlT_E_NS1_11comp_targetILNS1_3genE10ELNS1_11target_archE1201ELNS1_3gpuE5ELNS1_3repE0EEENS1_30default_config_static_selectorELNS0_4arch9wavefront6targetE0EEEvS11_,@function
_ZN7rocprim17ROCPRIM_400000_NS6detail17trampoline_kernelINS0_14default_configENS1_21merge_config_selectorINS0_5tupleIJddEEENS0_10empty_typeEEEZNS1_10merge_implIS3_NS0_12zip_iteratorINS5_IJN6thrust23THRUST_200600_302600_NS6detail15normal_iteratorINSC_10device_ptrIKdEEEESI_EEEEESK_NSA_INS5_IJNSC_16discard_iteratorINSC_11use_defaultEEESN_EEEEEPS7_SQ_SQ_NSC_11hip_rocprim7__merge17predicate_wrapperIddNSC_4lessIdEEEEEE10hipError_tPvRmT0_T1_T2_T3_T4_T5_mmT6_P12ihipStream_tbEUlT_E_NS1_11comp_targetILNS1_3genE10ELNS1_11target_archE1201ELNS1_3gpuE5ELNS1_3repE0EEENS1_30default_config_static_selectorELNS0_4arch9wavefront6targetE0EEEvS11_: ; @_ZN7rocprim17ROCPRIM_400000_NS6detail17trampoline_kernelINS0_14default_configENS1_21merge_config_selectorINS0_5tupleIJddEEENS0_10empty_typeEEEZNS1_10merge_implIS3_NS0_12zip_iteratorINS5_IJN6thrust23THRUST_200600_302600_NS6detail15normal_iteratorINSC_10device_ptrIKdEEEESI_EEEEESK_NSA_INS5_IJNSC_16discard_iteratorINSC_11use_defaultEEESN_EEEEEPS7_SQ_SQ_NSC_11hip_rocprim7__merge17predicate_wrapperIddNSC_4lessIdEEEEEE10hipError_tPvRmT0_T1_T2_T3_T4_T5_mmT6_P12ihipStream_tbEUlT_E_NS1_11comp_targetILNS1_3genE10ELNS1_11target_archE1201ELNS1_3gpuE5ELNS1_3repE0EEENS1_30default_config_static_selectorELNS0_4arch9wavefront6targetE0EEEvS11_
; %bb.0:
	.section	.rodata,"a",@progbits
	.p2align	6, 0x0
	.amdhsa_kernel _ZN7rocprim17ROCPRIM_400000_NS6detail17trampoline_kernelINS0_14default_configENS1_21merge_config_selectorINS0_5tupleIJddEEENS0_10empty_typeEEEZNS1_10merge_implIS3_NS0_12zip_iteratorINS5_IJN6thrust23THRUST_200600_302600_NS6detail15normal_iteratorINSC_10device_ptrIKdEEEESI_EEEEESK_NSA_INS5_IJNSC_16discard_iteratorINSC_11use_defaultEEESN_EEEEEPS7_SQ_SQ_NSC_11hip_rocprim7__merge17predicate_wrapperIddNSC_4lessIdEEEEEE10hipError_tPvRmT0_T1_T2_T3_T4_T5_mmT6_P12ihipStream_tbEUlT_E_NS1_11comp_targetILNS1_3genE10ELNS1_11target_archE1201ELNS1_3gpuE5ELNS1_3repE0EEENS1_30default_config_static_selectorELNS0_4arch9wavefront6targetE0EEEvS11_
		.amdhsa_group_segment_fixed_size 0
		.amdhsa_private_segment_fixed_size 0
		.amdhsa_kernarg_size 64
		.amdhsa_user_sgpr_count 6
		.amdhsa_user_sgpr_private_segment_buffer 1
		.amdhsa_user_sgpr_dispatch_ptr 0
		.amdhsa_user_sgpr_queue_ptr 0
		.amdhsa_user_sgpr_kernarg_segment_ptr 1
		.amdhsa_user_sgpr_dispatch_id 0
		.amdhsa_user_sgpr_flat_scratch_init 0
		.amdhsa_user_sgpr_private_segment_size 0
		.amdhsa_wavefront_size32 1
		.amdhsa_uses_dynamic_stack 0
		.amdhsa_system_sgpr_private_segment_wavefront_offset 0
		.amdhsa_system_sgpr_workgroup_id_x 1
		.amdhsa_system_sgpr_workgroup_id_y 0
		.amdhsa_system_sgpr_workgroup_id_z 0
		.amdhsa_system_sgpr_workgroup_info 0
		.amdhsa_system_vgpr_workitem_id 0
		.amdhsa_next_free_vgpr 1
		.amdhsa_next_free_sgpr 1
		.amdhsa_reserve_vcc 0
		.amdhsa_reserve_flat_scratch 0
		.amdhsa_float_round_mode_32 0
		.amdhsa_float_round_mode_16_64 0
		.amdhsa_float_denorm_mode_32 3
		.amdhsa_float_denorm_mode_16_64 3
		.amdhsa_dx10_clamp 1
		.amdhsa_ieee_mode 1
		.amdhsa_fp16_overflow 0
		.amdhsa_workgroup_processor_mode 1
		.amdhsa_memory_ordered 1
		.amdhsa_forward_progress 1
		.amdhsa_shared_vgpr_count 0
		.amdhsa_exception_fp_ieee_invalid_op 0
		.amdhsa_exception_fp_denorm_src 0
		.amdhsa_exception_fp_ieee_div_zero 0
		.amdhsa_exception_fp_ieee_overflow 0
		.amdhsa_exception_fp_ieee_underflow 0
		.amdhsa_exception_fp_ieee_inexact 0
		.amdhsa_exception_int_div_zero 0
	.end_amdhsa_kernel
	.section	.text._ZN7rocprim17ROCPRIM_400000_NS6detail17trampoline_kernelINS0_14default_configENS1_21merge_config_selectorINS0_5tupleIJddEEENS0_10empty_typeEEEZNS1_10merge_implIS3_NS0_12zip_iteratorINS5_IJN6thrust23THRUST_200600_302600_NS6detail15normal_iteratorINSC_10device_ptrIKdEEEESI_EEEEESK_NSA_INS5_IJNSC_16discard_iteratorINSC_11use_defaultEEESN_EEEEEPS7_SQ_SQ_NSC_11hip_rocprim7__merge17predicate_wrapperIddNSC_4lessIdEEEEEE10hipError_tPvRmT0_T1_T2_T3_T4_T5_mmT6_P12ihipStream_tbEUlT_E_NS1_11comp_targetILNS1_3genE10ELNS1_11target_archE1201ELNS1_3gpuE5ELNS1_3repE0EEENS1_30default_config_static_selectorELNS0_4arch9wavefront6targetE0EEEvS11_,"axG",@progbits,_ZN7rocprim17ROCPRIM_400000_NS6detail17trampoline_kernelINS0_14default_configENS1_21merge_config_selectorINS0_5tupleIJddEEENS0_10empty_typeEEEZNS1_10merge_implIS3_NS0_12zip_iteratorINS5_IJN6thrust23THRUST_200600_302600_NS6detail15normal_iteratorINSC_10device_ptrIKdEEEESI_EEEEESK_NSA_INS5_IJNSC_16discard_iteratorINSC_11use_defaultEEESN_EEEEEPS7_SQ_SQ_NSC_11hip_rocprim7__merge17predicate_wrapperIddNSC_4lessIdEEEEEE10hipError_tPvRmT0_T1_T2_T3_T4_T5_mmT6_P12ihipStream_tbEUlT_E_NS1_11comp_targetILNS1_3genE10ELNS1_11target_archE1201ELNS1_3gpuE5ELNS1_3repE0EEENS1_30default_config_static_selectorELNS0_4arch9wavefront6targetE0EEEvS11_,comdat
.Lfunc_end484:
	.size	_ZN7rocprim17ROCPRIM_400000_NS6detail17trampoline_kernelINS0_14default_configENS1_21merge_config_selectorINS0_5tupleIJddEEENS0_10empty_typeEEEZNS1_10merge_implIS3_NS0_12zip_iteratorINS5_IJN6thrust23THRUST_200600_302600_NS6detail15normal_iteratorINSC_10device_ptrIKdEEEESI_EEEEESK_NSA_INS5_IJNSC_16discard_iteratorINSC_11use_defaultEEESN_EEEEEPS7_SQ_SQ_NSC_11hip_rocprim7__merge17predicate_wrapperIddNSC_4lessIdEEEEEE10hipError_tPvRmT0_T1_T2_T3_T4_T5_mmT6_P12ihipStream_tbEUlT_E_NS1_11comp_targetILNS1_3genE10ELNS1_11target_archE1201ELNS1_3gpuE5ELNS1_3repE0EEENS1_30default_config_static_selectorELNS0_4arch9wavefront6targetE0EEEvS11_, .Lfunc_end484-_ZN7rocprim17ROCPRIM_400000_NS6detail17trampoline_kernelINS0_14default_configENS1_21merge_config_selectorINS0_5tupleIJddEEENS0_10empty_typeEEEZNS1_10merge_implIS3_NS0_12zip_iteratorINS5_IJN6thrust23THRUST_200600_302600_NS6detail15normal_iteratorINSC_10device_ptrIKdEEEESI_EEEEESK_NSA_INS5_IJNSC_16discard_iteratorINSC_11use_defaultEEESN_EEEEEPS7_SQ_SQ_NSC_11hip_rocprim7__merge17predicate_wrapperIddNSC_4lessIdEEEEEE10hipError_tPvRmT0_T1_T2_T3_T4_T5_mmT6_P12ihipStream_tbEUlT_E_NS1_11comp_targetILNS1_3genE10ELNS1_11target_archE1201ELNS1_3gpuE5ELNS1_3repE0EEENS1_30default_config_static_selectorELNS0_4arch9wavefront6targetE0EEEvS11_
                                        ; -- End function
	.set _ZN7rocprim17ROCPRIM_400000_NS6detail17trampoline_kernelINS0_14default_configENS1_21merge_config_selectorINS0_5tupleIJddEEENS0_10empty_typeEEEZNS1_10merge_implIS3_NS0_12zip_iteratorINS5_IJN6thrust23THRUST_200600_302600_NS6detail15normal_iteratorINSC_10device_ptrIKdEEEESI_EEEEESK_NSA_INS5_IJNSC_16discard_iteratorINSC_11use_defaultEEESN_EEEEEPS7_SQ_SQ_NSC_11hip_rocprim7__merge17predicate_wrapperIddNSC_4lessIdEEEEEE10hipError_tPvRmT0_T1_T2_T3_T4_T5_mmT6_P12ihipStream_tbEUlT_E_NS1_11comp_targetILNS1_3genE10ELNS1_11target_archE1201ELNS1_3gpuE5ELNS1_3repE0EEENS1_30default_config_static_selectorELNS0_4arch9wavefront6targetE0EEEvS11_.num_vgpr, 0
	.set _ZN7rocprim17ROCPRIM_400000_NS6detail17trampoline_kernelINS0_14default_configENS1_21merge_config_selectorINS0_5tupleIJddEEENS0_10empty_typeEEEZNS1_10merge_implIS3_NS0_12zip_iteratorINS5_IJN6thrust23THRUST_200600_302600_NS6detail15normal_iteratorINSC_10device_ptrIKdEEEESI_EEEEESK_NSA_INS5_IJNSC_16discard_iteratorINSC_11use_defaultEEESN_EEEEEPS7_SQ_SQ_NSC_11hip_rocprim7__merge17predicate_wrapperIddNSC_4lessIdEEEEEE10hipError_tPvRmT0_T1_T2_T3_T4_T5_mmT6_P12ihipStream_tbEUlT_E_NS1_11comp_targetILNS1_3genE10ELNS1_11target_archE1201ELNS1_3gpuE5ELNS1_3repE0EEENS1_30default_config_static_selectorELNS0_4arch9wavefront6targetE0EEEvS11_.num_agpr, 0
	.set _ZN7rocprim17ROCPRIM_400000_NS6detail17trampoline_kernelINS0_14default_configENS1_21merge_config_selectorINS0_5tupleIJddEEENS0_10empty_typeEEEZNS1_10merge_implIS3_NS0_12zip_iteratorINS5_IJN6thrust23THRUST_200600_302600_NS6detail15normal_iteratorINSC_10device_ptrIKdEEEESI_EEEEESK_NSA_INS5_IJNSC_16discard_iteratorINSC_11use_defaultEEESN_EEEEEPS7_SQ_SQ_NSC_11hip_rocprim7__merge17predicate_wrapperIddNSC_4lessIdEEEEEE10hipError_tPvRmT0_T1_T2_T3_T4_T5_mmT6_P12ihipStream_tbEUlT_E_NS1_11comp_targetILNS1_3genE10ELNS1_11target_archE1201ELNS1_3gpuE5ELNS1_3repE0EEENS1_30default_config_static_selectorELNS0_4arch9wavefront6targetE0EEEvS11_.numbered_sgpr, 0
	.set _ZN7rocprim17ROCPRIM_400000_NS6detail17trampoline_kernelINS0_14default_configENS1_21merge_config_selectorINS0_5tupleIJddEEENS0_10empty_typeEEEZNS1_10merge_implIS3_NS0_12zip_iteratorINS5_IJN6thrust23THRUST_200600_302600_NS6detail15normal_iteratorINSC_10device_ptrIKdEEEESI_EEEEESK_NSA_INS5_IJNSC_16discard_iteratorINSC_11use_defaultEEESN_EEEEEPS7_SQ_SQ_NSC_11hip_rocprim7__merge17predicate_wrapperIddNSC_4lessIdEEEEEE10hipError_tPvRmT0_T1_T2_T3_T4_T5_mmT6_P12ihipStream_tbEUlT_E_NS1_11comp_targetILNS1_3genE10ELNS1_11target_archE1201ELNS1_3gpuE5ELNS1_3repE0EEENS1_30default_config_static_selectorELNS0_4arch9wavefront6targetE0EEEvS11_.num_named_barrier, 0
	.set _ZN7rocprim17ROCPRIM_400000_NS6detail17trampoline_kernelINS0_14default_configENS1_21merge_config_selectorINS0_5tupleIJddEEENS0_10empty_typeEEEZNS1_10merge_implIS3_NS0_12zip_iteratorINS5_IJN6thrust23THRUST_200600_302600_NS6detail15normal_iteratorINSC_10device_ptrIKdEEEESI_EEEEESK_NSA_INS5_IJNSC_16discard_iteratorINSC_11use_defaultEEESN_EEEEEPS7_SQ_SQ_NSC_11hip_rocprim7__merge17predicate_wrapperIddNSC_4lessIdEEEEEE10hipError_tPvRmT0_T1_T2_T3_T4_T5_mmT6_P12ihipStream_tbEUlT_E_NS1_11comp_targetILNS1_3genE10ELNS1_11target_archE1201ELNS1_3gpuE5ELNS1_3repE0EEENS1_30default_config_static_selectorELNS0_4arch9wavefront6targetE0EEEvS11_.private_seg_size, 0
	.set _ZN7rocprim17ROCPRIM_400000_NS6detail17trampoline_kernelINS0_14default_configENS1_21merge_config_selectorINS0_5tupleIJddEEENS0_10empty_typeEEEZNS1_10merge_implIS3_NS0_12zip_iteratorINS5_IJN6thrust23THRUST_200600_302600_NS6detail15normal_iteratorINSC_10device_ptrIKdEEEESI_EEEEESK_NSA_INS5_IJNSC_16discard_iteratorINSC_11use_defaultEEESN_EEEEEPS7_SQ_SQ_NSC_11hip_rocprim7__merge17predicate_wrapperIddNSC_4lessIdEEEEEE10hipError_tPvRmT0_T1_T2_T3_T4_T5_mmT6_P12ihipStream_tbEUlT_E_NS1_11comp_targetILNS1_3genE10ELNS1_11target_archE1201ELNS1_3gpuE5ELNS1_3repE0EEENS1_30default_config_static_selectorELNS0_4arch9wavefront6targetE0EEEvS11_.uses_vcc, 0
	.set _ZN7rocprim17ROCPRIM_400000_NS6detail17trampoline_kernelINS0_14default_configENS1_21merge_config_selectorINS0_5tupleIJddEEENS0_10empty_typeEEEZNS1_10merge_implIS3_NS0_12zip_iteratorINS5_IJN6thrust23THRUST_200600_302600_NS6detail15normal_iteratorINSC_10device_ptrIKdEEEESI_EEEEESK_NSA_INS5_IJNSC_16discard_iteratorINSC_11use_defaultEEESN_EEEEEPS7_SQ_SQ_NSC_11hip_rocprim7__merge17predicate_wrapperIddNSC_4lessIdEEEEEE10hipError_tPvRmT0_T1_T2_T3_T4_T5_mmT6_P12ihipStream_tbEUlT_E_NS1_11comp_targetILNS1_3genE10ELNS1_11target_archE1201ELNS1_3gpuE5ELNS1_3repE0EEENS1_30default_config_static_selectorELNS0_4arch9wavefront6targetE0EEEvS11_.uses_flat_scratch, 0
	.set _ZN7rocprim17ROCPRIM_400000_NS6detail17trampoline_kernelINS0_14default_configENS1_21merge_config_selectorINS0_5tupleIJddEEENS0_10empty_typeEEEZNS1_10merge_implIS3_NS0_12zip_iteratorINS5_IJN6thrust23THRUST_200600_302600_NS6detail15normal_iteratorINSC_10device_ptrIKdEEEESI_EEEEESK_NSA_INS5_IJNSC_16discard_iteratorINSC_11use_defaultEEESN_EEEEEPS7_SQ_SQ_NSC_11hip_rocprim7__merge17predicate_wrapperIddNSC_4lessIdEEEEEE10hipError_tPvRmT0_T1_T2_T3_T4_T5_mmT6_P12ihipStream_tbEUlT_E_NS1_11comp_targetILNS1_3genE10ELNS1_11target_archE1201ELNS1_3gpuE5ELNS1_3repE0EEENS1_30default_config_static_selectorELNS0_4arch9wavefront6targetE0EEEvS11_.has_dyn_sized_stack, 0
	.set _ZN7rocprim17ROCPRIM_400000_NS6detail17trampoline_kernelINS0_14default_configENS1_21merge_config_selectorINS0_5tupleIJddEEENS0_10empty_typeEEEZNS1_10merge_implIS3_NS0_12zip_iteratorINS5_IJN6thrust23THRUST_200600_302600_NS6detail15normal_iteratorINSC_10device_ptrIKdEEEESI_EEEEESK_NSA_INS5_IJNSC_16discard_iteratorINSC_11use_defaultEEESN_EEEEEPS7_SQ_SQ_NSC_11hip_rocprim7__merge17predicate_wrapperIddNSC_4lessIdEEEEEE10hipError_tPvRmT0_T1_T2_T3_T4_T5_mmT6_P12ihipStream_tbEUlT_E_NS1_11comp_targetILNS1_3genE10ELNS1_11target_archE1201ELNS1_3gpuE5ELNS1_3repE0EEENS1_30default_config_static_selectorELNS0_4arch9wavefront6targetE0EEEvS11_.has_recursion, 0
	.set _ZN7rocprim17ROCPRIM_400000_NS6detail17trampoline_kernelINS0_14default_configENS1_21merge_config_selectorINS0_5tupleIJddEEENS0_10empty_typeEEEZNS1_10merge_implIS3_NS0_12zip_iteratorINS5_IJN6thrust23THRUST_200600_302600_NS6detail15normal_iteratorINSC_10device_ptrIKdEEEESI_EEEEESK_NSA_INS5_IJNSC_16discard_iteratorINSC_11use_defaultEEESN_EEEEEPS7_SQ_SQ_NSC_11hip_rocprim7__merge17predicate_wrapperIddNSC_4lessIdEEEEEE10hipError_tPvRmT0_T1_T2_T3_T4_T5_mmT6_P12ihipStream_tbEUlT_E_NS1_11comp_targetILNS1_3genE10ELNS1_11target_archE1201ELNS1_3gpuE5ELNS1_3repE0EEENS1_30default_config_static_selectorELNS0_4arch9wavefront6targetE0EEEvS11_.has_indirect_call, 0
	.section	.AMDGPU.csdata,"",@progbits
; Kernel info:
; codeLenInByte = 0
; TotalNumSgprs: 0
; NumVgprs: 0
; ScratchSize: 0
; MemoryBound: 0
; FloatMode: 240
; IeeeMode: 1
; LDSByteSize: 0 bytes/workgroup (compile time only)
; SGPRBlocks: 0
; VGPRBlocks: 0
; NumSGPRsForWavesPerEU: 1
; NumVGPRsForWavesPerEU: 1
; Occupancy: 16
; WaveLimiterHint : 0
; COMPUTE_PGM_RSRC2:SCRATCH_EN: 0
; COMPUTE_PGM_RSRC2:USER_SGPR: 6
; COMPUTE_PGM_RSRC2:TRAP_HANDLER: 0
; COMPUTE_PGM_RSRC2:TGID_X_EN: 1
; COMPUTE_PGM_RSRC2:TGID_Y_EN: 0
; COMPUTE_PGM_RSRC2:TGID_Z_EN: 0
; COMPUTE_PGM_RSRC2:TIDIG_COMP_CNT: 0
	.section	.text._ZN7rocprim17ROCPRIM_400000_NS6detail17trampoline_kernelINS0_14default_configENS1_21merge_config_selectorINS0_5tupleIJddEEENS0_10empty_typeEEEZNS1_10merge_implIS3_NS0_12zip_iteratorINS5_IJN6thrust23THRUST_200600_302600_NS6detail15normal_iteratorINSC_10device_ptrIKdEEEESI_EEEEESK_NSA_INS5_IJNSC_16discard_iteratorINSC_11use_defaultEEESN_EEEEEPS7_SQ_SQ_NSC_11hip_rocprim7__merge17predicate_wrapperIddNSC_4lessIdEEEEEE10hipError_tPvRmT0_T1_T2_T3_T4_T5_mmT6_P12ihipStream_tbEUlT_E_NS1_11comp_targetILNS1_3genE10ELNS1_11target_archE1200ELNS1_3gpuE4ELNS1_3repE0EEENS1_30default_config_static_selectorELNS0_4arch9wavefront6targetE0EEEvS11_,"axG",@progbits,_ZN7rocprim17ROCPRIM_400000_NS6detail17trampoline_kernelINS0_14default_configENS1_21merge_config_selectorINS0_5tupleIJddEEENS0_10empty_typeEEEZNS1_10merge_implIS3_NS0_12zip_iteratorINS5_IJN6thrust23THRUST_200600_302600_NS6detail15normal_iteratorINSC_10device_ptrIKdEEEESI_EEEEESK_NSA_INS5_IJNSC_16discard_iteratorINSC_11use_defaultEEESN_EEEEEPS7_SQ_SQ_NSC_11hip_rocprim7__merge17predicate_wrapperIddNSC_4lessIdEEEEEE10hipError_tPvRmT0_T1_T2_T3_T4_T5_mmT6_P12ihipStream_tbEUlT_E_NS1_11comp_targetILNS1_3genE10ELNS1_11target_archE1200ELNS1_3gpuE4ELNS1_3repE0EEENS1_30default_config_static_selectorELNS0_4arch9wavefront6targetE0EEEvS11_,comdat
	.protected	_ZN7rocprim17ROCPRIM_400000_NS6detail17trampoline_kernelINS0_14default_configENS1_21merge_config_selectorINS0_5tupleIJddEEENS0_10empty_typeEEEZNS1_10merge_implIS3_NS0_12zip_iteratorINS5_IJN6thrust23THRUST_200600_302600_NS6detail15normal_iteratorINSC_10device_ptrIKdEEEESI_EEEEESK_NSA_INS5_IJNSC_16discard_iteratorINSC_11use_defaultEEESN_EEEEEPS7_SQ_SQ_NSC_11hip_rocprim7__merge17predicate_wrapperIddNSC_4lessIdEEEEEE10hipError_tPvRmT0_T1_T2_T3_T4_T5_mmT6_P12ihipStream_tbEUlT_E_NS1_11comp_targetILNS1_3genE10ELNS1_11target_archE1200ELNS1_3gpuE4ELNS1_3repE0EEENS1_30default_config_static_selectorELNS0_4arch9wavefront6targetE0EEEvS11_ ; -- Begin function _ZN7rocprim17ROCPRIM_400000_NS6detail17trampoline_kernelINS0_14default_configENS1_21merge_config_selectorINS0_5tupleIJddEEENS0_10empty_typeEEEZNS1_10merge_implIS3_NS0_12zip_iteratorINS5_IJN6thrust23THRUST_200600_302600_NS6detail15normal_iteratorINSC_10device_ptrIKdEEEESI_EEEEESK_NSA_INS5_IJNSC_16discard_iteratorINSC_11use_defaultEEESN_EEEEEPS7_SQ_SQ_NSC_11hip_rocprim7__merge17predicate_wrapperIddNSC_4lessIdEEEEEE10hipError_tPvRmT0_T1_T2_T3_T4_T5_mmT6_P12ihipStream_tbEUlT_E_NS1_11comp_targetILNS1_3genE10ELNS1_11target_archE1200ELNS1_3gpuE4ELNS1_3repE0EEENS1_30default_config_static_selectorELNS0_4arch9wavefront6targetE0EEEvS11_
	.globl	_ZN7rocprim17ROCPRIM_400000_NS6detail17trampoline_kernelINS0_14default_configENS1_21merge_config_selectorINS0_5tupleIJddEEENS0_10empty_typeEEEZNS1_10merge_implIS3_NS0_12zip_iteratorINS5_IJN6thrust23THRUST_200600_302600_NS6detail15normal_iteratorINSC_10device_ptrIKdEEEESI_EEEEESK_NSA_INS5_IJNSC_16discard_iteratorINSC_11use_defaultEEESN_EEEEEPS7_SQ_SQ_NSC_11hip_rocprim7__merge17predicate_wrapperIddNSC_4lessIdEEEEEE10hipError_tPvRmT0_T1_T2_T3_T4_T5_mmT6_P12ihipStream_tbEUlT_E_NS1_11comp_targetILNS1_3genE10ELNS1_11target_archE1200ELNS1_3gpuE4ELNS1_3repE0EEENS1_30default_config_static_selectorELNS0_4arch9wavefront6targetE0EEEvS11_
	.p2align	8
	.type	_ZN7rocprim17ROCPRIM_400000_NS6detail17trampoline_kernelINS0_14default_configENS1_21merge_config_selectorINS0_5tupleIJddEEENS0_10empty_typeEEEZNS1_10merge_implIS3_NS0_12zip_iteratorINS5_IJN6thrust23THRUST_200600_302600_NS6detail15normal_iteratorINSC_10device_ptrIKdEEEESI_EEEEESK_NSA_INS5_IJNSC_16discard_iteratorINSC_11use_defaultEEESN_EEEEEPS7_SQ_SQ_NSC_11hip_rocprim7__merge17predicate_wrapperIddNSC_4lessIdEEEEEE10hipError_tPvRmT0_T1_T2_T3_T4_T5_mmT6_P12ihipStream_tbEUlT_E_NS1_11comp_targetILNS1_3genE10ELNS1_11target_archE1200ELNS1_3gpuE4ELNS1_3repE0EEENS1_30default_config_static_selectorELNS0_4arch9wavefront6targetE0EEEvS11_,@function
_ZN7rocprim17ROCPRIM_400000_NS6detail17trampoline_kernelINS0_14default_configENS1_21merge_config_selectorINS0_5tupleIJddEEENS0_10empty_typeEEEZNS1_10merge_implIS3_NS0_12zip_iteratorINS5_IJN6thrust23THRUST_200600_302600_NS6detail15normal_iteratorINSC_10device_ptrIKdEEEESI_EEEEESK_NSA_INS5_IJNSC_16discard_iteratorINSC_11use_defaultEEESN_EEEEEPS7_SQ_SQ_NSC_11hip_rocprim7__merge17predicate_wrapperIddNSC_4lessIdEEEEEE10hipError_tPvRmT0_T1_T2_T3_T4_T5_mmT6_P12ihipStream_tbEUlT_E_NS1_11comp_targetILNS1_3genE10ELNS1_11target_archE1200ELNS1_3gpuE4ELNS1_3repE0EEENS1_30default_config_static_selectorELNS0_4arch9wavefront6targetE0EEEvS11_: ; @_ZN7rocprim17ROCPRIM_400000_NS6detail17trampoline_kernelINS0_14default_configENS1_21merge_config_selectorINS0_5tupleIJddEEENS0_10empty_typeEEEZNS1_10merge_implIS3_NS0_12zip_iteratorINS5_IJN6thrust23THRUST_200600_302600_NS6detail15normal_iteratorINSC_10device_ptrIKdEEEESI_EEEEESK_NSA_INS5_IJNSC_16discard_iteratorINSC_11use_defaultEEESN_EEEEEPS7_SQ_SQ_NSC_11hip_rocprim7__merge17predicate_wrapperIddNSC_4lessIdEEEEEE10hipError_tPvRmT0_T1_T2_T3_T4_T5_mmT6_P12ihipStream_tbEUlT_E_NS1_11comp_targetILNS1_3genE10ELNS1_11target_archE1200ELNS1_3gpuE4ELNS1_3repE0EEENS1_30default_config_static_selectorELNS0_4arch9wavefront6targetE0EEEvS11_
; %bb.0:
	.section	.rodata,"a",@progbits
	.p2align	6, 0x0
	.amdhsa_kernel _ZN7rocprim17ROCPRIM_400000_NS6detail17trampoline_kernelINS0_14default_configENS1_21merge_config_selectorINS0_5tupleIJddEEENS0_10empty_typeEEEZNS1_10merge_implIS3_NS0_12zip_iteratorINS5_IJN6thrust23THRUST_200600_302600_NS6detail15normal_iteratorINSC_10device_ptrIKdEEEESI_EEEEESK_NSA_INS5_IJNSC_16discard_iteratorINSC_11use_defaultEEESN_EEEEEPS7_SQ_SQ_NSC_11hip_rocprim7__merge17predicate_wrapperIddNSC_4lessIdEEEEEE10hipError_tPvRmT0_T1_T2_T3_T4_T5_mmT6_P12ihipStream_tbEUlT_E_NS1_11comp_targetILNS1_3genE10ELNS1_11target_archE1200ELNS1_3gpuE4ELNS1_3repE0EEENS1_30default_config_static_selectorELNS0_4arch9wavefront6targetE0EEEvS11_
		.amdhsa_group_segment_fixed_size 0
		.amdhsa_private_segment_fixed_size 0
		.amdhsa_kernarg_size 64
		.amdhsa_user_sgpr_count 6
		.amdhsa_user_sgpr_private_segment_buffer 1
		.amdhsa_user_sgpr_dispatch_ptr 0
		.amdhsa_user_sgpr_queue_ptr 0
		.amdhsa_user_sgpr_kernarg_segment_ptr 1
		.amdhsa_user_sgpr_dispatch_id 0
		.amdhsa_user_sgpr_flat_scratch_init 0
		.amdhsa_user_sgpr_private_segment_size 0
		.amdhsa_wavefront_size32 1
		.amdhsa_uses_dynamic_stack 0
		.amdhsa_system_sgpr_private_segment_wavefront_offset 0
		.amdhsa_system_sgpr_workgroup_id_x 1
		.amdhsa_system_sgpr_workgroup_id_y 0
		.amdhsa_system_sgpr_workgroup_id_z 0
		.amdhsa_system_sgpr_workgroup_info 0
		.amdhsa_system_vgpr_workitem_id 0
		.amdhsa_next_free_vgpr 1
		.amdhsa_next_free_sgpr 1
		.amdhsa_reserve_vcc 0
		.amdhsa_reserve_flat_scratch 0
		.amdhsa_float_round_mode_32 0
		.amdhsa_float_round_mode_16_64 0
		.amdhsa_float_denorm_mode_32 3
		.amdhsa_float_denorm_mode_16_64 3
		.amdhsa_dx10_clamp 1
		.amdhsa_ieee_mode 1
		.amdhsa_fp16_overflow 0
		.amdhsa_workgroup_processor_mode 1
		.amdhsa_memory_ordered 1
		.amdhsa_forward_progress 1
		.amdhsa_shared_vgpr_count 0
		.amdhsa_exception_fp_ieee_invalid_op 0
		.amdhsa_exception_fp_denorm_src 0
		.amdhsa_exception_fp_ieee_div_zero 0
		.amdhsa_exception_fp_ieee_overflow 0
		.amdhsa_exception_fp_ieee_underflow 0
		.amdhsa_exception_fp_ieee_inexact 0
		.amdhsa_exception_int_div_zero 0
	.end_amdhsa_kernel
	.section	.text._ZN7rocprim17ROCPRIM_400000_NS6detail17trampoline_kernelINS0_14default_configENS1_21merge_config_selectorINS0_5tupleIJddEEENS0_10empty_typeEEEZNS1_10merge_implIS3_NS0_12zip_iteratorINS5_IJN6thrust23THRUST_200600_302600_NS6detail15normal_iteratorINSC_10device_ptrIKdEEEESI_EEEEESK_NSA_INS5_IJNSC_16discard_iteratorINSC_11use_defaultEEESN_EEEEEPS7_SQ_SQ_NSC_11hip_rocprim7__merge17predicate_wrapperIddNSC_4lessIdEEEEEE10hipError_tPvRmT0_T1_T2_T3_T4_T5_mmT6_P12ihipStream_tbEUlT_E_NS1_11comp_targetILNS1_3genE10ELNS1_11target_archE1200ELNS1_3gpuE4ELNS1_3repE0EEENS1_30default_config_static_selectorELNS0_4arch9wavefront6targetE0EEEvS11_,"axG",@progbits,_ZN7rocprim17ROCPRIM_400000_NS6detail17trampoline_kernelINS0_14default_configENS1_21merge_config_selectorINS0_5tupleIJddEEENS0_10empty_typeEEEZNS1_10merge_implIS3_NS0_12zip_iteratorINS5_IJN6thrust23THRUST_200600_302600_NS6detail15normal_iteratorINSC_10device_ptrIKdEEEESI_EEEEESK_NSA_INS5_IJNSC_16discard_iteratorINSC_11use_defaultEEESN_EEEEEPS7_SQ_SQ_NSC_11hip_rocprim7__merge17predicate_wrapperIddNSC_4lessIdEEEEEE10hipError_tPvRmT0_T1_T2_T3_T4_T5_mmT6_P12ihipStream_tbEUlT_E_NS1_11comp_targetILNS1_3genE10ELNS1_11target_archE1200ELNS1_3gpuE4ELNS1_3repE0EEENS1_30default_config_static_selectorELNS0_4arch9wavefront6targetE0EEEvS11_,comdat
.Lfunc_end485:
	.size	_ZN7rocprim17ROCPRIM_400000_NS6detail17trampoline_kernelINS0_14default_configENS1_21merge_config_selectorINS0_5tupleIJddEEENS0_10empty_typeEEEZNS1_10merge_implIS3_NS0_12zip_iteratorINS5_IJN6thrust23THRUST_200600_302600_NS6detail15normal_iteratorINSC_10device_ptrIKdEEEESI_EEEEESK_NSA_INS5_IJNSC_16discard_iteratorINSC_11use_defaultEEESN_EEEEEPS7_SQ_SQ_NSC_11hip_rocprim7__merge17predicate_wrapperIddNSC_4lessIdEEEEEE10hipError_tPvRmT0_T1_T2_T3_T4_T5_mmT6_P12ihipStream_tbEUlT_E_NS1_11comp_targetILNS1_3genE10ELNS1_11target_archE1200ELNS1_3gpuE4ELNS1_3repE0EEENS1_30default_config_static_selectorELNS0_4arch9wavefront6targetE0EEEvS11_, .Lfunc_end485-_ZN7rocprim17ROCPRIM_400000_NS6detail17trampoline_kernelINS0_14default_configENS1_21merge_config_selectorINS0_5tupleIJddEEENS0_10empty_typeEEEZNS1_10merge_implIS3_NS0_12zip_iteratorINS5_IJN6thrust23THRUST_200600_302600_NS6detail15normal_iteratorINSC_10device_ptrIKdEEEESI_EEEEESK_NSA_INS5_IJNSC_16discard_iteratorINSC_11use_defaultEEESN_EEEEEPS7_SQ_SQ_NSC_11hip_rocprim7__merge17predicate_wrapperIddNSC_4lessIdEEEEEE10hipError_tPvRmT0_T1_T2_T3_T4_T5_mmT6_P12ihipStream_tbEUlT_E_NS1_11comp_targetILNS1_3genE10ELNS1_11target_archE1200ELNS1_3gpuE4ELNS1_3repE0EEENS1_30default_config_static_selectorELNS0_4arch9wavefront6targetE0EEEvS11_
                                        ; -- End function
	.set _ZN7rocprim17ROCPRIM_400000_NS6detail17trampoline_kernelINS0_14default_configENS1_21merge_config_selectorINS0_5tupleIJddEEENS0_10empty_typeEEEZNS1_10merge_implIS3_NS0_12zip_iteratorINS5_IJN6thrust23THRUST_200600_302600_NS6detail15normal_iteratorINSC_10device_ptrIKdEEEESI_EEEEESK_NSA_INS5_IJNSC_16discard_iteratorINSC_11use_defaultEEESN_EEEEEPS7_SQ_SQ_NSC_11hip_rocprim7__merge17predicate_wrapperIddNSC_4lessIdEEEEEE10hipError_tPvRmT0_T1_T2_T3_T4_T5_mmT6_P12ihipStream_tbEUlT_E_NS1_11comp_targetILNS1_3genE10ELNS1_11target_archE1200ELNS1_3gpuE4ELNS1_3repE0EEENS1_30default_config_static_selectorELNS0_4arch9wavefront6targetE0EEEvS11_.num_vgpr, 0
	.set _ZN7rocprim17ROCPRIM_400000_NS6detail17trampoline_kernelINS0_14default_configENS1_21merge_config_selectorINS0_5tupleIJddEEENS0_10empty_typeEEEZNS1_10merge_implIS3_NS0_12zip_iteratorINS5_IJN6thrust23THRUST_200600_302600_NS6detail15normal_iteratorINSC_10device_ptrIKdEEEESI_EEEEESK_NSA_INS5_IJNSC_16discard_iteratorINSC_11use_defaultEEESN_EEEEEPS7_SQ_SQ_NSC_11hip_rocprim7__merge17predicate_wrapperIddNSC_4lessIdEEEEEE10hipError_tPvRmT0_T1_T2_T3_T4_T5_mmT6_P12ihipStream_tbEUlT_E_NS1_11comp_targetILNS1_3genE10ELNS1_11target_archE1200ELNS1_3gpuE4ELNS1_3repE0EEENS1_30default_config_static_selectorELNS0_4arch9wavefront6targetE0EEEvS11_.num_agpr, 0
	.set _ZN7rocprim17ROCPRIM_400000_NS6detail17trampoline_kernelINS0_14default_configENS1_21merge_config_selectorINS0_5tupleIJddEEENS0_10empty_typeEEEZNS1_10merge_implIS3_NS0_12zip_iteratorINS5_IJN6thrust23THRUST_200600_302600_NS6detail15normal_iteratorINSC_10device_ptrIKdEEEESI_EEEEESK_NSA_INS5_IJNSC_16discard_iteratorINSC_11use_defaultEEESN_EEEEEPS7_SQ_SQ_NSC_11hip_rocprim7__merge17predicate_wrapperIddNSC_4lessIdEEEEEE10hipError_tPvRmT0_T1_T2_T3_T4_T5_mmT6_P12ihipStream_tbEUlT_E_NS1_11comp_targetILNS1_3genE10ELNS1_11target_archE1200ELNS1_3gpuE4ELNS1_3repE0EEENS1_30default_config_static_selectorELNS0_4arch9wavefront6targetE0EEEvS11_.numbered_sgpr, 0
	.set _ZN7rocprim17ROCPRIM_400000_NS6detail17trampoline_kernelINS0_14default_configENS1_21merge_config_selectorINS0_5tupleIJddEEENS0_10empty_typeEEEZNS1_10merge_implIS3_NS0_12zip_iteratorINS5_IJN6thrust23THRUST_200600_302600_NS6detail15normal_iteratorINSC_10device_ptrIKdEEEESI_EEEEESK_NSA_INS5_IJNSC_16discard_iteratorINSC_11use_defaultEEESN_EEEEEPS7_SQ_SQ_NSC_11hip_rocprim7__merge17predicate_wrapperIddNSC_4lessIdEEEEEE10hipError_tPvRmT0_T1_T2_T3_T4_T5_mmT6_P12ihipStream_tbEUlT_E_NS1_11comp_targetILNS1_3genE10ELNS1_11target_archE1200ELNS1_3gpuE4ELNS1_3repE0EEENS1_30default_config_static_selectorELNS0_4arch9wavefront6targetE0EEEvS11_.num_named_barrier, 0
	.set _ZN7rocprim17ROCPRIM_400000_NS6detail17trampoline_kernelINS0_14default_configENS1_21merge_config_selectorINS0_5tupleIJddEEENS0_10empty_typeEEEZNS1_10merge_implIS3_NS0_12zip_iteratorINS5_IJN6thrust23THRUST_200600_302600_NS6detail15normal_iteratorINSC_10device_ptrIKdEEEESI_EEEEESK_NSA_INS5_IJNSC_16discard_iteratorINSC_11use_defaultEEESN_EEEEEPS7_SQ_SQ_NSC_11hip_rocprim7__merge17predicate_wrapperIddNSC_4lessIdEEEEEE10hipError_tPvRmT0_T1_T2_T3_T4_T5_mmT6_P12ihipStream_tbEUlT_E_NS1_11comp_targetILNS1_3genE10ELNS1_11target_archE1200ELNS1_3gpuE4ELNS1_3repE0EEENS1_30default_config_static_selectorELNS0_4arch9wavefront6targetE0EEEvS11_.private_seg_size, 0
	.set _ZN7rocprim17ROCPRIM_400000_NS6detail17trampoline_kernelINS0_14default_configENS1_21merge_config_selectorINS0_5tupleIJddEEENS0_10empty_typeEEEZNS1_10merge_implIS3_NS0_12zip_iteratorINS5_IJN6thrust23THRUST_200600_302600_NS6detail15normal_iteratorINSC_10device_ptrIKdEEEESI_EEEEESK_NSA_INS5_IJNSC_16discard_iteratorINSC_11use_defaultEEESN_EEEEEPS7_SQ_SQ_NSC_11hip_rocprim7__merge17predicate_wrapperIddNSC_4lessIdEEEEEE10hipError_tPvRmT0_T1_T2_T3_T4_T5_mmT6_P12ihipStream_tbEUlT_E_NS1_11comp_targetILNS1_3genE10ELNS1_11target_archE1200ELNS1_3gpuE4ELNS1_3repE0EEENS1_30default_config_static_selectorELNS0_4arch9wavefront6targetE0EEEvS11_.uses_vcc, 0
	.set _ZN7rocprim17ROCPRIM_400000_NS6detail17trampoline_kernelINS0_14default_configENS1_21merge_config_selectorINS0_5tupleIJddEEENS0_10empty_typeEEEZNS1_10merge_implIS3_NS0_12zip_iteratorINS5_IJN6thrust23THRUST_200600_302600_NS6detail15normal_iteratorINSC_10device_ptrIKdEEEESI_EEEEESK_NSA_INS5_IJNSC_16discard_iteratorINSC_11use_defaultEEESN_EEEEEPS7_SQ_SQ_NSC_11hip_rocprim7__merge17predicate_wrapperIddNSC_4lessIdEEEEEE10hipError_tPvRmT0_T1_T2_T3_T4_T5_mmT6_P12ihipStream_tbEUlT_E_NS1_11comp_targetILNS1_3genE10ELNS1_11target_archE1200ELNS1_3gpuE4ELNS1_3repE0EEENS1_30default_config_static_selectorELNS0_4arch9wavefront6targetE0EEEvS11_.uses_flat_scratch, 0
	.set _ZN7rocprim17ROCPRIM_400000_NS6detail17trampoline_kernelINS0_14default_configENS1_21merge_config_selectorINS0_5tupleIJddEEENS0_10empty_typeEEEZNS1_10merge_implIS3_NS0_12zip_iteratorINS5_IJN6thrust23THRUST_200600_302600_NS6detail15normal_iteratorINSC_10device_ptrIKdEEEESI_EEEEESK_NSA_INS5_IJNSC_16discard_iteratorINSC_11use_defaultEEESN_EEEEEPS7_SQ_SQ_NSC_11hip_rocprim7__merge17predicate_wrapperIddNSC_4lessIdEEEEEE10hipError_tPvRmT0_T1_T2_T3_T4_T5_mmT6_P12ihipStream_tbEUlT_E_NS1_11comp_targetILNS1_3genE10ELNS1_11target_archE1200ELNS1_3gpuE4ELNS1_3repE0EEENS1_30default_config_static_selectorELNS0_4arch9wavefront6targetE0EEEvS11_.has_dyn_sized_stack, 0
	.set _ZN7rocprim17ROCPRIM_400000_NS6detail17trampoline_kernelINS0_14default_configENS1_21merge_config_selectorINS0_5tupleIJddEEENS0_10empty_typeEEEZNS1_10merge_implIS3_NS0_12zip_iteratorINS5_IJN6thrust23THRUST_200600_302600_NS6detail15normal_iteratorINSC_10device_ptrIKdEEEESI_EEEEESK_NSA_INS5_IJNSC_16discard_iteratorINSC_11use_defaultEEESN_EEEEEPS7_SQ_SQ_NSC_11hip_rocprim7__merge17predicate_wrapperIddNSC_4lessIdEEEEEE10hipError_tPvRmT0_T1_T2_T3_T4_T5_mmT6_P12ihipStream_tbEUlT_E_NS1_11comp_targetILNS1_3genE10ELNS1_11target_archE1200ELNS1_3gpuE4ELNS1_3repE0EEENS1_30default_config_static_selectorELNS0_4arch9wavefront6targetE0EEEvS11_.has_recursion, 0
	.set _ZN7rocprim17ROCPRIM_400000_NS6detail17trampoline_kernelINS0_14default_configENS1_21merge_config_selectorINS0_5tupleIJddEEENS0_10empty_typeEEEZNS1_10merge_implIS3_NS0_12zip_iteratorINS5_IJN6thrust23THRUST_200600_302600_NS6detail15normal_iteratorINSC_10device_ptrIKdEEEESI_EEEEESK_NSA_INS5_IJNSC_16discard_iteratorINSC_11use_defaultEEESN_EEEEEPS7_SQ_SQ_NSC_11hip_rocprim7__merge17predicate_wrapperIddNSC_4lessIdEEEEEE10hipError_tPvRmT0_T1_T2_T3_T4_T5_mmT6_P12ihipStream_tbEUlT_E_NS1_11comp_targetILNS1_3genE10ELNS1_11target_archE1200ELNS1_3gpuE4ELNS1_3repE0EEENS1_30default_config_static_selectorELNS0_4arch9wavefront6targetE0EEEvS11_.has_indirect_call, 0
	.section	.AMDGPU.csdata,"",@progbits
; Kernel info:
; codeLenInByte = 0
; TotalNumSgprs: 0
; NumVgprs: 0
; ScratchSize: 0
; MemoryBound: 0
; FloatMode: 240
; IeeeMode: 1
; LDSByteSize: 0 bytes/workgroup (compile time only)
; SGPRBlocks: 0
; VGPRBlocks: 0
; NumSGPRsForWavesPerEU: 1
; NumVGPRsForWavesPerEU: 1
; Occupancy: 16
; WaveLimiterHint : 0
; COMPUTE_PGM_RSRC2:SCRATCH_EN: 0
; COMPUTE_PGM_RSRC2:USER_SGPR: 6
; COMPUTE_PGM_RSRC2:TRAP_HANDLER: 0
; COMPUTE_PGM_RSRC2:TGID_X_EN: 1
; COMPUTE_PGM_RSRC2:TGID_Y_EN: 0
; COMPUTE_PGM_RSRC2:TGID_Z_EN: 0
; COMPUTE_PGM_RSRC2:TIDIG_COMP_CNT: 0
	.section	.text._ZN7rocprim17ROCPRIM_400000_NS6detail17trampoline_kernelINS0_14default_configENS1_21merge_config_selectorINS0_5tupleIJddEEENS0_10empty_typeEEEZNS1_10merge_implIS3_NS0_12zip_iteratorINS5_IJN6thrust23THRUST_200600_302600_NS6detail15normal_iteratorINSC_10device_ptrIKdEEEESI_EEEEESK_NSA_INS5_IJNSC_16discard_iteratorINSC_11use_defaultEEESN_EEEEEPS7_SQ_SQ_NSC_11hip_rocprim7__merge17predicate_wrapperIddNSC_4lessIdEEEEEE10hipError_tPvRmT0_T1_T2_T3_T4_T5_mmT6_P12ihipStream_tbEUlT_E_NS1_11comp_targetILNS1_3genE9ELNS1_11target_archE1100ELNS1_3gpuE3ELNS1_3repE0EEENS1_30default_config_static_selectorELNS0_4arch9wavefront6targetE0EEEvS11_,"axG",@progbits,_ZN7rocprim17ROCPRIM_400000_NS6detail17trampoline_kernelINS0_14default_configENS1_21merge_config_selectorINS0_5tupleIJddEEENS0_10empty_typeEEEZNS1_10merge_implIS3_NS0_12zip_iteratorINS5_IJN6thrust23THRUST_200600_302600_NS6detail15normal_iteratorINSC_10device_ptrIKdEEEESI_EEEEESK_NSA_INS5_IJNSC_16discard_iteratorINSC_11use_defaultEEESN_EEEEEPS7_SQ_SQ_NSC_11hip_rocprim7__merge17predicate_wrapperIddNSC_4lessIdEEEEEE10hipError_tPvRmT0_T1_T2_T3_T4_T5_mmT6_P12ihipStream_tbEUlT_E_NS1_11comp_targetILNS1_3genE9ELNS1_11target_archE1100ELNS1_3gpuE3ELNS1_3repE0EEENS1_30default_config_static_selectorELNS0_4arch9wavefront6targetE0EEEvS11_,comdat
	.protected	_ZN7rocprim17ROCPRIM_400000_NS6detail17trampoline_kernelINS0_14default_configENS1_21merge_config_selectorINS0_5tupleIJddEEENS0_10empty_typeEEEZNS1_10merge_implIS3_NS0_12zip_iteratorINS5_IJN6thrust23THRUST_200600_302600_NS6detail15normal_iteratorINSC_10device_ptrIKdEEEESI_EEEEESK_NSA_INS5_IJNSC_16discard_iteratorINSC_11use_defaultEEESN_EEEEEPS7_SQ_SQ_NSC_11hip_rocprim7__merge17predicate_wrapperIddNSC_4lessIdEEEEEE10hipError_tPvRmT0_T1_T2_T3_T4_T5_mmT6_P12ihipStream_tbEUlT_E_NS1_11comp_targetILNS1_3genE9ELNS1_11target_archE1100ELNS1_3gpuE3ELNS1_3repE0EEENS1_30default_config_static_selectorELNS0_4arch9wavefront6targetE0EEEvS11_ ; -- Begin function _ZN7rocprim17ROCPRIM_400000_NS6detail17trampoline_kernelINS0_14default_configENS1_21merge_config_selectorINS0_5tupleIJddEEENS0_10empty_typeEEEZNS1_10merge_implIS3_NS0_12zip_iteratorINS5_IJN6thrust23THRUST_200600_302600_NS6detail15normal_iteratorINSC_10device_ptrIKdEEEESI_EEEEESK_NSA_INS5_IJNSC_16discard_iteratorINSC_11use_defaultEEESN_EEEEEPS7_SQ_SQ_NSC_11hip_rocprim7__merge17predicate_wrapperIddNSC_4lessIdEEEEEE10hipError_tPvRmT0_T1_T2_T3_T4_T5_mmT6_P12ihipStream_tbEUlT_E_NS1_11comp_targetILNS1_3genE9ELNS1_11target_archE1100ELNS1_3gpuE3ELNS1_3repE0EEENS1_30default_config_static_selectorELNS0_4arch9wavefront6targetE0EEEvS11_
	.globl	_ZN7rocprim17ROCPRIM_400000_NS6detail17trampoline_kernelINS0_14default_configENS1_21merge_config_selectorINS0_5tupleIJddEEENS0_10empty_typeEEEZNS1_10merge_implIS3_NS0_12zip_iteratorINS5_IJN6thrust23THRUST_200600_302600_NS6detail15normal_iteratorINSC_10device_ptrIKdEEEESI_EEEEESK_NSA_INS5_IJNSC_16discard_iteratorINSC_11use_defaultEEESN_EEEEEPS7_SQ_SQ_NSC_11hip_rocprim7__merge17predicate_wrapperIddNSC_4lessIdEEEEEE10hipError_tPvRmT0_T1_T2_T3_T4_T5_mmT6_P12ihipStream_tbEUlT_E_NS1_11comp_targetILNS1_3genE9ELNS1_11target_archE1100ELNS1_3gpuE3ELNS1_3repE0EEENS1_30default_config_static_selectorELNS0_4arch9wavefront6targetE0EEEvS11_
	.p2align	8
	.type	_ZN7rocprim17ROCPRIM_400000_NS6detail17trampoline_kernelINS0_14default_configENS1_21merge_config_selectorINS0_5tupleIJddEEENS0_10empty_typeEEEZNS1_10merge_implIS3_NS0_12zip_iteratorINS5_IJN6thrust23THRUST_200600_302600_NS6detail15normal_iteratorINSC_10device_ptrIKdEEEESI_EEEEESK_NSA_INS5_IJNSC_16discard_iteratorINSC_11use_defaultEEESN_EEEEEPS7_SQ_SQ_NSC_11hip_rocprim7__merge17predicate_wrapperIddNSC_4lessIdEEEEEE10hipError_tPvRmT0_T1_T2_T3_T4_T5_mmT6_P12ihipStream_tbEUlT_E_NS1_11comp_targetILNS1_3genE9ELNS1_11target_archE1100ELNS1_3gpuE3ELNS1_3repE0EEENS1_30default_config_static_selectorELNS0_4arch9wavefront6targetE0EEEvS11_,@function
_ZN7rocprim17ROCPRIM_400000_NS6detail17trampoline_kernelINS0_14default_configENS1_21merge_config_selectorINS0_5tupleIJddEEENS0_10empty_typeEEEZNS1_10merge_implIS3_NS0_12zip_iteratorINS5_IJN6thrust23THRUST_200600_302600_NS6detail15normal_iteratorINSC_10device_ptrIKdEEEESI_EEEEESK_NSA_INS5_IJNSC_16discard_iteratorINSC_11use_defaultEEESN_EEEEEPS7_SQ_SQ_NSC_11hip_rocprim7__merge17predicate_wrapperIddNSC_4lessIdEEEEEE10hipError_tPvRmT0_T1_T2_T3_T4_T5_mmT6_P12ihipStream_tbEUlT_E_NS1_11comp_targetILNS1_3genE9ELNS1_11target_archE1100ELNS1_3gpuE3ELNS1_3repE0EEENS1_30default_config_static_selectorELNS0_4arch9wavefront6targetE0EEEvS11_: ; @_ZN7rocprim17ROCPRIM_400000_NS6detail17trampoline_kernelINS0_14default_configENS1_21merge_config_selectorINS0_5tupleIJddEEENS0_10empty_typeEEEZNS1_10merge_implIS3_NS0_12zip_iteratorINS5_IJN6thrust23THRUST_200600_302600_NS6detail15normal_iteratorINSC_10device_ptrIKdEEEESI_EEEEESK_NSA_INS5_IJNSC_16discard_iteratorINSC_11use_defaultEEESN_EEEEEPS7_SQ_SQ_NSC_11hip_rocprim7__merge17predicate_wrapperIddNSC_4lessIdEEEEEE10hipError_tPvRmT0_T1_T2_T3_T4_T5_mmT6_P12ihipStream_tbEUlT_E_NS1_11comp_targetILNS1_3genE9ELNS1_11target_archE1100ELNS1_3gpuE3ELNS1_3repE0EEENS1_30default_config_static_selectorELNS0_4arch9wavefront6targetE0EEEvS11_
; %bb.0:
	.section	.rodata,"a",@progbits
	.p2align	6, 0x0
	.amdhsa_kernel _ZN7rocprim17ROCPRIM_400000_NS6detail17trampoline_kernelINS0_14default_configENS1_21merge_config_selectorINS0_5tupleIJddEEENS0_10empty_typeEEEZNS1_10merge_implIS3_NS0_12zip_iteratorINS5_IJN6thrust23THRUST_200600_302600_NS6detail15normal_iteratorINSC_10device_ptrIKdEEEESI_EEEEESK_NSA_INS5_IJNSC_16discard_iteratorINSC_11use_defaultEEESN_EEEEEPS7_SQ_SQ_NSC_11hip_rocprim7__merge17predicate_wrapperIddNSC_4lessIdEEEEEE10hipError_tPvRmT0_T1_T2_T3_T4_T5_mmT6_P12ihipStream_tbEUlT_E_NS1_11comp_targetILNS1_3genE9ELNS1_11target_archE1100ELNS1_3gpuE3ELNS1_3repE0EEENS1_30default_config_static_selectorELNS0_4arch9wavefront6targetE0EEEvS11_
		.amdhsa_group_segment_fixed_size 0
		.amdhsa_private_segment_fixed_size 0
		.amdhsa_kernarg_size 64
		.amdhsa_user_sgpr_count 6
		.amdhsa_user_sgpr_private_segment_buffer 1
		.amdhsa_user_sgpr_dispatch_ptr 0
		.amdhsa_user_sgpr_queue_ptr 0
		.amdhsa_user_sgpr_kernarg_segment_ptr 1
		.amdhsa_user_sgpr_dispatch_id 0
		.amdhsa_user_sgpr_flat_scratch_init 0
		.amdhsa_user_sgpr_private_segment_size 0
		.amdhsa_wavefront_size32 1
		.amdhsa_uses_dynamic_stack 0
		.amdhsa_system_sgpr_private_segment_wavefront_offset 0
		.amdhsa_system_sgpr_workgroup_id_x 1
		.amdhsa_system_sgpr_workgroup_id_y 0
		.amdhsa_system_sgpr_workgroup_id_z 0
		.amdhsa_system_sgpr_workgroup_info 0
		.amdhsa_system_vgpr_workitem_id 0
		.amdhsa_next_free_vgpr 1
		.amdhsa_next_free_sgpr 1
		.amdhsa_reserve_vcc 0
		.amdhsa_reserve_flat_scratch 0
		.amdhsa_float_round_mode_32 0
		.amdhsa_float_round_mode_16_64 0
		.amdhsa_float_denorm_mode_32 3
		.amdhsa_float_denorm_mode_16_64 3
		.amdhsa_dx10_clamp 1
		.amdhsa_ieee_mode 1
		.amdhsa_fp16_overflow 0
		.amdhsa_workgroup_processor_mode 1
		.amdhsa_memory_ordered 1
		.amdhsa_forward_progress 1
		.amdhsa_shared_vgpr_count 0
		.amdhsa_exception_fp_ieee_invalid_op 0
		.amdhsa_exception_fp_denorm_src 0
		.amdhsa_exception_fp_ieee_div_zero 0
		.amdhsa_exception_fp_ieee_overflow 0
		.amdhsa_exception_fp_ieee_underflow 0
		.amdhsa_exception_fp_ieee_inexact 0
		.amdhsa_exception_int_div_zero 0
	.end_amdhsa_kernel
	.section	.text._ZN7rocprim17ROCPRIM_400000_NS6detail17trampoline_kernelINS0_14default_configENS1_21merge_config_selectorINS0_5tupleIJddEEENS0_10empty_typeEEEZNS1_10merge_implIS3_NS0_12zip_iteratorINS5_IJN6thrust23THRUST_200600_302600_NS6detail15normal_iteratorINSC_10device_ptrIKdEEEESI_EEEEESK_NSA_INS5_IJNSC_16discard_iteratorINSC_11use_defaultEEESN_EEEEEPS7_SQ_SQ_NSC_11hip_rocprim7__merge17predicate_wrapperIddNSC_4lessIdEEEEEE10hipError_tPvRmT0_T1_T2_T3_T4_T5_mmT6_P12ihipStream_tbEUlT_E_NS1_11comp_targetILNS1_3genE9ELNS1_11target_archE1100ELNS1_3gpuE3ELNS1_3repE0EEENS1_30default_config_static_selectorELNS0_4arch9wavefront6targetE0EEEvS11_,"axG",@progbits,_ZN7rocprim17ROCPRIM_400000_NS6detail17trampoline_kernelINS0_14default_configENS1_21merge_config_selectorINS0_5tupleIJddEEENS0_10empty_typeEEEZNS1_10merge_implIS3_NS0_12zip_iteratorINS5_IJN6thrust23THRUST_200600_302600_NS6detail15normal_iteratorINSC_10device_ptrIKdEEEESI_EEEEESK_NSA_INS5_IJNSC_16discard_iteratorINSC_11use_defaultEEESN_EEEEEPS7_SQ_SQ_NSC_11hip_rocprim7__merge17predicate_wrapperIddNSC_4lessIdEEEEEE10hipError_tPvRmT0_T1_T2_T3_T4_T5_mmT6_P12ihipStream_tbEUlT_E_NS1_11comp_targetILNS1_3genE9ELNS1_11target_archE1100ELNS1_3gpuE3ELNS1_3repE0EEENS1_30default_config_static_selectorELNS0_4arch9wavefront6targetE0EEEvS11_,comdat
.Lfunc_end486:
	.size	_ZN7rocprim17ROCPRIM_400000_NS6detail17trampoline_kernelINS0_14default_configENS1_21merge_config_selectorINS0_5tupleIJddEEENS0_10empty_typeEEEZNS1_10merge_implIS3_NS0_12zip_iteratorINS5_IJN6thrust23THRUST_200600_302600_NS6detail15normal_iteratorINSC_10device_ptrIKdEEEESI_EEEEESK_NSA_INS5_IJNSC_16discard_iteratorINSC_11use_defaultEEESN_EEEEEPS7_SQ_SQ_NSC_11hip_rocprim7__merge17predicate_wrapperIddNSC_4lessIdEEEEEE10hipError_tPvRmT0_T1_T2_T3_T4_T5_mmT6_P12ihipStream_tbEUlT_E_NS1_11comp_targetILNS1_3genE9ELNS1_11target_archE1100ELNS1_3gpuE3ELNS1_3repE0EEENS1_30default_config_static_selectorELNS0_4arch9wavefront6targetE0EEEvS11_, .Lfunc_end486-_ZN7rocprim17ROCPRIM_400000_NS6detail17trampoline_kernelINS0_14default_configENS1_21merge_config_selectorINS0_5tupleIJddEEENS0_10empty_typeEEEZNS1_10merge_implIS3_NS0_12zip_iteratorINS5_IJN6thrust23THRUST_200600_302600_NS6detail15normal_iteratorINSC_10device_ptrIKdEEEESI_EEEEESK_NSA_INS5_IJNSC_16discard_iteratorINSC_11use_defaultEEESN_EEEEEPS7_SQ_SQ_NSC_11hip_rocprim7__merge17predicate_wrapperIddNSC_4lessIdEEEEEE10hipError_tPvRmT0_T1_T2_T3_T4_T5_mmT6_P12ihipStream_tbEUlT_E_NS1_11comp_targetILNS1_3genE9ELNS1_11target_archE1100ELNS1_3gpuE3ELNS1_3repE0EEENS1_30default_config_static_selectorELNS0_4arch9wavefront6targetE0EEEvS11_
                                        ; -- End function
	.set _ZN7rocprim17ROCPRIM_400000_NS6detail17trampoline_kernelINS0_14default_configENS1_21merge_config_selectorINS0_5tupleIJddEEENS0_10empty_typeEEEZNS1_10merge_implIS3_NS0_12zip_iteratorINS5_IJN6thrust23THRUST_200600_302600_NS6detail15normal_iteratorINSC_10device_ptrIKdEEEESI_EEEEESK_NSA_INS5_IJNSC_16discard_iteratorINSC_11use_defaultEEESN_EEEEEPS7_SQ_SQ_NSC_11hip_rocprim7__merge17predicate_wrapperIddNSC_4lessIdEEEEEE10hipError_tPvRmT0_T1_T2_T3_T4_T5_mmT6_P12ihipStream_tbEUlT_E_NS1_11comp_targetILNS1_3genE9ELNS1_11target_archE1100ELNS1_3gpuE3ELNS1_3repE0EEENS1_30default_config_static_selectorELNS0_4arch9wavefront6targetE0EEEvS11_.num_vgpr, 0
	.set _ZN7rocprim17ROCPRIM_400000_NS6detail17trampoline_kernelINS0_14default_configENS1_21merge_config_selectorINS0_5tupleIJddEEENS0_10empty_typeEEEZNS1_10merge_implIS3_NS0_12zip_iteratorINS5_IJN6thrust23THRUST_200600_302600_NS6detail15normal_iteratorINSC_10device_ptrIKdEEEESI_EEEEESK_NSA_INS5_IJNSC_16discard_iteratorINSC_11use_defaultEEESN_EEEEEPS7_SQ_SQ_NSC_11hip_rocprim7__merge17predicate_wrapperIddNSC_4lessIdEEEEEE10hipError_tPvRmT0_T1_T2_T3_T4_T5_mmT6_P12ihipStream_tbEUlT_E_NS1_11comp_targetILNS1_3genE9ELNS1_11target_archE1100ELNS1_3gpuE3ELNS1_3repE0EEENS1_30default_config_static_selectorELNS0_4arch9wavefront6targetE0EEEvS11_.num_agpr, 0
	.set _ZN7rocprim17ROCPRIM_400000_NS6detail17trampoline_kernelINS0_14default_configENS1_21merge_config_selectorINS0_5tupleIJddEEENS0_10empty_typeEEEZNS1_10merge_implIS3_NS0_12zip_iteratorINS5_IJN6thrust23THRUST_200600_302600_NS6detail15normal_iteratorINSC_10device_ptrIKdEEEESI_EEEEESK_NSA_INS5_IJNSC_16discard_iteratorINSC_11use_defaultEEESN_EEEEEPS7_SQ_SQ_NSC_11hip_rocprim7__merge17predicate_wrapperIddNSC_4lessIdEEEEEE10hipError_tPvRmT0_T1_T2_T3_T4_T5_mmT6_P12ihipStream_tbEUlT_E_NS1_11comp_targetILNS1_3genE9ELNS1_11target_archE1100ELNS1_3gpuE3ELNS1_3repE0EEENS1_30default_config_static_selectorELNS0_4arch9wavefront6targetE0EEEvS11_.numbered_sgpr, 0
	.set _ZN7rocprim17ROCPRIM_400000_NS6detail17trampoline_kernelINS0_14default_configENS1_21merge_config_selectorINS0_5tupleIJddEEENS0_10empty_typeEEEZNS1_10merge_implIS3_NS0_12zip_iteratorINS5_IJN6thrust23THRUST_200600_302600_NS6detail15normal_iteratorINSC_10device_ptrIKdEEEESI_EEEEESK_NSA_INS5_IJNSC_16discard_iteratorINSC_11use_defaultEEESN_EEEEEPS7_SQ_SQ_NSC_11hip_rocprim7__merge17predicate_wrapperIddNSC_4lessIdEEEEEE10hipError_tPvRmT0_T1_T2_T3_T4_T5_mmT6_P12ihipStream_tbEUlT_E_NS1_11comp_targetILNS1_3genE9ELNS1_11target_archE1100ELNS1_3gpuE3ELNS1_3repE0EEENS1_30default_config_static_selectorELNS0_4arch9wavefront6targetE0EEEvS11_.num_named_barrier, 0
	.set _ZN7rocprim17ROCPRIM_400000_NS6detail17trampoline_kernelINS0_14default_configENS1_21merge_config_selectorINS0_5tupleIJddEEENS0_10empty_typeEEEZNS1_10merge_implIS3_NS0_12zip_iteratorINS5_IJN6thrust23THRUST_200600_302600_NS6detail15normal_iteratorINSC_10device_ptrIKdEEEESI_EEEEESK_NSA_INS5_IJNSC_16discard_iteratorINSC_11use_defaultEEESN_EEEEEPS7_SQ_SQ_NSC_11hip_rocprim7__merge17predicate_wrapperIddNSC_4lessIdEEEEEE10hipError_tPvRmT0_T1_T2_T3_T4_T5_mmT6_P12ihipStream_tbEUlT_E_NS1_11comp_targetILNS1_3genE9ELNS1_11target_archE1100ELNS1_3gpuE3ELNS1_3repE0EEENS1_30default_config_static_selectorELNS0_4arch9wavefront6targetE0EEEvS11_.private_seg_size, 0
	.set _ZN7rocprim17ROCPRIM_400000_NS6detail17trampoline_kernelINS0_14default_configENS1_21merge_config_selectorINS0_5tupleIJddEEENS0_10empty_typeEEEZNS1_10merge_implIS3_NS0_12zip_iteratorINS5_IJN6thrust23THRUST_200600_302600_NS6detail15normal_iteratorINSC_10device_ptrIKdEEEESI_EEEEESK_NSA_INS5_IJNSC_16discard_iteratorINSC_11use_defaultEEESN_EEEEEPS7_SQ_SQ_NSC_11hip_rocprim7__merge17predicate_wrapperIddNSC_4lessIdEEEEEE10hipError_tPvRmT0_T1_T2_T3_T4_T5_mmT6_P12ihipStream_tbEUlT_E_NS1_11comp_targetILNS1_3genE9ELNS1_11target_archE1100ELNS1_3gpuE3ELNS1_3repE0EEENS1_30default_config_static_selectorELNS0_4arch9wavefront6targetE0EEEvS11_.uses_vcc, 0
	.set _ZN7rocprim17ROCPRIM_400000_NS6detail17trampoline_kernelINS0_14default_configENS1_21merge_config_selectorINS0_5tupleIJddEEENS0_10empty_typeEEEZNS1_10merge_implIS3_NS0_12zip_iteratorINS5_IJN6thrust23THRUST_200600_302600_NS6detail15normal_iteratorINSC_10device_ptrIKdEEEESI_EEEEESK_NSA_INS5_IJNSC_16discard_iteratorINSC_11use_defaultEEESN_EEEEEPS7_SQ_SQ_NSC_11hip_rocprim7__merge17predicate_wrapperIddNSC_4lessIdEEEEEE10hipError_tPvRmT0_T1_T2_T3_T4_T5_mmT6_P12ihipStream_tbEUlT_E_NS1_11comp_targetILNS1_3genE9ELNS1_11target_archE1100ELNS1_3gpuE3ELNS1_3repE0EEENS1_30default_config_static_selectorELNS0_4arch9wavefront6targetE0EEEvS11_.uses_flat_scratch, 0
	.set _ZN7rocprim17ROCPRIM_400000_NS6detail17trampoline_kernelINS0_14default_configENS1_21merge_config_selectorINS0_5tupleIJddEEENS0_10empty_typeEEEZNS1_10merge_implIS3_NS0_12zip_iteratorINS5_IJN6thrust23THRUST_200600_302600_NS6detail15normal_iteratorINSC_10device_ptrIKdEEEESI_EEEEESK_NSA_INS5_IJNSC_16discard_iteratorINSC_11use_defaultEEESN_EEEEEPS7_SQ_SQ_NSC_11hip_rocprim7__merge17predicate_wrapperIddNSC_4lessIdEEEEEE10hipError_tPvRmT0_T1_T2_T3_T4_T5_mmT6_P12ihipStream_tbEUlT_E_NS1_11comp_targetILNS1_3genE9ELNS1_11target_archE1100ELNS1_3gpuE3ELNS1_3repE0EEENS1_30default_config_static_selectorELNS0_4arch9wavefront6targetE0EEEvS11_.has_dyn_sized_stack, 0
	.set _ZN7rocprim17ROCPRIM_400000_NS6detail17trampoline_kernelINS0_14default_configENS1_21merge_config_selectorINS0_5tupleIJddEEENS0_10empty_typeEEEZNS1_10merge_implIS3_NS0_12zip_iteratorINS5_IJN6thrust23THRUST_200600_302600_NS6detail15normal_iteratorINSC_10device_ptrIKdEEEESI_EEEEESK_NSA_INS5_IJNSC_16discard_iteratorINSC_11use_defaultEEESN_EEEEEPS7_SQ_SQ_NSC_11hip_rocprim7__merge17predicate_wrapperIddNSC_4lessIdEEEEEE10hipError_tPvRmT0_T1_T2_T3_T4_T5_mmT6_P12ihipStream_tbEUlT_E_NS1_11comp_targetILNS1_3genE9ELNS1_11target_archE1100ELNS1_3gpuE3ELNS1_3repE0EEENS1_30default_config_static_selectorELNS0_4arch9wavefront6targetE0EEEvS11_.has_recursion, 0
	.set _ZN7rocprim17ROCPRIM_400000_NS6detail17trampoline_kernelINS0_14default_configENS1_21merge_config_selectorINS0_5tupleIJddEEENS0_10empty_typeEEEZNS1_10merge_implIS3_NS0_12zip_iteratorINS5_IJN6thrust23THRUST_200600_302600_NS6detail15normal_iteratorINSC_10device_ptrIKdEEEESI_EEEEESK_NSA_INS5_IJNSC_16discard_iteratorINSC_11use_defaultEEESN_EEEEEPS7_SQ_SQ_NSC_11hip_rocprim7__merge17predicate_wrapperIddNSC_4lessIdEEEEEE10hipError_tPvRmT0_T1_T2_T3_T4_T5_mmT6_P12ihipStream_tbEUlT_E_NS1_11comp_targetILNS1_3genE9ELNS1_11target_archE1100ELNS1_3gpuE3ELNS1_3repE0EEENS1_30default_config_static_selectorELNS0_4arch9wavefront6targetE0EEEvS11_.has_indirect_call, 0
	.section	.AMDGPU.csdata,"",@progbits
; Kernel info:
; codeLenInByte = 0
; TotalNumSgprs: 0
; NumVgprs: 0
; ScratchSize: 0
; MemoryBound: 0
; FloatMode: 240
; IeeeMode: 1
; LDSByteSize: 0 bytes/workgroup (compile time only)
; SGPRBlocks: 0
; VGPRBlocks: 0
; NumSGPRsForWavesPerEU: 1
; NumVGPRsForWavesPerEU: 1
; Occupancy: 16
; WaveLimiterHint : 0
; COMPUTE_PGM_RSRC2:SCRATCH_EN: 0
; COMPUTE_PGM_RSRC2:USER_SGPR: 6
; COMPUTE_PGM_RSRC2:TRAP_HANDLER: 0
; COMPUTE_PGM_RSRC2:TGID_X_EN: 1
; COMPUTE_PGM_RSRC2:TGID_Y_EN: 0
; COMPUTE_PGM_RSRC2:TGID_Z_EN: 0
; COMPUTE_PGM_RSRC2:TIDIG_COMP_CNT: 0
	.section	.text._ZN7rocprim17ROCPRIM_400000_NS6detail17trampoline_kernelINS0_14default_configENS1_21merge_config_selectorINS0_5tupleIJddEEENS0_10empty_typeEEEZNS1_10merge_implIS3_NS0_12zip_iteratorINS5_IJN6thrust23THRUST_200600_302600_NS6detail15normal_iteratorINSC_10device_ptrIKdEEEESI_EEEEESK_NSA_INS5_IJNSC_16discard_iteratorINSC_11use_defaultEEESN_EEEEEPS7_SQ_SQ_NSC_11hip_rocprim7__merge17predicate_wrapperIddNSC_4lessIdEEEEEE10hipError_tPvRmT0_T1_T2_T3_T4_T5_mmT6_P12ihipStream_tbEUlT_E_NS1_11comp_targetILNS1_3genE8ELNS1_11target_archE1030ELNS1_3gpuE2ELNS1_3repE0EEENS1_30default_config_static_selectorELNS0_4arch9wavefront6targetE0EEEvS11_,"axG",@progbits,_ZN7rocprim17ROCPRIM_400000_NS6detail17trampoline_kernelINS0_14default_configENS1_21merge_config_selectorINS0_5tupleIJddEEENS0_10empty_typeEEEZNS1_10merge_implIS3_NS0_12zip_iteratorINS5_IJN6thrust23THRUST_200600_302600_NS6detail15normal_iteratorINSC_10device_ptrIKdEEEESI_EEEEESK_NSA_INS5_IJNSC_16discard_iteratorINSC_11use_defaultEEESN_EEEEEPS7_SQ_SQ_NSC_11hip_rocprim7__merge17predicate_wrapperIddNSC_4lessIdEEEEEE10hipError_tPvRmT0_T1_T2_T3_T4_T5_mmT6_P12ihipStream_tbEUlT_E_NS1_11comp_targetILNS1_3genE8ELNS1_11target_archE1030ELNS1_3gpuE2ELNS1_3repE0EEENS1_30default_config_static_selectorELNS0_4arch9wavefront6targetE0EEEvS11_,comdat
	.protected	_ZN7rocprim17ROCPRIM_400000_NS6detail17trampoline_kernelINS0_14default_configENS1_21merge_config_selectorINS0_5tupleIJddEEENS0_10empty_typeEEEZNS1_10merge_implIS3_NS0_12zip_iteratorINS5_IJN6thrust23THRUST_200600_302600_NS6detail15normal_iteratorINSC_10device_ptrIKdEEEESI_EEEEESK_NSA_INS5_IJNSC_16discard_iteratorINSC_11use_defaultEEESN_EEEEEPS7_SQ_SQ_NSC_11hip_rocprim7__merge17predicate_wrapperIddNSC_4lessIdEEEEEE10hipError_tPvRmT0_T1_T2_T3_T4_T5_mmT6_P12ihipStream_tbEUlT_E_NS1_11comp_targetILNS1_3genE8ELNS1_11target_archE1030ELNS1_3gpuE2ELNS1_3repE0EEENS1_30default_config_static_selectorELNS0_4arch9wavefront6targetE0EEEvS11_ ; -- Begin function _ZN7rocprim17ROCPRIM_400000_NS6detail17trampoline_kernelINS0_14default_configENS1_21merge_config_selectorINS0_5tupleIJddEEENS0_10empty_typeEEEZNS1_10merge_implIS3_NS0_12zip_iteratorINS5_IJN6thrust23THRUST_200600_302600_NS6detail15normal_iteratorINSC_10device_ptrIKdEEEESI_EEEEESK_NSA_INS5_IJNSC_16discard_iteratorINSC_11use_defaultEEESN_EEEEEPS7_SQ_SQ_NSC_11hip_rocprim7__merge17predicate_wrapperIddNSC_4lessIdEEEEEE10hipError_tPvRmT0_T1_T2_T3_T4_T5_mmT6_P12ihipStream_tbEUlT_E_NS1_11comp_targetILNS1_3genE8ELNS1_11target_archE1030ELNS1_3gpuE2ELNS1_3repE0EEENS1_30default_config_static_selectorELNS0_4arch9wavefront6targetE0EEEvS11_
	.globl	_ZN7rocprim17ROCPRIM_400000_NS6detail17trampoline_kernelINS0_14default_configENS1_21merge_config_selectorINS0_5tupleIJddEEENS0_10empty_typeEEEZNS1_10merge_implIS3_NS0_12zip_iteratorINS5_IJN6thrust23THRUST_200600_302600_NS6detail15normal_iteratorINSC_10device_ptrIKdEEEESI_EEEEESK_NSA_INS5_IJNSC_16discard_iteratorINSC_11use_defaultEEESN_EEEEEPS7_SQ_SQ_NSC_11hip_rocprim7__merge17predicate_wrapperIddNSC_4lessIdEEEEEE10hipError_tPvRmT0_T1_T2_T3_T4_T5_mmT6_P12ihipStream_tbEUlT_E_NS1_11comp_targetILNS1_3genE8ELNS1_11target_archE1030ELNS1_3gpuE2ELNS1_3repE0EEENS1_30default_config_static_selectorELNS0_4arch9wavefront6targetE0EEEvS11_
	.p2align	8
	.type	_ZN7rocprim17ROCPRIM_400000_NS6detail17trampoline_kernelINS0_14default_configENS1_21merge_config_selectorINS0_5tupleIJddEEENS0_10empty_typeEEEZNS1_10merge_implIS3_NS0_12zip_iteratorINS5_IJN6thrust23THRUST_200600_302600_NS6detail15normal_iteratorINSC_10device_ptrIKdEEEESI_EEEEESK_NSA_INS5_IJNSC_16discard_iteratorINSC_11use_defaultEEESN_EEEEEPS7_SQ_SQ_NSC_11hip_rocprim7__merge17predicate_wrapperIddNSC_4lessIdEEEEEE10hipError_tPvRmT0_T1_T2_T3_T4_T5_mmT6_P12ihipStream_tbEUlT_E_NS1_11comp_targetILNS1_3genE8ELNS1_11target_archE1030ELNS1_3gpuE2ELNS1_3repE0EEENS1_30default_config_static_selectorELNS0_4arch9wavefront6targetE0EEEvS11_,@function
_ZN7rocprim17ROCPRIM_400000_NS6detail17trampoline_kernelINS0_14default_configENS1_21merge_config_selectorINS0_5tupleIJddEEENS0_10empty_typeEEEZNS1_10merge_implIS3_NS0_12zip_iteratorINS5_IJN6thrust23THRUST_200600_302600_NS6detail15normal_iteratorINSC_10device_ptrIKdEEEESI_EEEEESK_NSA_INS5_IJNSC_16discard_iteratorINSC_11use_defaultEEESN_EEEEEPS7_SQ_SQ_NSC_11hip_rocprim7__merge17predicate_wrapperIddNSC_4lessIdEEEEEE10hipError_tPvRmT0_T1_T2_T3_T4_T5_mmT6_P12ihipStream_tbEUlT_E_NS1_11comp_targetILNS1_3genE8ELNS1_11target_archE1030ELNS1_3gpuE2ELNS1_3repE0EEENS1_30default_config_static_selectorELNS0_4arch9wavefront6targetE0EEEvS11_: ; @_ZN7rocprim17ROCPRIM_400000_NS6detail17trampoline_kernelINS0_14default_configENS1_21merge_config_selectorINS0_5tupleIJddEEENS0_10empty_typeEEEZNS1_10merge_implIS3_NS0_12zip_iteratorINS5_IJN6thrust23THRUST_200600_302600_NS6detail15normal_iteratorINSC_10device_ptrIKdEEEESI_EEEEESK_NSA_INS5_IJNSC_16discard_iteratorINSC_11use_defaultEEESN_EEEEEPS7_SQ_SQ_NSC_11hip_rocprim7__merge17predicate_wrapperIddNSC_4lessIdEEEEEE10hipError_tPvRmT0_T1_T2_T3_T4_T5_mmT6_P12ihipStream_tbEUlT_E_NS1_11comp_targetILNS1_3genE8ELNS1_11target_archE1030ELNS1_3gpuE2ELNS1_3repE0EEENS1_30default_config_static_selectorELNS0_4arch9wavefront6targetE0EEEvS11_
; %bb.0:
	s_clause 0x2
	s_load_dword s2, s[4:5], 0x38
	s_load_dword s0, s[4:5], 0x4c
	s_load_dwordx4 s[12:15], s[4:5], 0x28
	s_waitcnt lgkmcnt(0)
	v_cvt_f32_u32_e32 v1, s2
	s_and_b32 s3, s0, 0xffff
	s_add_u32 s0, s14, s12
	s_addc_u32 s1, s15, s13
	s_sub_i32 s8, 0, s2
	v_rcp_iflag_f32_e32 v1, v1
	s_add_i32 s9, s2, s0
	s_add_i32 s9, s9, -1
	v_mul_f32_e32 v1, 0x4f7ffffe, v1
	v_cvt_u32_f32_e32 v1, v1
	v_readfirstlane_b32 s7, v1
	v_mad_u64_u32 v[0:1], null, s6, s3, v[0:1]
	s_mul_i32 s8, s8, s7
	s_mul_hi_u32 s8, s7, s8
	s_add_i32 s7, s7, s8
	s_mul_hi_u32 s7, s9, s7
	s_mul_i32 s8, s7, s2
	s_sub_i32 s8, s9, s8
	s_add_i32 s9, s7, 1
	s_sub_i32 s10, s8, s2
	s_cmp_ge_u32 s8, s2
	s_cselect_b32 s3, s9, s7
	s_cselect_b32 s6, s10, s8
	s_add_i32 s7, s3, 1
	s_cmp_ge_u32 s6, s2
	s_cselect_b32 s3, s7, s3
	v_cmp_ge_u32_e32 vcc_lo, s3, v0
	s_and_saveexec_b32 s3, vcc_lo
	s_cbranch_execz .LBB487_6
; %bb.1:
	v_mul_lo_u32 v1, v0, s2
	v_mov_b32_e32 v2, 0
	s_load_dwordx4 s[8:11], s[4:5], 0x0
	v_cmp_gt_u64_e32 vcc_lo, s[0:1], v[1:2]
	v_cndmask_b32_e32 v6, s0, v1, vcc_lo
	v_cndmask_b32_e64 v7, s1, 0, vcc_lo
	s_mov_b32 s1, exec_lo
	v_sub_co_u32 v1, vcc_lo, v6, s14
	v_subrev_co_ci_u32_e64 v2, null, s15, v7, vcc_lo
	v_cmp_gt_u64_e64 s0, s[12:13], v[6:7]
	v_cmp_gt_u64_e32 vcc_lo, v[1:2], v[6:7]
	v_cndmask_b32_e64 v5, s13, v7, s0
	v_cndmask_b32_e64 v4, s12, v6, s0
	v_cndmask_b32_e64 v3, v2, 0, vcc_lo
	v_cndmask_b32_e64 v2, v1, 0, vcc_lo
	v_cmpx_lt_u64_e64 v[2:3], v[4:5]
	s_cbranch_execz .LBB487_5
; %bb.2:
	s_load_dwordx2 s[2:3], s[4:5], 0x18
	v_lshlrev_b64 v[6:7], 3, v[6:7]
	s_waitcnt lgkmcnt(0)
	v_add_co_u32 v1, vcc_lo, s2, v6
	v_add_co_ci_u32_e64 v6, null, s3, v7, vcc_lo
	s_mov_b32 s2, 0
	s_inst_prefetch 0x1
	.p2align	6
.LBB487_3:                              ; =>This Inner Loop Header: Depth=1
	v_add_co_u32 v7, vcc_lo, v4, v2
	v_add_co_ci_u32_e64 v8, null, v5, v3, vcc_lo
	v_lshrrev_b64 v[7:8], 1, v[7:8]
	v_lshlrev_b64 v[9:10], 3, v[7:8]
	v_xor_b32_e32 v11, -8, v9
	v_xor_b32_e32 v12, -1, v10
	v_add_co_u32 v9, vcc_lo, s10, v9
	v_add_co_ci_u32_e64 v10, null, s11, v10, vcc_lo
	v_add_co_u32 v11, vcc_lo, v1, v11
	v_add_co_ci_u32_e64 v12, null, v6, v12, vcc_lo
	global_load_dwordx2 v[9:10], v[9:10], off
	global_load_dwordx2 v[11:12], v[11:12], off
	s_waitcnt vmcnt(0)
	v_cmp_lt_f64_e32 vcc_lo, v[11:12], v[9:10]
	v_add_co_u32 v9, s0, v7, 1
	v_add_co_ci_u32_e64 v10, null, 0, v8, s0
	v_cndmask_b32_e32 v5, v5, v8, vcc_lo
	v_cndmask_b32_e32 v4, v4, v7, vcc_lo
	v_cndmask_b32_e32 v3, v10, v3, vcc_lo
	v_cndmask_b32_e32 v2, v9, v2, vcc_lo
	v_cmp_ge_u64_e32 vcc_lo, v[2:3], v[4:5]
	s_or_b32 s2, vcc_lo, s2
	s_andn2_b32 exec_lo, exec_lo, s2
	s_cbranch_execnz .LBB487_3
; %bb.4:
	s_inst_prefetch 0x2
	s_or_b32 exec_lo, exec_lo, s2
.LBB487_5:
	s_or_b32 exec_lo, exec_lo, s1
	v_mov_b32_e32 v1, 0
	v_lshlrev_b64 v[0:1], 2, v[0:1]
	s_waitcnt lgkmcnt(0)
	v_add_co_u32 v0, vcc_lo, s8, v0
	v_add_co_ci_u32_e64 v1, null, s9, v1, vcc_lo
	global_store_dword v[0:1], v2, off
.LBB487_6:
	s_endpgm
	.section	.rodata,"a",@progbits
	.p2align	6, 0x0
	.amdhsa_kernel _ZN7rocprim17ROCPRIM_400000_NS6detail17trampoline_kernelINS0_14default_configENS1_21merge_config_selectorINS0_5tupleIJddEEENS0_10empty_typeEEEZNS1_10merge_implIS3_NS0_12zip_iteratorINS5_IJN6thrust23THRUST_200600_302600_NS6detail15normal_iteratorINSC_10device_ptrIKdEEEESI_EEEEESK_NSA_INS5_IJNSC_16discard_iteratorINSC_11use_defaultEEESN_EEEEEPS7_SQ_SQ_NSC_11hip_rocprim7__merge17predicate_wrapperIddNSC_4lessIdEEEEEE10hipError_tPvRmT0_T1_T2_T3_T4_T5_mmT6_P12ihipStream_tbEUlT_E_NS1_11comp_targetILNS1_3genE8ELNS1_11target_archE1030ELNS1_3gpuE2ELNS1_3repE0EEENS1_30default_config_static_selectorELNS0_4arch9wavefront6targetE0EEEvS11_
		.amdhsa_group_segment_fixed_size 0
		.amdhsa_private_segment_fixed_size 0
		.amdhsa_kernarg_size 320
		.amdhsa_user_sgpr_count 6
		.amdhsa_user_sgpr_private_segment_buffer 1
		.amdhsa_user_sgpr_dispatch_ptr 0
		.amdhsa_user_sgpr_queue_ptr 0
		.amdhsa_user_sgpr_kernarg_segment_ptr 1
		.amdhsa_user_sgpr_dispatch_id 0
		.amdhsa_user_sgpr_flat_scratch_init 0
		.amdhsa_user_sgpr_private_segment_size 0
		.amdhsa_wavefront_size32 1
		.amdhsa_uses_dynamic_stack 0
		.amdhsa_system_sgpr_private_segment_wavefront_offset 0
		.amdhsa_system_sgpr_workgroup_id_x 1
		.amdhsa_system_sgpr_workgroup_id_y 0
		.amdhsa_system_sgpr_workgroup_id_z 0
		.amdhsa_system_sgpr_workgroup_info 0
		.amdhsa_system_vgpr_workitem_id 0
		.amdhsa_next_free_vgpr 13
		.amdhsa_next_free_sgpr 16
		.amdhsa_reserve_vcc 1
		.amdhsa_reserve_flat_scratch 0
		.amdhsa_float_round_mode_32 0
		.amdhsa_float_round_mode_16_64 0
		.amdhsa_float_denorm_mode_32 3
		.amdhsa_float_denorm_mode_16_64 3
		.amdhsa_dx10_clamp 1
		.amdhsa_ieee_mode 1
		.amdhsa_fp16_overflow 0
		.amdhsa_workgroup_processor_mode 1
		.amdhsa_memory_ordered 1
		.amdhsa_forward_progress 1
		.amdhsa_shared_vgpr_count 0
		.amdhsa_exception_fp_ieee_invalid_op 0
		.amdhsa_exception_fp_denorm_src 0
		.amdhsa_exception_fp_ieee_div_zero 0
		.amdhsa_exception_fp_ieee_overflow 0
		.amdhsa_exception_fp_ieee_underflow 0
		.amdhsa_exception_fp_ieee_inexact 0
		.amdhsa_exception_int_div_zero 0
	.end_amdhsa_kernel
	.section	.text._ZN7rocprim17ROCPRIM_400000_NS6detail17trampoline_kernelINS0_14default_configENS1_21merge_config_selectorINS0_5tupleIJddEEENS0_10empty_typeEEEZNS1_10merge_implIS3_NS0_12zip_iteratorINS5_IJN6thrust23THRUST_200600_302600_NS6detail15normal_iteratorINSC_10device_ptrIKdEEEESI_EEEEESK_NSA_INS5_IJNSC_16discard_iteratorINSC_11use_defaultEEESN_EEEEEPS7_SQ_SQ_NSC_11hip_rocprim7__merge17predicate_wrapperIddNSC_4lessIdEEEEEE10hipError_tPvRmT0_T1_T2_T3_T4_T5_mmT6_P12ihipStream_tbEUlT_E_NS1_11comp_targetILNS1_3genE8ELNS1_11target_archE1030ELNS1_3gpuE2ELNS1_3repE0EEENS1_30default_config_static_selectorELNS0_4arch9wavefront6targetE0EEEvS11_,"axG",@progbits,_ZN7rocprim17ROCPRIM_400000_NS6detail17trampoline_kernelINS0_14default_configENS1_21merge_config_selectorINS0_5tupleIJddEEENS0_10empty_typeEEEZNS1_10merge_implIS3_NS0_12zip_iteratorINS5_IJN6thrust23THRUST_200600_302600_NS6detail15normal_iteratorINSC_10device_ptrIKdEEEESI_EEEEESK_NSA_INS5_IJNSC_16discard_iteratorINSC_11use_defaultEEESN_EEEEEPS7_SQ_SQ_NSC_11hip_rocprim7__merge17predicate_wrapperIddNSC_4lessIdEEEEEE10hipError_tPvRmT0_T1_T2_T3_T4_T5_mmT6_P12ihipStream_tbEUlT_E_NS1_11comp_targetILNS1_3genE8ELNS1_11target_archE1030ELNS1_3gpuE2ELNS1_3repE0EEENS1_30default_config_static_selectorELNS0_4arch9wavefront6targetE0EEEvS11_,comdat
.Lfunc_end487:
	.size	_ZN7rocprim17ROCPRIM_400000_NS6detail17trampoline_kernelINS0_14default_configENS1_21merge_config_selectorINS0_5tupleIJddEEENS0_10empty_typeEEEZNS1_10merge_implIS3_NS0_12zip_iteratorINS5_IJN6thrust23THRUST_200600_302600_NS6detail15normal_iteratorINSC_10device_ptrIKdEEEESI_EEEEESK_NSA_INS5_IJNSC_16discard_iteratorINSC_11use_defaultEEESN_EEEEEPS7_SQ_SQ_NSC_11hip_rocprim7__merge17predicate_wrapperIddNSC_4lessIdEEEEEE10hipError_tPvRmT0_T1_T2_T3_T4_T5_mmT6_P12ihipStream_tbEUlT_E_NS1_11comp_targetILNS1_3genE8ELNS1_11target_archE1030ELNS1_3gpuE2ELNS1_3repE0EEENS1_30default_config_static_selectorELNS0_4arch9wavefront6targetE0EEEvS11_, .Lfunc_end487-_ZN7rocprim17ROCPRIM_400000_NS6detail17trampoline_kernelINS0_14default_configENS1_21merge_config_selectorINS0_5tupleIJddEEENS0_10empty_typeEEEZNS1_10merge_implIS3_NS0_12zip_iteratorINS5_IJN6thrust23THRUST_200600_302600_NS6detail15normal_iteratorINSC_10device_ptrIKdEEEESI_EEEEESK_NSA_INS5_IJNSC_16discard_iteratorINSC_11use_defaultEEESN_EEEEEPS7_SQ_SQ_NSC_11hip_rocprim7__merge17predicate_wrapperIddNSC_4lessIdEEEEEE10hipError_tPvRmT0_T1_T2_T3_T4_T5_mmT6_P12ihipStream_tbEUlT_E_NS1_11comp_targetILNS1_3genE8ELNS1_11target_archE1030ELNS1_3gpuE2ELNS1_3repE0EEENS1_30default_config_static_selectorELNS0_4arch9wavefront6targetE0EEEvS11_
                                        ; -- End function
	.set _ZN7rocprim17ROCPRIM_400000_NS6detail17trampoline_kernelINS0_14default_configENS1_21merge_config_selectorINS0_5tupleIJddEEENS0_10empty_typeEEEZNS1_10merge_implIS3_NS0_12zip_iteratorINS5_IJN6thrust23THRUST_200600_302600_NS6detail15normal_iteratorINSC_10device_ptrIKdEEEESI_EEEEESK_NSA_INS5_IJNSC_16discard_iteratorINSC_11use_defaultEEESN_EEEEEPS7_SQ_SQ_NSC_11hip_rocprim7__merge17predicate_wrapperIddNSC_4lessIdEEEEEE10hipError_tPvRmT0_T1_T2_T3_T4_T5_mmT6_P12ihipStream_tbEUlT_E_NS1_11comp_targetILNS1_3genE8ELNS1_11target_archE1030ELNS1_3gpuE2ELNS1_3repE0EEENS1_30default_config_static_selectorELNS0_4arch9wavefront6targetE0EEEvS11_.num_vgpr, 13
	.set _ZN7rocprim17ROCPRIM_400000_NS6detail17trampoline_kernelINS0_14default_configENS1_21merge_config_selectorINS0_5tupleIJddEEENS0_10empty_typeEEEZNS1_10merge_implIS3_NS0_12zip_iteratorINS5_IJN6thrust23THRUST_200600_302600_NS6detail15normal_iteratorINSC_10device_ptrIKdEEEESI_EEEEESK_NSA_INS5_IJNSC_16discard_iteratorINSC_11use_defaultEEESN_EEEEEPS7_SQ_SQ_NSC_11hip_rocprim7__merge17predicate_wrapperIddNSC_4lessIdEEEEEE10hipError_tPvRmT0_T1_T2_T3_T4_T5_mmT6_P12ihipStream_tbEUlT_E_NS1_11comp_targetILNS1_3genE8ELNS1_11target_archE1030ELNS1_3gpuE2ELNS1_3repE0EEENS1_30default_config_static_selectorELNS0_4arch9wavefront6targetE0EEEvS11_.num_agpr, 0
	.set _ZN7rocprim17ROCPRIM_400000_NS6detail17trampoline_kernelINS0_14default_configENS1_21merge_config_selectorINS0_5tupleIJddEEENS0_10empty_typeEEEZNS1_10merge_implIS3_NS0_12zip_iteratorINS5_IJN6thrust23THRUST_200600_302600_NS6detail15normal_iteratorINSC_10device_ptrIKdEEEESI_EEEEESK_NSA_INS5_IJNSC_16discard_iteratorINSC_11use_defaultEEESN_EEEEEPS7_SQ_SQ_NSC_11hip_rocprim7__merge17predicate_wrapperIddNSC_4lessIdEEEEEE10hipError_tPvRmT0_T1_T2_T3_T4_T5_mmT6_P12ihipStream_tbEUlT_E_NS1_11comp_targetILNS1_3genE8ELNS1_11target_archE1030ELNS1_3gpuE2ELNS1_3repE0EEENS1_30default_config_static_selectorELNS0_4arch9wavefront6targetE0EEEvS11_.numbered_sgpr, 16
	.set _ZN7rocprim17ROCPRIM_400000_NS6detail17trampoline_kernelINS0_14default_configENS1_21merge_config_selectorINS0_5tupleIJddEEENS0_10empty_typeEEEZNS1_10merge_implIS3_NS0_12zip_iteratorINS5_IJN6thrust23THRUST_200600_302600_NS6detail15normal_iteratorINSC_10device_ptrIKdEEEESI_EEEEESK_NSA_INS5_IJNSC_16discard_iteratorINSC_11use_defaultEEESN_EEEEEPS7_SQ_SQ_NSC_11hip_rocprim7__merge17predicate_wrapperIddNSC_4lessIdEEEEEE10hipError_tPvRmT0_T1_T2_T3_T4_T5_mmT6_P12ihipStream_tbEUlT_E_NS1_11comp_targetILNS1_3genE8ELNS1_11target_archE1030ELNS1_3gpuE2ELNS1_3repE0EEENS1_30default_config_static_selectorELNS0_4arch9wavefront6targetE0EEEvS11_.num_named_barrier, 0
	.set _ZN7rocprim17ROCPRIM_400000_NS6detail17trampoline_kernelINS0_14default_configENS1_21merge_config_selectorINS0_5tupleIJddEEENS0_10empty_typeEEEZNS1_10merge_implIS3_NS0_12zip_iteratorINS5_IJN6thrust23THRUST_200600_302600_NS6detail15normal_iteratorINSC_10device_ptrIKdEEEESI_EEEEESK_NSA_INS5_IJNSC_16discard_iteratorINSC_11use_defaultEEESN_EEEEEPS7_SQ_SQ_NSC_11hip_rocprim7__merge17predicate_wrapperIddNSC_4lessIdEEEEEE10hipError_tPvRmT0_T1_T2_T3_T4_T5_mmT6_P12ihipStream_tbEUlT_E_NS1_11comp_targetILNS1_3genE8ELNS1_11target_archE1030ELNS1_3gpuE2ELNS1_3repE0EEENS1_30default_config_static_selectorELNS0_4arch9wavefront6targetE0EEEvS11_.private_seg_size, 0
	.set _ZN7rocprim17ROCPRIM_400000_NS6detail17trampoline_kernelINS0_14default_configENS1_21merge_config_selectorINS0_5tupleIJddEEENS0_10empty_typeEEEZNS1_10merge_implIS3_NS0_12zip_iteratorINS5_IJN6thrust23THRUST_200600_302600_NS6detail15normal_iteratorINSC_10device_ptrIKdEEEESI_EEEEESK_NSA_INS5_IJNSC_16discard_iteratorINSC_11use_defaultEEESN_EEEEEPS7_SQ_SQ_NSC_11hip_rocprim7__merge17predicate_wrapperIddNSC_4lessIdEEEEEE10hipError_tPvRmT0_T1_T2_T3_T4_T5_mmT6_P12ihipStream_tbEUlT_E_NS1_11comp_targetILNS1_3genE8ELNS1_11target_archE1030ELNS1_3gpuE2ELNS1_3repE0EEENS1_30default_config_static_selectorELNS0_4arch9wavefront6targetE0EEEvS11_.uses_vcc, 1
	.set _ZN7rocprim17ROCPRIM_400000_NS6detail17trampoline_kernelINS0_14default_configENS1_21merge_config_selectorINS0_5tupleIJddEEENS0_10empty_typeEEEZNS1_10merge_implIS3_NS0_12zip_iteratorINS5_IJN6thrust23THRUST_200600_302600_NS6detail15normal_iteratorINSC_10device_ptrIKdEEEESI_EEEEESK_NSA_INS5_IJNSC_16discard_iteratorINSC_11use_defaultEEESN_EEEEEPS7_SQ_SQ_NSC_11hip_rocprim7__merge17predicate_wrapperIddNSC_4lessIdEEEEEE10hipError_tPvRmT0_T1_T2_T3_T4_T5_mmT6_P12ihipStream_tbEUlT_E_NS1_11comp_targetILNS1_3genE8ELNS1_11target_archE1030ELNS1_3gpuE2ELNS1_3repE0EEENS1_30default_config_static_selectorELNS0_4arch9wavefront6targetE0EEEvS11_.uses_flat_scratch, 0
	.set _ZN7rocprim17ROCPRIM_400000_NS6detail17trampoline_kernelINS0_14default_configENS1_21merge_config_selectorINS0_5tupleIJddEEENS0_10empty_typeEEEZNS1_10merge_implIS3_NS0_12zip_iteratorINS5_IJN6thrust23THRUST_200600_302600_NS6detail15normal_iteratorINSC_10device_ptrIKdEEEESI_EEEEESK_NSA_INS5_IJNSC_16discard_iteratorINSC_11use_defaultEEESN_EEEEEPS7_SQ_SQ_NSC_11hip_rocprim7__merge17predicate_wrapperIddNSC_4lessIdEEEEEE10hipError_tPvRmT0_T1_T2_T3_T4_T5_mmT6_P12ihipStream_tbEUlT_E_NS1_11comp_targetILNS1_3genE8ELNS1_11target_archE1030ELNS1_3gpuE2ELNS1_3repE0EEENS1_30default_config_static_selectorELNS0_4arch9wavefront6targetE0EEEvS11_.has_dyn_sized_stack, 0
	.set _ZN7rocprim17ROCPRIM_400000_NS6detail17trampoline_kernelINS0_14default_configENS1_21merge_config_selectorINS0_5tupleIJddEEENS0_10empty_typeEEEZNS1_10merge_implIS3_NS0_12zip_iteratorINS5_IJN6thrust23THRUST_200600_302600_NS6detail15normal_iteratorINSC_10device_ptrIKdEEEESI_EEEEESK_NSA_INS5_IJNSC_16discard_iteratorINSC_11use_defaultEEESN_EEEEEPS7_SQ_SQ_NSC_11hip_rocprim7__merge17predicate_wrapperIddNSC_4lessIdEEEEEE10hipError_tPvRmT0_T1_T2_T3_T4_T5_mmT6_P12ihipStream_tbEUlT_E_NS1_11comp_targetILNS1_3genE8ELNS1_11target_archE1030ELNS1_3gpuE2ELNS1_3repE0EEENS1_30default_config_static_selectorELNS0_4arch9wavefront6targetE0EEEvS11_.has_recursion, 0
	.set _ZN7rocprim17ROCPRIM_400000_NS6detail17trampoline_kernelINS0_14default_configENS1_21merge_config_selectorINS0_5tupleIJddEEENS0_10empty_typeEEEZNS1_10merge_implIS3_NS0_12zip_iteratorINS5_IJN6thrust23THRUST_200600_302600_NS6detail15normal_iteratorINSC_10device_ptrIKdEEEESI_EEEEESK_NSA_INS5_IJNSC_16discard_iteratorINSC_11use_defaultEEESN_EEEEEPS7_SQ_SQ_NSC_11hip_rocprim7__merge17predicate_wrapperIddNSC_4lessIdEEEEEE10hipError_tPvRmT0_T1_T2_T3_T4_T5_mmT6_P12ihipStream_tbEUlT_E_NS1_11comp_targetILNS1_3genE8ELNS1_11target_archE1030ELNS1_3gpuE2ELNS1_3repE0EEENS1_30default_config_static_selectorELNS0_4arch9wavefront6targetE0EEEvS11_.has_indirect_call, 0
	.section	.AMDGPU.csdata,"",@progbits
; Kernel info:
; codeLenInByte = 520
; TotalNumSgprs: 18
; NumVgprs: 13
; ScratchSize: 0
; MemoryBound: 0
; FloatMode: 240
; IeeeMode: 1
; LDSByteSize: 0 bytes/workgroup (compile time only)
; SGPRBlocks: 0
; VGPRBlocks: 1
; NumSGPRsForWavesPerEU: 18
; NumVGPRsForWavesPerEU: 13
; Occupancy: 16
; WaveLimiterHint : 0
; COMPUTE_PGM_RSRC2:SCRATCH_EN: 0
; COMPUTE_PGM_RSRC2:USER_SGPR: 6
; COMPUTE_PGM_RSRC2:TRAP_HANDLER: 0
; COMPUTE_PGM_RSRC2:TGID_X_EN: 1
; COMPUTE_PGM_RSRC2:TGID_Y_EN: 0
; COMPUTE_PGM_RSRC2:TGID_Z_EN: 0
; COMPUTE_PGM_RSRC2:TIDIG_COMP_CNT: 0
	.section	.text._ZN7rocprim17ROCPRIM_400000_NS6detail17trampoline_kernelINS0_14default_configENS1_21merge_config_selectorINS0_5tupleIJddEEENS0_10empty_typeEEEZNS1_10merge_implIS3_NS0_12zip_iteratorINS5_IJN6thrust23THRUST_200600_302600_NS6detail15normal_iteratorINSC_10device_ptrIKdEEEESI_EEEEESK_NSA_INS5_IJNSC_16discard_iteratorINSC_11use_defaultEEESN_EEEEEPS7_SQ_SQ_NSC_11hip_rocprim7__merge17predicate_wrapperIddNSC_4lessIdEEEEEE10hipError_tPvRmT0_T1_T2_T3_T4_T5_mmT6_P12ihipStream_tbEUlT_E0_NS1_11comp_targetILNS1_3genE0ELNS1_11target_archE4294967295ELNS1_3gpuE0ELNS1_3repE0EEENS1_30default_config_static_selectorELNS0_4arch9wavefront6targetE0EEEvS11_,"axG",@progbits,_ZN7rocprim17ROCPRIM_400000_NS6detail17trampoline_kernelINS0_14default_configENS1_21merge_config_selectorINS0_5tupleIJddEEENS0_10empty_typeEEEZNS1_10merge_implIS3_NS0_12zip_iteratorINS5_IJN6thrust23THRUST_200600_302600_NS6detail15normal_iteratorINSC_10device_ptrIKdEEEESI_EEEEESK_NSA_INS5_IJNSC_16discard_iteratorINSC_11use_defaultEEESN_EEEEEPS7_SQ_SQ_NSC_11hip_rocprim7__merge17predicate_wrapperIddNSC_4lessIdEEEEEE10hipError_tPvRmT0_T1_T2_T3_T4_T5_mmT6_P12ihipStream_tbEUlT_E0_NS1_11comp_targetILNS1_3genE0ELNS1_11target_archE4294967295ELNS1_3gpuE0ELNS1_3repE0EEENS1_30default_config_static_selectorELNS0_4arch9wavefront6targetE0EEEvS11_,comdat
	.protected	_ZN7rocprim17ROCPRIM_400000_NS6detail17trampoline_kernelINS0_14default_configENS1_21merge_config_selectorINS0_5tupleIJddEEENS0_10empty_typeEEEZNS1_10merge_implIS3_NS0_12zip_iteratorINS5_IJN6thrust23THRUST_200600_302600_NS6detail15normal_iteratorINSC_10device_ptrIKdEEEESI_EEEEESK_NSA_INS5_IJNSC_16discard_iteratorINSC_11use_defaultEEESN_EEEEEPS7_SQ_SQ_NSC_11hip_rocprim7__merge17predicate_wrapperIddNSC_4lessIdEEEEEE10hipError_tPvRmT0_T1_T2_T3_T4_T5_mmT6_P12ihipStream_tbEUlT_E0_NS1_11comp_targetILNS1_3genE0ELNS1_11target_archE4294967295ELNS1_3gpuE0ELNS1_3repE0EEENS1_30default_config_static_selectorELNS0_4arch9wavefront6targetE0EEEvS11_ ; -- Begin function _ZN7rocprim17ROCPRIM_400000_NS6detail17trampoline_kernelINS0_14default_configENS1_21merge_config_selectorINS0_5tupleIJddEEENS0_10empty_typeEEEZNS1_10merge_implIS3_NS0_12zip_iteratorINS5_IJN6thrust23THRUST_200600_302600_NS6detail15normal_iteratorINSC_10device_ptrIKdEEEESI_EEEEESK_NSA_INS5_IJNSC_16discard_iteratorINSC_11use_defaultEEESN_EEEEEPS7_SQ_SQ_NSC_11hip_rocprim7__merge17predicate_wrapperIddNSC_4lessIdEEEEEE10hipError_tPvRmT0_T1_T2_T3_T4_T5_mmT6_P12ihipStream_tbEUlT_E0_NS1_11comp_targetILNS1_3genE0ELNS1_11target_archE4294967295ELNS1_3gpuE0ELNS1_3repE0EEENS1_30default_config_static_selectorELNS0_4arch9wavefront6targetE0EEEvS11_
	.globl	_ZN7rocprim17ROCPRIM_400000_NS6detail17trampoline_kernelINS0_14default_configENS1_21merge_config_selectorINS0_5tupleIJddEEENS0_10empty_typeEEEZNS1_10merge_implIS3_NS0_12zip_iteratorINS5_IJN6thrust23THRUST_200600_302600_NS6detail15normal_iteratorINSC_10device_ptrIKdEEEESI_EEEEESK_NSA_INS5_IJNSC_16discard_iteratorINSC_11use_defaultEEESN_EEEEEPS7_SQ_SQ_NSC_11hip_rocprim7__merge17predicate_wrapperIddNSC_4lessIdEEEEEE10hipError_tPvRmT0_T1_T2_T3_T4_T5_mmT6_P12ihipStream_tbEUlT_E0_NS1_11comp_targetILNS1_3genE0ELNS1_11target_archE4294967295ELNS1_3gpuE0ELNS1_3repE0EEENS1_30default_config_static_selectorELNS0_4arch9wavefront6targetE0EEEvS11_
	.p2align	8
	.type	_ZN7rocprim17ROCPRIM_400000_NS6detail17trampoline_kernelINS0_14default_configENS1_21merge_config_selectorINS0_5tupleIJddEEENS0_10empty_typeEEEZNS1_10merge_implIS3_NS0_12zip_iteratorINS5_IJN6thrust23THRUST_200600_302600_NS6detail15normal_iteratorINSC_10device_ptrIKdEEEESI_EEEEESK_NSA_INS5_IJNSC_16discard_iteratorINSC_11use_defaultEEESN_EEEEEPS7_SQ_SQ_NSC_11hip_rocprim7__merge17predicate_wrapperIddNSC_4lessIdEEEEEE10hipError_tPvRmT0_T1_T2_T3_T4_T5_mmT6_P12ihipStream_tbEUlT_E0_NS1_11comp_targetILNS1_3genE0ELNS1_11target_archE4294967295ELNS1_3gpuE0ELNS1_3repE0EEENS1_30default_config_static_selectorELNS0_4arch9wavefront6targetE0EEEvS11_,@function
_ZN7rocprim17ROCPRIM_400000_NS6detail17trampoline_kernelINS0_14default_configENS1_21merge_config_selectorINS0_5tupleIJddEEENS0_10empty_typeEEEZNS1_10merge_implIS3_NS0_12zip_iteratorINS5_IJN6thrust23THRUST_200600_302600_NS6detail15normal_iteratorINSC_10device_ptrIKdEEEESI_EEEEESK_NSA_INS5_IJNSC_16discard_iteratorINSC_11use_defaultEEESN_EEEEEPS7_SQ_SQ_NSC_11hip_rocprim7__merge17predicate_wrapperIddNSC_4lessIdEEEEEE10hipError_tPvRmT0_T1_T2_T3_T4_T5_mmT6_P12ihipStream_tbEUlT_E0_NS1_11comp_targetILNS1_3genE0ELNS1_11target_archE4294967295ELNS1_3gpuE0ELNS1_3repE0EEENS1_30default_config_static_selectorELNS0_4arch9wavefront6targetE0EEEvS11_: ; @_ZN7rocprim17ROCPRIM_400000_NS6detail17trampoline_kernelINS0_14default_configENS1_21merge_config_selectorINS0_5tupleIJddEEENS0_10empty_typeEEEZNS1_10merge_implIS3_NS0_12zip_iteratorINS5_IJN6thrust23THRUST_200600_302600_NS6detail15normal_iteratorINSC_10device_ptrIKdEEEESI_EEEEESK_NSA_INS5_IJNSC_16discard_iteratorINSC_11use_defaultEEESN_EEEEEPS7_SQ_SQ_NSC_11hip_rocprim7__merge17predicate_wrapperIddNSC_4lessIdEEEEEE10hipError_tPvRmT0_T1_T2_T3_T4_T5_mmT6_P12ihipStream_tbEUlT_E0_NS1_11comp_targetILNS1_3genE0ELNS1_11target_archE4294967295ELNS1_3gpuE0ELNS1_3repE0EEENS1_30default_config_static_selectorELNS0_4arch9wavefront6targetE0EEEvS11_
; %bb.0:
	.section	.rodata,"a",@progbits
	.p2align	6, 0x0
	.amdhsa_kernel _ZN7rocprim17ROCPRIM_400000_NS6detail17trampoline_kernelINS0_14default_configENS1_21merge_config_selectorINS0_5tupleIJddEEENS0_10empty_typeEEEZNS1_10merge_implIS3_NS0_12zip_iteratorINS5_IJN6thrust23THRUST_200600_302600_NS6detail15normal_iteratorINSC_10device_ptrIKdEEEESI_EEEEESK_NSA_INS5_IJNSC_16discard_iteratorINSC_11use_defaultEEESN_EEEEEPS7_SQ_SQ_NSC_11hip_rocprim7__merge17predicate_wrapperIddNSC_4lessIdEEEEEE10hipError_tPvRmT0_T1_T2_T3_T4_T5_mmT6_P12ihipStream_tbEUlT_E0_NS1_11comp_targetILNS1_3genE0ELNS1_11target_archE4294967295ELNS1_3gpuE0ELNS1_3repE0EEENS1_30default_config_static_selectorELNS0_4arch9wavefront6targetE0EEEvS11_
		.amdhsa_group_segment_fixed_size 0
		.amdhsa_private_segment_fixed_size 0
		.amdhsa_kernarg_size 128
		.amdhsa_user_sgpr_count 6
		.amdhsa_user_sgpr_private_segment_buffer 1
		.amdhsa_user_sgpr_dispatch_ptr 0
		.amdhsa_user_sgpr_queue_ptr 0
		.amdhsa_user_sgpr_kernarg_segment_ptr 1
		.amdhsa_user_sgpr_dispatch_id 0
		.amdhsa_user_sgpr_flat_scratch_init 0
		.amdhsa_user_sgpr_private_segment_size 0
		.amdhsa_wavefront_size32 1
		.amdhsa_uses_dynamic_stack 0
		.amdhsa_system_sgpr_private_segment_wavefront_offset 0
		.amdhsa_system_sgpr_workgroup_id_x 1
		.amdhsa_system_sgpr_workgroup_id_y 0
		.amdhsa_system_sgpr_workgroup_id_z 0
		.amdhsa_system_sgpr_workgroup_info 0
		.amdhsa_system_vgpr_workitem_id 0
		.amdhsa_next_free_vgpr 1
		.amdhsa_next_free_sgpr 1
		.amdhsa_reserve_vcc 0
		.amdhsa_reserve_flat_scratch 0
		.amdhsa_float_round_mode_32 0
		.amdhsa_float_round_mode_16_64 0
		.amdhsa_float_denorm_mode_32 3
		.amdhsa_float_denorm_mode_16_64 3
		.amdhsa_dx10_clamp 1
		.amdhsa_ieee_mode 1
		.amdhsa_fp16_overflow 0
		.amdhsa_workgroup_processor_mode 1
		.amdhsa_memory_ordered 1
		.amdhsa_forward_progress 1
		.amdhsa_shared_vgpr_count 0
		.amdhsa_exception_fp_ieee_invalid_op 0
		.amdhsa_exception_fp_denorm_src 0
		.amdhsa_exception_fp_ieee_div_zero 0
		.amdhsa_exception_fp_ieee_overflow 0
		.amdhsa_exception_fp_ieee_underflow 0
		.amdhsa_exception_fp_ieee_inexact 0
		.amdhsa_exception_int_div_zero 0
	.end_amdhsa_kernel
	.section	.text._ZN7rocprim17ROCPRIM_400000_NS6detail17trampoline_kernelINS0_14default_configENS1_21merge_config_selectorINS0_5tupleIJddEEENS0_10empty_typeEEEZNS1_10merge_implIS3_NS0_12zip_iteratorINS5_IJN6thrust23THRUST_200600_302600_NS6detail15normal_iteratorINSC_10device_ptrIKdEEEESI_EEEEESK_NSA_INS5_IJNSC_16discard_iteratorINSC_11use_defaultEEESN_EEEEEPS7_SQ_SQ_NSC_11hip_rocprim7__merge17predicate_wrapperIddNSC_4lessIdEEEEEE10hipError_tPvRmT0_T1_T2_T3_T4_T5_mmT6_P12ihipStream_tbEUlT_E0_NS1_11comp_targetILNS1_3genE0ELNS1_11target_archE4294967295ELNS1_3gpuE0ELNS1_3repE0EEENS1_30default_config_static_selectorELNS0_4arch9wavefront6targetE0EEEvS11_,"axG",@progbits,_ZN7rocprim17ROCPRIM_400000_NS6detail17trampoline_kernelINS0_14default_configENS1_21merge_config_selectorINS0_5tupleIJddEEENS0_10empty_typeEEEZNS1_10merge_implIS3_NS0_12zip_iteratorINS5_IJN6thrust23THRUST_200600_302600_NS6detail15normal_iteratorINSC_10device_ptrIKdEEEESI_EEEEESK_NSA_INS5_IJNSC_16discard_iteratorINSC_11use_defaultEEESN_EEEEEPS7_SQ_SQ_NSC_11hip_rocprim7__merge17predicate_wrapperIddNSC_4lessIdEEEEEE10hipError_tPvRmT0_T1_T2_T3_T4_T5_mmT6_P12ihipStream_tbEUlT_E0_NS1_11comp_targetILNS1_3genE0ELNS1_11target_archE4294967295ELNS1_3gpuE0ELNS1_3repE0EEENS1_30default_config_static_selectorELNS0_4arch9wavefront6targetE0EEEvS11_,comdat
.Lfunc_end488:
	.size	_ZN7rocprim17ROCPRIM_400000_NS6detail17trampoline_kernelINS0_14default_configENS1_21merge_config_selectorINS0_5tupleIJddEEENS0_10empty_typeEEEZNS1_10merge_implIS3_NS0_12zip_iteratorINS5_IJN6thrust23THRUST_200600_302600_NS6detail15normal_iteratorINSC_10device_ptrIKdEEEESI_EEEEESK_NSA_INS5_IJNSC_16discard_iteratorINSC_11use_defaultEEESN_EEEEEPS7_SQ_SQ_NSC_11hip_rocprim7__merge17predicate_wrapperIddNSC_4lessIdEEEEEE10hipError_tPvRmT0_T1_T2_T3_T4_T5_mmT6_P12ihipStream_tbEUlT_E0_NS1_11comp_targetILNS1_3genE0ELNS1_11target_archE4294967295ELNS1_3gpuE0ELNS1_3repE0EEENS1_30default_config_static_selectorELNS0_4arch9wavefront6targetE0EEEvS11_, .Lfunc_end488-_ZN7rocprim17ROCPRIM_400000_NS6detail17trampoline_kernelINS0_14default_configENS1_21merge_config_selectorINS0_5tupleIJddEEENS0_10empty_typeEEEZNS1_10merge_implIS3_NS0_12zip_iteratorINS5_IJN6thrust23THRUST_200600_302600_NS6detail15normal_iteratorINSC_10device_ptrIKdEEEESI_EEEEESK_NSA_INS5_IJNSC_16discard_iteratorINSC_11use_defaultEEESN_EEEEEPS7_SQ_SQ_NSC_11hip_rocprim7__merge17predicate_wrapperIddNSC_4lessIdEEEEEE10hipError_tPvRmT0_T1_T2_T3_T4_T5_mmT6_P12ihipStream_tbEUlT_E0_NS1_11comp_targetILNS1_3genE0ELNS1_11target_archE4294967295ELNS1_3gpuE0ELNS1_3repE0EEENS1_30default_config_static_selectorELNS0_4arch9wavefront6targetE0EEEvS11_
                                        ; -- End function
	.set _ZN7rocprim17ROCPRIM_400000_NS6detail17trampoline_kernelINS0_14default_configENS1_21merge_config_selectorINS0_5tupleIJddEEENS0_10empty_typeEEEZNS1_10merge_implIS3_NS0_12zip_iteratorINS5_IJN6thrust23THRUST_200600_302600_NS6detail15normal_iteratorINSC_10device_ptrIKdEEEESI_EEEEESK_NSA_INS5_IJNSC_16discard_iteratorINSC_11use_defaultEEESN_EEEEEPS7_SQ_SQ_NSC_11hip_rocprim7__merge17predicate_wrapperIddNSC_4lessIdEEEEEE10hipError_tPvRmT0_T1_T2_T3_T4_T5_mmT6_P12ihipStream_tbEUlT_E0_NS1_11comp_targetILNS1_3genE0ELNS1_11target_archE4294967295ELNS1_3gpuE0ELNS1_3repE0EEENS1_30default_config_static_selectorELNS0_4arch9wavefront6targetE0EEEvS11_.num_vgpr, 0
	.set _ZN7rocprim17ROCPRIM_400000_NS6detail17trampoline_kernelINS0_14default_configENS1_21merge_config_selectorINS0_5tupleIJddEEENS0_10empty_typeEEEZNS1_10merge_implIS3_NS0_12zip_iteratorINS5_IJN6thrust23THRUST_200600_302600_NS6detail15normal_iteratorINSC_10device_ptrIKdEEEESI_EEEEESK_NSA_INS5_IJNSC_16discard_iteratorINSC_11use_defaultEEESN_EEEEEPS7_SQ_SQ_NSC_11hip_rocprim7__merge17predicate_wrapperIddNSC_4lessIdEEEEEE10hipError_tPvRmT0_T1_T2_T3_T4_T5_mmT6_P12ihipStream_tbEUlT_E0_NS1_11comp_targetILNS1_3genE0ELNS1_11target_archE4294967295ELNS1_3gpuE0ELNS1_3repE0EEENS1_30default_config_static_selectorELNS0_4arch9wavefront6targetE0EEEvS11_.num_agpr, 0
	.set _ZN7rocprim17ROCPRIM_400000_NS6detail17trampoline_kernelINS0_14default_configENS1_21merge_config_selectorINS0_5tupleIJddEEENS0_10empty_typeEEEZNS1_10merge_implIS3_NS0_12zip_iteratorINS5_IJN6thrust23THRUST_200600_302600_NS6detail15normal_iteratorINSC_10device_ptrIKdEEEESI_EEEEESK_NSA_INS5_IJNSC_16discard_iteratorINSC_11use_defaultEEESN_EEEEEPS7_SQ_SQ_NSC_11hip_rocprim7__merge17predicate_wrapperIddNSC_4lessIdEEEEEE10hipError_tPvRmT0_T1_T2_T3_T4_T5_mmT6_P12ihipStream_tbEUlT_E0_NS1_11comp_targetILNS1_3genE0ELNS1_11target_archE4294967295ELNS1_3gpuE0ELNS1_3repE0EEENS1_30default_config_static_selectorELNS0_4arch9wavefront6targetE0EEEvS11_.numbered_sgpr, 0
	.set _ZN7rocprim17ROCPRIM_400000_NS6detail17trampoline_kernelINS0_14default_configENS1_21merge_config_selectorINS0_5tupleIJddEEENS0_10empty_typeEEEZNS1_10merge_implIS3_NS0_12zip_iteratorINS5_IJN6thrust23THRUST_200600_302600_NS6detail15normal_iteratorINSC_10device_ptrIKdEEEESI_EEEEESK_NSA_INS5_IJNSC_16discard_iteratorINSC_11use_defaultEEESN_EEEEEPS7_SQ_SQ_NSC_11hip_rocprim7__merge17predicate_wrapperIddNSC_4lessIdEEEEEE10hipError_tPvRmT0_T1_T2_T3_T4_T5_mmT6_P12ihipStream_tbEUlT_E0_NS1_11comp_targetILNS1_3genE0ELNS1_11target_archE4294967295ELNS1_3gpuE0ELNS1_3repE0EEENS1_30default_config_static_selectorELNS0_4arch9wavefront6targetE0EEEvS11_.num_named_barrier, 0
	.set _ZN7rocprim17ROCPRIM_400000_NS6detail17trampoline_kernelINS0_14default_configENS1_21merge_config_selectorINS0_5tupleIJddEEENS0_10empty_typeEEEZNS1_10merge_implIS3_NS0_12zip_iteratorINS5_IJN6thrust23THRUST_200600_302600_NS6detail15normal_iteratorINSC_10device_ptrIKdEEEESI_EEEEESK_NSA_INS5_IJNSC_16discard_iteratorINSC_11use_defaultEEESN_EEEEEPS7_SQ_SQ_NSC_11hip_rocprim7__merge17predicate_wrapperIddNSC_4lessIdEEEEEE10hipError_tPvRmT0_T1_T2_T3_T4_T5_mmT6_P12ihipStream_tbEUlT_E0_NS1_11comp_targetILNS1_3genE0ELNS1_11target_archE4294967295ELNS1_3gpuE0ELNS1_3repE0EEENS1_30default_config_static_selectorELNS0_4arch9wavefront6targetE0EEEvS11_.private_seg_size, 0
	.set _ZN7rocprim17ROCPRIM_400000_NS6detail17trampoline_kernelINS0_14default_configENS1_21merge_config_selectorINS0_5tupleIJddEEENS0_10empty_typeEEEZNS1_10merge_implIS3_NS0_12zip_iteratorINS5_IJN6thrust23THRUST_200600_302600_NS6detail15normal_iteratorINSC_10device_ptrIKdEEEESI_EEEEESK_NSA_INS5_IJNSC_16discard_iteratorINSC_11use_defaultEEESN_EEEEEPS7_SQ_SQ_NSC_11hip_rocprim7__merge17predicate_wrapperIddNSC_4lessIdEEEEEE10hipError_tPvRmT0_T1_T2_T3_T4_T5_mmT6_P12ihipStream_tbEUlT_E0_NS1_11comp_targetILNS1_3genE0ELNS1_11target_archE4294967295ELNS1_3gpuE0ELNS1_3repE0EEENS1_30default_config_static_selectorELNS0_4arch9wavefront6targetE0EEEvS11_.uses_vcc, 0
	.set _ZN7rocprim17ROCPRIM_400000_NS6detail17trampoline_kernelINS0_14default_configENS1_21merge_config_selectorINS0_5tupleIJddEEENS0_10empty_typeEEEZNS1_10merge_implIS3_NS0_12zip_iteratorINS5_IJN6thrust23THRUST_200600_302600_NS6detail15normal_iteratorINSC_10device_ptrIKdEEEESI_EEEEESK_NSA_INS5_IJNSC_16discard_iteratorINSC_11use_defaultEEESN_EEEEEPS7_SQ_SQ_NSC_11hip_rocprim7__merge17predicate_wrapperIddNSC_4lessIdEEEEEE10hipError_tPvRmT0_T1_T2_T3_T4_T5_mmT6_P12ihipStream_tbEUlT_E0_NS1_11comp_targetILNS1_3genE0ELNS1_11target_archE4294967295ELNS1_3gpuE0ELNS1_3repE0EEENS1_30default_config_static_selectorELNS0_4arch9wavefront6targetE0EEEvS11_.uses_flat_scratch, 0
	.set _ZN7rocprim17ROCPRIM_400000_NS6detail17trampoline_kernelINS0_14default_configENS1_21merge_config_selectorINS0_5tupleIJddEEENS0_10empty_typeEEEZNS1_10merge_implIS3_NS0_12zip_iteratorINS5_IJN6thrust23THRUST_200600_302600_NS6detail15normal_iteratorINSC_10device_ptrIKdEEEESI_EEEEESK_NSA_INS5_IJNSC_16discard_iteratorINSC_11use_defaultEEESN_EEEEEPS7_SQ_SQ_NSC_11hip_rocprim7__merge17predicate_wrapperIddNSC_4lessIdEEEEEE10hipError_tPvRmT0_T1_T2_T3_T4_T5_mmT6_P12ihipStream_tbEUlT_E0_NS1_11comp_targetILNS1_3genE0ELNS1_11target_archE4294967295ELNS1_3gpuE0ELNS1_3repE0EEENS1_30default_config_static_selectorELNS0_4arch9wavefront6targetE0EEEvS11_.has_dyn_sized_stack, 0
	.set _ZN7rocprim17ROCPRIM_400000_NS6detail17trampoline_kernelINS0_14default_configENS1_21merge_config_selectorINS0_5tupleIJddEEENS0_10empty_typeEEEZNS1_10merge_implIS3_NS0_12zip_iteratorINS5_IJN6thrust23THRUST_200600_302600_NS6detail15normal_iteratorINSC_10device_ptrIKdEEEESI_EEEEESK_NSA_INS5_IJNSC_16discard_iteratorINSC_11use_defaultEEESN_EEEEEPS7_SQ_SQ_NSC_11hip_rocprim7__merge17predicate_wrapperIddNSC_4lessIdEEEEEE10hipError_tPvRmT0_T1_T2_T3_T4_T5_mmT6_P12ihipStream_tbEUlT_E0_NS1_11comp_targetILNS1_3genE0ELNS1_11target_archE4294967295ELNS1_3gpuE0ELNS1_3repE0EEENS1_30default_config_static_selectorELNS0_4arch9wavefront6targetE0EEEvS11_.has_recursion, 0
	.set _ZN7rocprim17ROCPRIM_400000_NS6detail17trampoline_kernelINS0_14default_configENS1_21merge_config_selectorINS0_5tupleIJddEEENS0_10empty_typeEEEZNS1_10merge_implIS3_NS0_12zip_iteratorINS5_IJN6thrust23THRUST_200600_302600_NS6detail15normal_iteratorINSC_10device_ptrIKdEEEESI_EEEEESK_NSA_INS5_IJNSC_16discard_iteratorINSC_11use_defaultEEESN_EEEEEPS7_SQ_SQ_NSC_11hip_rocprim7__merge17predicate_wrapperIddNSC_4lessIdEEEEEE10hipError_tPvRmT0_T1_T2_T3_T4_T5_mmT6_P12ihipStream_tbEUlT_E0_NS1_11comp_targetILNS1_3genE0ELNS1_11target_archE4294967295ELNS1_3gpuE0ELNS1_3repE0EEENS1_30default_config_static_selectorELNS0_4arch9wavefront6targetE0EEEvS11_.has_indirect_call, 0
	.section	.AMDGPU.csdata,"",@progbits
; Kernel info:
; codeLenInByte = 0
; TotalNumSgprs: 0
; NumVgprs: 0
; ScratchSize: 0
; MemoryBound: 0
; FloatMode: 240
; IeeeMode: 1
; LDSByteSize: 0 bytes/workgroup (compile time only)
; SGPRBlocks: 0
; VGPRBlocks: 0
; NumSGPRsForWavesPerEU: 1
; NumVGPRsForWavesPerEU: 1
; Occupancy: 16
; WaveLimiterHint : 0
; COMPUTE_PGM_RSRC2:SCRATCH_EN: 0
; COMPUTE_PGM_RSRC2:USER_SGPR: 6
; COMPUTE_PGM_RSRC2:TRAP_HANDLER: 0
; COMPUTE_PGM_RSRC2:TGID_X_EN: 1
; COMPUTE_PGM_RSRC2:TGID_Y_EN: 0
; COMPUTE_PGM_RSRC2:TGID_Z_EN: 0
; COMPUTE_PGM_RSRC2:TIDIG_COMP_CNT: 0
	.section	.text._ZN7rocprim17ROCPRIM_400000_NS6detail17trampoline_kernelINS0_14default_configENS1_21merge_config_selectorINS0_5tupleIJddEEENS0_10empty_typeEEEZNS1_10merge_implIS3_NS0_12zip_iteratorINS5_IJN6thrust23THRUST_200600_302600_NS6detail15normal_iteratorINSC_10device_ptrIKdEEEESI_EEEEESK_NSA_INS5_IJNSC_16discard_iteratorINSC_11use_defaultEEESN_EEEEEPS7_SQ_SQ_NSC_11hip_rocprim7__merge17predicate_wrapperIddNSC_4lessIdEEEEEE10hipError_tPvRmT0_T1_T2_T3_T4_T5_mmT6_P12ihipStream_tbEUlT_E0_NS1_11comp_targetILNS1_3genE5ELNS1_11target_archE942ELNS1_3gpuE9ELNS1_3repE0EEENS1_30default_config_static_selectorELNS0_4arch9wavefront6targetE0EEEvS11_,"axG",@progbits,_ZN7rocprim17ROCPRIM_400000_NS6detail17trampoline_kernelINS0_14default_configENS1_21merge_config_selectorINS0_5tupleIJddEEENS0_10empty_typeEEEZNS1_10merge_implIS3_NS0_12zip_iteratorINS5_IJN6thrust23THRUST_200600_302600_NS6detail15normal_iteratorINSC_10device_ptrIKdEEEESI_EEEEESK_NSA_INS5_IJNSC_16discard_iteratorINSC_11use_defaultEEESN_EEEEEPS7_SQ_SQ_NSC_11hip_rocprim7__merge17predicate_wrapperIddNSC_4lessIdEEEEEE10hipError_tPvRmT0_T1_T2_T3_T4_T5_mmT6_P12ihipStream_tbEUlT_E0_NS1_11comp_targetILNS1_3genE5ELNS1_11target_archE942ELNS1_3gpuE9ELNS1_3repE0EEENS1_30default_config_static_selectorELNS0_4arch9wavefront6targetE0EEEvS11_,comdat
	.protected	_ZN7rocprim17ROCPRIM_400000_NS6detail17trampoline_kernelINS0_14default_configENS1_21merge_config_selectorINS0_5tupleIJddEEENS0_10empty_typeEEEZNS1_10merge_implIS3_NS0_12zip_iteratorINS5_IJN6thrust23THRUST_200600_302600_NS6detail15normal_iteratorINSC_10device_ptrIKdEEEESI_EEEEESK_NSA_INS5_IJNSC_16discard_iteratorINSC_11use_defaultEEESN_EEEEEPS7_SQ_SQ_NSC_11hip_rocprim7__merge17predicate_wrapperIddNSC_4lessIdEEEEEE10hipError_tPvRmT0_T1_T2_T3_T4_T5_mmT6_P12ihipStream_tbEUlT_E0_NS1_11comp_targetILNS1_3genE5ELNS1_11target_archE942ELNS1_3gpuE9ELNS1_3repE0EEENS1_30default_config_static_selectorELNS0_4arch9wavefront6targetE0EEEvS11_ ; -- Begin function _ZN7rocprim17ROCPRIM_400000_NS6detail17trampoline_kernelINS0_14default_configENS1_21merge_config_selectorINS0_5tupleIJddEEENS0_10empty_typeEEEZNS1_10merge_implIS3_NS0_12zip_iteratorINS5_IJN6thrust23THRUST_200600_302600_NS6detail15normal_iteratorINSC_10device_ptrIKdEEEESI_EEEEESK_NSA_INS5_IJNSC_16discard_iteratorINSC_11use_defaultEEESN_EEEEEPS7_SQ_SQ_NSC_11hip_rocprim7__merge17predicate_wrapperIddNSC_4lessIdEEEEEE10hipError_tPvRmT0_T1_T2_T3_T4_T5_mmT6_P12ihipStream_tbEUlT_E0_NS1_11comp_targetILNS1_3genE5ELNS1_11target_archE942ELNS1_3gpuE9ELNS1_3repE0EEENS1_30default_config_static_selectorELNS0_4arch9wavefront6targetE0EEEvS11_
	.globl	_ZN7rocprim17ROCPRIM_400000_NS6detail17trampoline_kernelINS0_14default_configENS1_21merge_config_selectorINS0_5tupleIJddEEENS0_10empty_typeEEEZNS1_10merge_implIS3_NS0_12zip_iteratorINS5_IJN6thrust23THRUST_200600_302600_NS6detail15normal_iteratorINSC_10device_ptrIKdEEEESI_EEEEESK_NSA_INS5_IJNSC_16discard_iteratorINSC_11use_defaultEEESN_EEEEEPS7_SQ_SQ_NSC_11hip_rocprim7__merge17predicate_wrapperIddNSC_4lessIdEEEEEE10hipError_tPvRmT0_T1_T2_T3_T4_T5_mmT6_P12ihipStream_tbEUlT_E0_NS1_11comp_targetILNS1_3genE5ELNS1_11target_archE942ELNS1_3gpuE9ELNS1_3repE0EEENS1_30default_config_static_selectorELNS0_4arch9wavefront6targetE0EEEvS11_
	.p2align	8
	.type	_ZN7rocprim17ROCPRIM_400000_NS6detail17trampoline_kernelINS0_14default_configENS1_21merge_config_selectorINS0_5tupleIJddEEENS0_10empty_typeEEEZNS1_10merge_implIS3_NS0_12zip_iteratorINS5_IJN6thrust23THRUST_200600_302600_NS6detail15normal_iteratorINSC_10device_ptrIKdEEEESI_EEEEESK_NSA_INS5_IJNSC_16discard_iteratorINSC_11use_defaultEEESN_EEEEEPS7_SQ_SQ_NSC_11hip_rocprim7__merge17predicate_wrapperIddNSC_4lessIdEEEEEE10hipError_tPvRmT0_T1_T2_T3_T4_T5_mmT6_P12ihipStream_tbEUlT_E0_NS1_11comp_targetILNS1_3genE5ELNS1_11target_archE942ELNS1_3gpuE9ELNS1_3repE0EEENS1_30default_config_static_selectorELNS0_4arch9wavefront6targetE0EEEvS11_,@function
_ZN7rocprim17ROCPRIM_400000_NS6detail17trampoline_kernelINS0_14default_configENS1_21merge_config_selectorINS0_5tupleIJddEEENS0_10empty_typeEEEZNS1_10merge_implIS3_NS0_12zip_iteratorINS5_IJN6thrust23THRUST_200600_302600_NS6detail15normal_iteratorINSC_10device_ptrIKdEEEESI_EEEEESK_NSA_INS5_IJNSC_16discard_iteratorINSC_11use_defaultEEESN_EEEEEPS7_SQ_SQ_NSC_11hip_rocprim7__merge17predicate_wrapperIddNSC_4lessIdEEEEEE10hipError_tPvRmT0_T1_T2_T3_T4_T5_mmT6_P12ihipStream_tbEUlT_E0_NS1_11comp_targetILNS1_3genE5ELNS1_11target_archE942ELNS1_3gpuE9ELNS1_3repE0EEENS1_30default_config_static_selectorELNS0_4arch9wavefront6targetE0EEEvS11_: ; @_ZN7rocprim17ROCPRIM_400000_NS6detail17trampoline_kernelINS0_14default_configENS1_21merge_config_selectorINS0_5tupleIJddEEENS0_10empty_typeEEEZNS1_10merge_implIS3_NS0_12zip_iteratorINS5_IJN6thrust23THRUST_200600_302600_NS6detail15normal_iteratorINSC_10device_ptrIKdEEEESI_EEEEESK_NSA_INS5_IJNSC_16discard_iteratorINSC_11use_defaultEEESN_EEEEEPS7_SQ_SQ_NSC_11hip_rocprim7__merge17predicate_wrapperIddNSC_4lessIdEEEEEE10hipError_tPvRmT0_T1_T2_T3_T4_T5_mmT6_P12ihipStream_tbEUlT_E0_NS1_11comp_targetILNS1_3genE5ELNS1_11target_archE942ELNS1_3gpuE9ELNS1_3repE0EEENS1_30default_config_static_selectorELNS0_4arch9wavefront6targetE0EEEvS11_
; %bb.0:
	.section	.rodata,"a",@progbits
	.p2align	6, 0x0
	.amdhsa_kernel _ZN7rocprim17ROCPRIM_400000_NS6detail17trampoline_kernelINS0_14default_configENS1_21merge_config_selectorINS0_5tupleIJddEEENS0_10empty_typeEEEZNS1_10merge_implIS3_NS0_12zip_iteratorINS5_IJN6thrust23THRUST_200600_302600_NS6detail15normal_iteratorINSC_10device_ptrIKdEEEESI_EEEEESK_NSA_INS5_IJNSC_16discard_iteratorINSC_11use_defaultEEESN_EEEEEPS7_SQ_SQ_NSC_11hip_rocprim7__merge17predicate_wrapperIddNSC_4lessIdEEEEEE10hipError_tPvRmT0_T1_T2_T3_T4_T5_mmT6_P12ihipStream_tbEUlT_E0_NS1_11comp_targetILNS1_3genE5ELNS1_11target_archE942ELNS1_3gpuE9ELNS1_3repE0EEENS1_30default_config_static_selectorELNS0_4arch9wavefront6targetE0EEEvS11_
		.amdhsa_group_segment_fixed_size 0
		.amdhsa_private_segment_fixed_size 0
		.amdhsa_kernarg_size 128
		.amdhsa_user_sgpr_count 6
		.amdhsa_user_sgpr_private_segment_buffer 1
		.amdhsa_user_sgpr_dispatch_ptr 0
		.amdhsa_user_sgpr_queue_ptr 0
		.amdhsa_user_sgpr_kernarg_segment_ptr 1
		.amdhsa_user_sgpr_dispatch_id 0
		.amdhsa_user_sgpr_flat_scratch_init 0
		.amdhsa_user_sgpr_private_segment_size 0
		.amdhsa_wavefront_size32 1
		.amdhsa_uses_dynamic_stack 0
		.amdhsa_system_sgpr_private_segment_wavefront_offset 0
		.amdhsa_system_sgpr_workgroup_id_x 1
		.amdhsa_system_sgpr_workgroup_id_y 0
		.amdhsa_system_sgpr_workgroup_id_z 0
		.amdhsa_system_sgpr_workgroup_info 0
		.amdhsa_system_vgpr_workitem_id 0
		.amdhsa_next_free_vgpr 1
		.amdhsa_next_free_sgpr 1
		.amdhsa_reserve_vcc 0
		.amdhsa_reserve_flat_scratch 0
		.amdhsa_float_round_mode_32 0
		.amdhsa_float_round_mode_16_64 0
		.amdhsa_float_denorm_mode_32 3
		.amdhsa_float_denorm_mode_16_64 3
		.amdhsa_dx10_clamp 1
		.amdhsa_ieee_mode 1
		.amdhsa_fp16_overflow 0
		.amdhsa_workgroup_processor_mode 1
		.amdhsa_memory_ordered 1
		.amdhsa_forward_progress 1
		.amdhsa_shared_vgpr_count 0
		.amdhsa_exception_fp_ieee_invalid_op 0
		.amdhsa_exception_fp_denorm_src 0
		.amdhsa_exception_fp_ieee_div_zero 0
		.amdhsa_exception_fp_ieee_overflow 0
		.amdhsa_exception_fp_ieee_underflow 0
		.amdhsa_exception_fp_ieee_inexact 0
		.amdhsa_exception_int_div_zero 0
	.end_amdhsa_kernel
	.section	.text._ZN7rocprim17ROCPRIM_400000_NS6detail17trampoline_kernelINS0_14default_configENS1_21merge_config_selectorINS0_5tupleIJddEEENS0_10empty_typeEEEZNS1_10merge_implIS3_NS0_12zip_iteratorINS5_IJN6thrust23THRUST_200600_302600_NS6detail15normal_iteratorINSC_10device_ptrIKdEEEESI_EEEEESK_NSA_INS5_IJNSC_16discard_iteratorINSC_11use_defaultEEESN_EEEEEPS7_SQ_SQ_NSC_11hip_rocprim7__merge17predicate_wrapperIddNSC_4lessIdEEEEEE10hipError_tPvRmT0_T1_T2_T3_T4_T5_mmT6_P12ihipStream_tbEUlT_E0_NS1_11comp_targetILNS1_3genE5ELNS1_11target_archE942ELNS1_3gpuE9ELNS1_3repE0EEENS1_30default_config_static_selectorELNS0_4arch9wavefront6targetE0EEEvS11_,"axG",@progbits,_ZN7rocprim17ROCPRIM_400000_NS6detail17trampoline_kernelINS0_14default_configENS1_21merge_config_selectorINS0_5tupleIJddEEENS0_10empty_typeEEEZNS1_10merge_implIS3_NS0_12zip_iteratorINS5_IJN6thrust23THRUST_200600_302600_NS6detail15normal_iteratorINSC_10device_ptrIKdEEEESI_EEEEESK_NSA_INS5_IJNSC_16discard_iteratorINSC_11use_defaultEEESN_EEEEEPS7_SQ_SQ_NSC_11hip_rocprim7__merge17predicate_wrapperIddNSC_4lessIdEEEEEE10hipError_tPvRmT0_T1_T2_T3_T4_T5_mmT6_P12ihipStream_tbEUlT_E0_NS1_11comp_targetILNS1_3genE5ELNS1_11target_archE942ELNS1_3gpuE9ELNS1_3repE0EEENS1_30default_config_static_selectorELNS0_4arch9wavefront6targetE0EEEvS11_,comdat
.Lfunc_end489:
	.size	_ZN7rocprim17ROCPRIM_400000_NS6detail17trampoline_kernelINS0_14default_configENS1_21merge_config_selectorINS0_5tupleIJddEEENS0_10empty_typeEEEZNS1_10merge_implIS3_NS0_12zip_iteratorINS5_IJN6thrust23THRUST_200600_302600_NS6detail15normal_iteratorINSC_10device_ptrIKdEEEESI_EEEEESK_NSA_INS5_IJNSC_16discard_iteratorINSC_11use_defaultEEESN_EEEEEPS7_SQ_SQ_NSC_11hip_rocprim7__merge17predicate_wrapperIddNSC_4lessIdEEEEEE10hipError_tPvRmT0_T1_T2_T3_T4_T5_mmT6_P12ihipStream_tbEUlT_E0_NS1_11comp_targetILNS1_3genE5ELNS1_11target_archE942ELNS1_3gpuE9ELNS1_3repE0EEENS1_30default_config_static_selectorELNS0_4arch9wavefront6targetE0EEEvS11_, .Lfunc_end489-_ZN7rocprim17ROCPRIM_400000_NS6detail17trampoline_kernelINS0_14default_configENS1_21merge_config_selectorINS0_5tupleIJddEEENS0_10empty_typeEEEZNS1_10merge_implIS3_NS0_12zip_iteratorINS5_IJN6thrust23THRUST_200600_302600_NS6detail15normal_iteratorINSC_10device_ptrIKdEEEESI_EEEEESK_NSA_INS5_IJNSC_16discard_iteratorINSC_11use_defaultEEESN_EEEEEPS7_SQ_SQ_NSC_11hip_rocprim7__merge17predicate_wrapperIddNSC_4lessIdEEEEEE10hipError_tPvRmT0_T1_T2_T3_T4_T5_mmT6_P12ihipStream_tbEUlT_E0_NS1_11comp_targetILNS1_3genE5ELNS1_11target_archE942ELNS1_3gpuE9ELNS1_3repE0EEENS1_30default_config_static_selectorELNS0_4arch9wavefront6targetE0EEEvS11_
                                        ; -- End function
	.set _ZN7rocprim17ROCPRIM_400000_NS6detail17trampoline_kernelINS0_14default_configENS1_21merge_config_selectorINS0_5tupleIJddEEENS0_10empty_typeEEEZNS1_10merge_implIS3_NS0_12zip_iteratorINS5_IJN6thrust23THRUST_200600_302600_NS6detail15normal_iteratorINSC_10device_ptrIKdEEEESI_EEEEESK_NSA_INS5_IJNSC_16discard_iteratorINSC_11use_defaultEEESN_EEEEEPS7_SQ_SQ_NSC_11hip_rocprim7__merge17predicate_wrapperIddNSC_4lessIdEEEEEE10hipError_tPvRmT0_T1_T2_T3_T4_T5_mmT6_P12ihipStream_tbEUlT_E0_NS1_11comp_targetILNS1_3genE5ELNS1_11target_archE942ELNS1_3gpuE9ELNS1_3repE0EEENS1_30default_config_static_selectorELNS0_4arch9wavefront6targetE0EEEvS11_.num_vgpr, 0
	.set _ZN7rocprim17ROCPRIM_400000_NS6detail17trampoline_kernelINS0_14default_configENS1_21merge_config_selectorINS0_5tupleIJddEEENS0_10empty_typeEEEZNS1_10merge_implIS3_NS0_12zip_iteratorINS5_IJN6thrust23THRUST_200600_302600_NS6detail15normal_iteratorINSC_10device_ptrIKdEEEESI_EEEEESK_NSA_INS5_IJNSC_16discard_iteratorINSC_11use_defaultEEESN_EEEEEPS7_SQ_SQ_NSC_11hip_rocprim7__merge17predicate_wrapperIddNSC_4lessIdEEEEEE10hipError_tPvRmT0_T1_T2_T3_T4_T5_mmT6_P12ihipStream_tbEUlT_E0_NS1_11comp_targetILNS1_3genE5ELNS1_11target_archE942ELNS1_3gpuE9ELNS1_3repE0EEENS1_30default_config_static_selectorELNS0_4arch9wavefront6targetE0EEEvS11_.num_agpr, 0
	.set _ZN7rocprim17ROCPRIM_400000_NS6detail17trampoline_kernelINS0_14default_configENS1_21merge_config_selectorINS0_5tupleIJddEEENS0_10empty_typeEEEZNS1_10merge_implIS3_NS0_12zip_iteratorINS5_IJN6thrust23THRUST_200600_302600_NS6detail15normal_iteratorINSC_10device_ptrIKdEEEESI_EEEEESK_NSA_INS5_IJNSC_16discard_iteratorINSC_11use_defaultEEESN_EEEEEPS7_SQ_SQ_NSC_11hip_rocprim7__merge17predicate_wrapperIddNSC_4lessIdEEEEEE10hipError_tPvRmT0_T1_T2_T3_T4_T5_mmT6_P12ihipStream_tbEUlT_E0_NS1_11comp_targetILNS1_3genE5ELNS1_11target_archE942ELNS1_3gpuE9ELNS1_3repE0EEENS1_30default_config_static_selectorELNS0_4arch9wavefront6targetE0EEEvS11_.numbered_sgpr, 0
	.set _ZN7rocprim17ROCPRIM_400000_NS6detail17trampoline_kernelINS0_14default_configENS1_21merge_config_selectorINS0_5tupleIJddEEENS0_10empty_typeEEEZNS1_10merge_implIS3_NS0_12zip_iteratorINS5_IJN6thrust23THRUST_200600_302600_NS6detail15normal_iteratorINSC_10device_ptrIKdEEEESI_EEEEESK_NSA_INS5_IJNSC_16discard_iteratorINSC_11use_defaultEEESN_EEEEEPS7_SQ_SQ_NSC_11hip_rocprim7__merge17predicate_wrapperIddNSC_4lessIdEEEEEE10hipError_tPvRmT0_T1_T2_T3_T4_T5_mmT6_P12ihipStream_tbEUlT_E0_NS1_11comp_targetILNS1_3genE5ELNS1_11target_archE942ELNS1_3gpuE9ELNS1_3repE0EEENS1_30default_config_static_selectorELNS0_4arch9wavefront6targetE0EEEvS11_.num_named_barrier, 0
	.set _ZN7rocprim17ROCPRIM_400000_NS6detail17trampoline_kernelINS0_14default_configENS1_21merge_config_selectorINS0_5tupleIJddEEENS0_10empty_typeEEEZNS1_10merge_implIS3_NS0_12zip_iteratorINS5_IJN6thrust23THRUST_200600_302600_NS6detail15normal_iteratorINSC_10device_ptrIKdEEEESI_EEEEESK_NSA_INS5_IJNSC_16discard_iteratorINSC_11use_defaultEEESN_EEEEEPS7_SQ_SQ_NSC_11hip_rocprim7__merge17predicate_wrapperIddNSC_4lessIdEEEEEE10hipError_tPvRmT0_T1_T2_T3_T4_T5_mmT6_P12ihipStream_tbEUlT_E0_NS1_11comp_targetILNS1_3genE5ELNS1_11target_archE942ELNS1_3gpuE9ELNS1_3repE0EEENS1_30default_config_static_selectorELNS0_4arch9wavefront6targetE0EEEvS11_.private_seg_size, 0
	.set _ZN7rocprim17ROCPRIM_400000_NS6detail17trampoline_kernelINS0_14default_configENS1_21merge_config_selectorINS0_5tupleIJddEEENS0_10empty_typeEEEZNS1_10merge_implIS3_NS0_12zip_iteratorINS5_IJN6thrust23THRUST_200600_302600_NS6detail15normal_iteratorINSC_10device_ptrIKdEEEESI_EEEEESK_NSA_INS5_IJNSC_16discard_iteratorINSC_11use_defaultEEESN_EEEEEPS7_SQ_SQ_NSC_11hip_rocprim7__merge17predicate_wrapperIddNSC_4lessIdEEEEEE10hipError_tPvRmT0_T1_T2_T3_T4_T5_mmT6_P12ihipStream_tbEUlT_E0_NS1_11comp_targetILNS1_3genE5ELNS1_11target_archE942ELNS1_3gpuE9ELNS1_3repE0EEENS1_30default_config_static_selectorELNS0_4arch9wavefront6targetE0EEEvS11_.uses_vcc, 0
	.set _ZN7rocprim17ROCPRIM_400000_NS6detail17trampoline_kernelINS0_14default_configENS1_21merge_config_selectorINS0_5tupleIJddEEENS0_10empty_typeEEEZNS1_10merge_implIS3_NS0_12zip_iteratorINS5_IJN6thrust23THRUST_200600_302600_NS6detail15normal_iteratorINSC_10device_ptrIKdEEEESI_EEEEESK_NSA_INS5_IJNSC_16discard_iteratorINSC_11use_defaultEEESN_EEEEEPS7_SQ_SQ_NSC_11hip_rocprim7__merge17predicate_wrapperIddNSC_4lessIdEEEEEE10hipError_tPvRmT0_T1_T2_T3_T4_T5_mmT6_P12ihipStream_tbEUlT_E0_NS1_11comp_targetILNS1_3genE5ELNS1_11target_archE942ELNS1_3gpuE9ELNS1_3repE0EEENS1_30default_config_static_selectorELNS0_4arch9wavefront6targetE0EEEvS11_.uses_flat_scratch, 0
	.set _ZN7rocprim17ROCPRIM_400000_NS6detail17trampoline_kernelINS0_14default_configENS1_21merge_config_selectorINS0_5tupleIJddEEENS0_10empty_typeEEEZNS1_10merge_implIS3_NS0_12zip_iteratorINS5_IJN6thrust23THRUST_200600_302600_NS6detail15normal_iteratorINSC_10device_ptrIKdEEEESI_EEEEESK_NSA_INS5_IJNSC_16discard_iteratorINSC_11use_defaultEEESN_EEEEEPS7_SQ_SQ_NSC_11hip_rocprim7__merge17predicate_wrapperIddNSC_4lessIdEEEEEE10hipError_tPvRmT0_T1_T2_T3_T4_T5_mmT6_P12ihipStream_tbEUlT_E0_NS1_11comp_targetILNS1_3genE5ELNS1_11target_archE942ELNS1_3gpuE9ELNS1_3repE0EEENS1_30default_config_static_selectorELNS0_4arch9wavefront6targetE0EEEvS11_.has_dyn_sized_stack, 0
	.set _ZN7rocprim17ROCPRIM_400000_NS6detail17trampoline_kernelINS0_14default_configENS1_21merge_config_selectorINS0_5tupleIJddEEENS0_10empty_typeEEEZNS1_10merge_implIS3_NS0_12zip_iteratorINS5_IJN6thrust23THRUST_200600_302600_NS6detail15normal_iteratorINSC_10device_ptrIKdEEEESI_EEEEESK_NSA_INS5_IJNSC_16discard_iteratorINSC_11use_defaultEEESN_EEEEEPS7_SQ_SQ_NSC_11hip_rocprim7__merge17predicate_wrapperIddNSC_4lessIdEEEEEE10hipError_tPvRmT0_T1_T2_T3_T4_T5_mmT6_P12ihipStream_tbEUlT_E0_NS1_11comp_targetILNS1_3genE5ELNS1_11target_archE942ELNS1_3gpuE9ELNS1_3repE0EEENS1_30default_config_static_selectorELNS0_4arch9wavefront6targetE0EEEvS11_.has_recursion, 0
	.set _ZN7rocprim17ROCPRIM_400000_NS6detail17trampoline_kernelINS0_14default_configENS1_21merge_config_selectorINS0_5tupleIJddEEENS0_10empty_typeEEEZNS1_10merge_implIS3_NS0_12zip_iteratorINS5_IJN6thrust23THRUST_200600_302600_NS6detail15normal_iteratorINSC_10device_ptrIKdEEEESI_EEEEESK_NSA_INS5_IJNSC_16discard_iteratorINSC_11use_defaultEEESN_EEEEEPS7_SQ_SQ_NSC_11hip_rocprim7__merge17predicate_wrapperIddNSC_4lessIdEEEEEE10hipError_tPvRmT0_T1_T2_T3_T4_T5_mmT6_P12ihipStream_tbEUlT_E0_NS1_11comp_targetILNS1_3genE5ELNS1_11target_archE942ELNS1_3gpuE9ELNS1_3repE0EEENS1_30default_config_static_selectorELNS0_4arch9wavefront6targetE0EEEvS11_.has_indirect_call, 0
	.section	.AMDGPU.csdata,"",@progbits
; Kernel info:
; codeLenInByte = 0
; TotalNumSgprs: 0
; NumVgprs: 0
; ScratchSize: 0
; MemoryBound: 0
; FloatMode: 240
; IeeeMode: 1
; LDSByteSize: 0 bytes/workgroup (compile time only)
; SGPRBlocks: 0
; VGPRBlocks: 0
; NumSGPRsForWavesPerEU: 1
; NumVGPRsForWavesPerEU: 1
; Occupancy: 16
; WaveLimiterHint : 0
; COMPUTE_PGM_RSRC2:SCRATCH_EN: 0
; COMPUTE_PGM_RSRC2:USER_SGPR: 6
; COMPUTE_PGM_RSRC2:TRAP_HANDLER: 0
; COMPUTE_PGM_RSRC2:TGID_X_EN: 1
; COMPUTE_PGM_RSRC2:TGID_Y_EN: 0
; COMPUTE_PGM_RSRC2:TGID_Z_EN: 0
; COMPUTE_PGM_RSRC2:TIDIG_COMP_CNT: 0
	.section	.text._ZN7rocprim17ROCPRIM_400000_NS6detail17trampoline_kernelINS0_14default_configENS1_21merge_config_selectorINS0_5tupleIJddEEENS0_10empty_typeEEEZNS1_10merge_implIS3_NS0_12zip_iteratorINS5_IJN6thrust23THRUST_200600_302600_NS6detail15normal_iteratorINSC_10device_ptrIKdEEEESI_EEEEESK_NSA_INS5_IJNSC_16discard_iteratorINSC_11use_defaultEEESN_EEEEEPS7_SQ_SQ_NSC_11hip_rocprim7__merge17predicate_wrapperIddNSC_4lessIdEEEEEE10hipError_tPvRmT0_T1_T2_T3_T4_T5_mmT6_P12ihipStream_tbEUlT_E0_NS1_11comp_targetILNS1_3genE4ELNS1_11target_archE910ELNS1_3gpuE8ELNS1_3repE0EEENS1_30default_config_static_selectorELNS0_4arch9wavefront6targetE0EEEvS11_,"axG",@progbits,_ZN7rocprim17ROCPRIM_400000_NS6detail17trampoline_kernelINS0_14default_configENS1_21merge_config_selectorINS0_5tupleIJddEEENS0_10empty_typeEEEZNS1_10merge_implIS3_NS0_12zip_iteratorINS5_IJN6thrust23THRUST_200600_302600_NS6detail15normal_iteratorINSC_10device_ptrIKdEEEESI_EEEEESK_NSA_INS5_IJNSC_16discard_iteratorINSC_11use_defaultEEESN_EEEEEPS7_SQ_SQ_NSC_11hip_rocprim7__merge17predicate_wrapperIddNSC_4lessIdEEEEEE10hipError_tPvRmT0_T1_T2_T3_T4_T5_mmT6_P12ihipStream_tbEUlT_E0_NS1_11comp_targetILNS1_3genE4ELNS1_11target_archE910ELNS1_3gpuE8ELNS1_3repE0EEENS1_30default_config_static_selectorELNS0_4arch9wavefront6targetE0EEEvS11_,comdat
	.protected	_ZN7rocprim17ROCPRIM_400000_NS6detail17trampoline_kernelINS0_14default_configENS1_21merge_config_selectorINS0_5tupleIJddEEENS0_10empty_typeEEEZNS1_10merge_implIS3_NS0_12zip_iteratorINS5_IJN6thrust23THRUST_200600_302600_NS6detail15normal_iteratorINSC_10device_ptrIKdEEEESI_EEEEESK_NSA_INS5_IJNSC_16discard_iteratorINSC_11use_defaultEEESN_EEEEEPS7_SQ_SQ_NSC_11hip_rocprim7__merge17predicate_wrapperIddNSC_4lessIdEEEEEE10hipError_tPvRmT0_T1_T2_T3_T4_T5_mmT6_P12ihipStream_tbEUlT_E0_NS1_11comp_targetILNS1_3genE4ELNS1_11target_archE910ELNS1_3gpuE8ELNS1_3repE0EEENS1_30default_config_static_selectorELNS0_4arch9wavefront6targetE0EEEvS11_ ; -- Begin function _ZN7rocprim17ROCPRIM_400000_NS6detail17trampoline_kernelINS0_14default_configENS1_21merge_config_selectorINS0_5tupleIJddEEENS0_10empty_typeEEEZNS1_10merge_implIS3_NS0_12zip_iteratorINS5_IJN6thrust23THRUST_200600_302600_NS6detail15normal_iteratorINSC_10device_ptrIKdEEEESI_EEEEESK_NSA_INS5_IJNSC_16discard_iteratorINSC_11use_defaultEEESN_EEEEEPS7_SQ_SQ_NSC_11hip_rocprim7__merge17predicate_wrapperIddNSC_4lessIdEEEEEE10hipError_tPvRmT0_T1_T2_T3_T4_T5_mmT6_P12ihipStream_tbEUlT_E0_NS1_11comp_targetILNS1_3genE4ELNS1_11target_archE910ELNS1_3gpuE8ELNS1_3repE0EEENS1_30default_config_static_selectorELNS0_4arch9wavefront6targetE0EEEvS11_
	.globl	_ZN7rocprim17ROCPRIM_400000_NS6detail17trampoline_kernelINS0_14default_configENS1_21merge_config_selectorINS0_5tupleIJddEEENS0_10empty_typeEEEZNS1_10merge_implIS3_NS0_12zip_iteratorINS5_IJN6thrust23THRUST_200600_302600_NS6detail15normal_iteratorINSC_10device_ptrIKdEEEESI_EEEEESK_NSA_INS5_IJNSC_16discard_iteratorINSC_11use_defaultEEESN_EEEEEPS7_SQ_SQ_NSC_11hip_rocprim7__merge17predicate_wrapperIddNSC_4lessIdEEEEEE10hipError_tPvRmT0_T1_T2_T3_T4_T5_mmT6_P12ihipStream_tbEUlT_E0_NS1_11comp_targetILNS1_3genE4ELNS1_11target_archE910ELNS1_3gpuE8ELNS1_3repE0EEENS1_30default_config_static_selectorELNS0_4arch9wavefront6targetE0EEEvS11_
	.p2align	8
	.type	_ZN7rocprim17ROCPRIM_400000_NS6detail17trampoline_kernelINS0_14default_configENS1_21merge_config_selectorINS0_5tupleIJddEEENS0_10empty_typeEEEZNS1_10merge_implIS3_NS0_12zip_iteratorINS5_IJN6thrust23THRUST_200600_302600_NS6detail15normal_iteratorINSC_10device_ptrIKdEEEESI_EEEEESK_NSA_INS5_IJNSC_16discard_iteratorINSC_11use_defaultEEESN_EEEEEPS7_SQ_SQ_NSC_11hip_rocprim7__merge17predicate_wrapperIddNSC_4lessIdEEEEEE10hipError_tPvRmT0_T1_T2_T3_T4_T5_mmT6_P12ihipStream_tbEUlT_E0_NS1_11comp_targetILNS1_3genE4ELNS1_11target_archE910ELNS1_3gpuE8ELNS1_3repE0EEENS1_30default_config_static_selectorELNS0_4arch9wavefront6targetE0EEEvS11_,@function
_ZN7rocprim17ROCPRIM_400000_NS6detail17trampoline_kernelINS0_14default_configENS1_21merge_config_selectorINS0_5tupleIJddEEENS0_10empty_typeEEEZNS1_10merge_implIS3_NS0_12zip_iteratorINS5_IJN6thrust23THRUST_200600_302600_NS6detail15normal_iteratorINSC_10device_ptrIKdEEEESI_EEEEESK_NSA_INS5_IJNSC_16discard_iteratorINSC_11use_defaultEEESN_EEEEEPS7_SQ_SQ_NSC_11hip_rocprim7__merge17predicate_wrapperIddNSC_4lessIdEEEEEE10hipError_tPvRmT0_T1_T2_T3_T4_T5_mmT6_P12ihipStream_tbEUlT_E0_NS1_11comp_targetILNS1_3genE4ELNS1_11target_archE910ELNS1_3gpuE8ELNS1_3repE0EEENS1_30default_config_static_selectorELNS0_4arch9wavefront6targetE0EEEvS11_: ; @_ZN7rocprim17ROCPRIM_400000_NS6detail17trampoline_kernelINS0_14default_configENS1_21merge_config_selectorINS0_5tupleIJddEEENS0_10empty_typeEEEZNS1_10merge_implIS3_NS0_12zip_iteratorINS5_IJN6thrust23THRUST_200600_302600_NS6detail15normal_iteratorINSC_10device_ptrIKdEEEESI_EEEEESK_NSA_INS5_IJNSC_16discard_iteratorINSC_11use_defaultEEESN_EEEEEPS7_SQ_SQ_NSC_11hip_rocprim7__merge17predicate_wrapperIddNSC_4lessIdEEEEEE10hipError_tPvRmT0_T1_T2_T3_T4_T5_mmT6_P12ihipStream_tbEUlT_E0_NS1_11comp_targetILNS1_3genE4ELNS1_11target_archE910ELNS1_3gpuE8ELNS1_3repE0EEENS1_30default_config_static_selectorELNS0_4arch9wavefront6targetE0EEEvS11_
; %bb.0:
	.section	.rodata,"a",@progbits
	.p2align	6, 0x0
	.amdhsa_kernel _ZN7rocprim17ROCPRIM_400000_NS6detail17trampoline_kernelINS0_14default_configENS1_21merge_config_selectorINS0_5tupleIJddEEENS0_10empty_typeEEEZNS1_10merge_implIS3_NS0_12zip_iteratorINS5_IJN6thrust23THRUST_200600_302600_NS6detail15normal_iteratorINSC_10device_ptrIKdEEEESI_EEEEESK_NSA_INS5_IJNSC_16discard_iteratorINSC_11use_defaultEEESN_EEEEEPS7_SQ_SQ_NSC_11hip_rocprim7__merge17predicate_wrapperIddNSC_4lessIdEEEEEE10hipError_tPvRmT0_T1_T2_T3_T4_T5_mmT6_P12ihipStream_tbEUlT_E0_NS1_11comp_targetILNS1_3genE4ELNS1_11target_archE910ELNS1_3gpuE8ELNS1_3repE0EEENS1_30default_config_static_selectorELNS0_4arch9wavefront6targetE0EEEvS11_
		.amdhsa_group_segment_fixed_size 0
		.amdhsa_private_segment_fixed_size 0
		.amdhsa_kernarg_size 128
		.amdhsa_user_sgpr_count 6
		.amdhsa_user_sgpr_private_segment_buffer 1
		.amdhsa_user_sgpr_dispatch_ptr 0
		.amdhsa_user_sgpr_queue_ptr 0
		.amdhsa_user_sgpr_kernarg_segment_ptr 1
		.amdhsa_user_sgpr_dispatch_id 0
		.amdhsa_user_sgpr_flat_scratch_init 0
		.amdhsa_user_sgpr_private_segment_size 0
		.amdhsa_wavefront_size32 1
		.amdhsa_uses_dynamic_stack 0
		.amdhsa_system_sgpr_private_segment_wavefront_offset 0
		.amdhsa_system_sgpr_workgroup_id_x 1
		.amdhsa_system_sgpr_workgroup_id_y 0
		.amdhsa_system_sgpr_workgroup_id_z 0
		.amdhsa_system_sgpr_workgroup_info 0
		.amdhsa_system_vgpr_workitem_id 0
		.amdhsa_next_free_vgpr 1
		.amdhsa_next_free_sgpr 1
		.amdhsa_reserve_vcc 0
		.amdhsa_reserve_flat_scratch 0
		.amdhsa_float_round_mode_32 0
		.amdhsa_float_round_mode_16_64 0
		.amdhsa_float_denorm_mode_32 3
		.amdhsa_float_denorm_mode_16_64 3
		.amdhsa_dx10_clamp 1
		.amdhsa_ieee_mode 1
		.amdhsa_fp16_overflow 0
		.amdhsa_workgroup_processor_mode 1
		.amdhsa_memory_ordered 1
		.amdhsa_forward_progress 1
		.amdhsa_shared_vgpr_count 0
		.amdhsa_exception_fp_ieee_invalid_op 0
		.amdhsa_exception_fp_denorm_src 0
		.amdhsa_exception_fp_ieee_div_zero 0
		.amdhsa_exception_fp_ieee_overflow 0
		.amdhsa_exception_fp_ieee_underflow 0
		.amdhsa_exception_fp_ieee_inexact 0
		.amdhsa_exception_int_div_zero 0
	.end_amdhsa_kernel
	.section	.text._ZN7rocprim17ROCPRIM_400000_NS6detail17trampoline_kernelINS0_14default_configENS1_21merge_config_selectorINS0_5tupleIJddEEENS0_10empty_typeEEEZNS1_10merge_implIS3_NS0_12zip_iteratorINS5_IJN6thrust23THRUST_200600_302600_NS6detail15normal_iteratorINSC_10device_ptrIKdEEEESI_EEEEESK_NSA_INS5_IJNSC_16discard_iteratorINSC_11use_defaultEEESN_EEEEEPS7_SQ_SQ_NSC_11hip_rocprim7__merge17predicate_wrapperIddNSC_4lessIdEEEEEE10hipError_tPvRmT0_T1_T2_T3_T4_T5_mmT6_P12ihipStream_tbEUlT_E0_NS1_11comp_targetILNS1_3genE4ELNS1_11target_archE910ELNS1_3gpuE8ELNS1_3repE0EEENS1_30default_config_static_selectorELNS0_4arch9wavefront6targetE0EEEvS11_,"axG",@progbits,_ZN7rocprim17ROCPRIM_400000_NS6detail17trampoline_kernelINS0_14default_configENS1_21merge_config_selectorINS0_5tupleIJddEEENS0_10empty_typeEEEZNS1_10merge_implIS3_NS0_12zip_iteratorINS5_IJN6thrust23THRUST_200600_302600_NS6detail15normal_iteratorINSC_10device_ptrIKdEEEESI_EEEEESK_NSA_INS5_IJNSC_16discard_iteratorINSC_11use_defaultEEESN_EEEEEPS7_SQ_SQ_NSC_11hip_rocprim7__merge17predicate_wrapperIddNSC_4lessIdEEEEEE10hipError_tPvRmT0_T1_T2_T3_T4_T5_mmT6_P12ihipStream_tbEUlT_E0_NS1_11comp_targetILNS1_3genE4ELNS1_11target_archE910ELNS1_3gpuE8ELNS1_3repE0EEENS1_30default_config_static_selectorELNS0_4arch9wavefront6targetE0EEEvS11_,comdat
.Lfunc_end490:
	.size	_ZN7rocprim17ROCPRIM_400000_NS6detail17trampoline_kernelINS0_14default_configENS1_21merge_config_selectorINS0_5tupleIJddEEENS0_10empty_typeEEEZNS1_10merge_implIS3_NS0_12zip_iteratorINS5_IJN6thrust23THRUST_200600_302600_NS6detail15normal_iteratorINSC_10device_ptrIKdEEEESI_EEEEESK_NSA_INS5_IJNSC_16discard_iteratorINSC_11use_defaultEEESN_EEEEEPS7_SQ_SQ_NSC_11hip_rocprim7__merge17predicate_wrapperIddNSC_4lessIdEEEEEE10hipError_tPvRmT0_T1_T2_T3_T4_T5_mmT6_P12ihipStream_tbEUlT_E0_NS1_11comp_targetILNS1_3genE4ELNS1_11target_archE910ELNS1_3gpuE8ELNS1_3repE0EEENS1_30default_config_static_selectorELNS0_4arch9wavefront6targetE0EEEvS11_, .Lfunc_end490-_ZN7rocprim17ROCPRIM_400000_NS6detail17trampoline_kernelINS0_14default_configENS1_21merge_config_selectorINS0_5tupleIJddEEENS0_10empty_typeEEEZNS1_10merge_implIS3_NS0_12zip_iteratorINS5_IJN6thrust23THRUST_200600_302600_NS6detail15normal_iteratorINSC_10device_ptrIKdEEEESI_EEEEESK_NSA_INS5_IJNSC_16discard_iteratorINSC_11use_defaultEEESN_EEEEEPS7_SQ_SQ_NSC_11hip_rocprim7__merge17predicate_wrapperIddNSC_4lessIdEEEEEE10hipError_tPvRmT0_T1_T2_T3_T4_T5_mmT6_P12ihipStream_tbEUlT_E0_NS1_11comp_targetILNS1_3genE4ELNS1_11target_archE910ELNS1_3gpuE8ELNS1_3repE0EEENS1_30default_config_static_selectorELNS0_4arch9wavefront6targetE0EEEvS11_
                                        ; -- End function
	.set _ZN7rocprim17ROCPRIM_400000_NS6detail17trampoline_kernelINS0_14default_configENS1_21merge_config_selectorINS0_5tupleIJddEEENS0_10empty_typeEEEZNS1_10merge_implIS3_NS0_12zip_iteratorINS5_IJN6thrust23THRUST_200600_302600_NS6detail15normal_iteratorINSC_10device_ptrIKdEEEESI_EEEEESK_NSA_INS5_IJNSC_16discard_iteratorINSC_11use_defaultEEESN_EEEEEPS7_SQ_SQ_NSC_11hip_rocprim7__merge17predicate_wrapperIddNSC_4lessIdEEEEEE10hipError_tPvRmT0_T1_T2_T3_T4_T5_mmT6_P12ihipStream_tbEUlT_E0_NS1_11comp_targetILNS1_3genE4ELNS1_11target_archE910ELNS1_3gpuE8ELNS1_3repE0EEENS1_30default_config_static_selectorELNS0_4arch9wavefront6targetE0EEEvS11_.num_vgpr, 0
	.set _ZN7rocprim17ROCPRIM_400000_NS6detail17trampoline_kernelINS0_14default_configENS1_21merge_config_selectorINS0_5tupleIJddEEENS0_10empty_typeEEEZNS1_10merge_implIS3_NS0_12zip_iteratorINS5_IJN6thrust23THRUST_200600_302600_NS6detail15normal_iteratorINSC_10device_ptrIKdEEEESI_EEEEESK_NSA_INS5_IJNSC_16discard_iteratorINSC_11use_defaultEEESN_EEEEEPS7_SQ_SQ_NSC_11hip_rocprim7__merge17predicate_wrapperIddNSC_4lessIdEEEEEE10hipError_tPvRmT0_T1_T2_T3_T4_T5_mmT6_P12ihipStream_tbEUlT_E0_NS1_11comp_targetILNS1_3genE4ELNS1_11target_archE910ELNS1_3gpuE8ELNS1_3repE0EEENS1_30default_config_static_selectorELNS0_4arch9wavefront6targetE0EEEvS11_.num_agpr, 0
	.set _ZN7rocprim17ROCPRIM_400000_NS6detail17trampoline_kernelINS0_14default_configENS1_21merge_config_selectorINS0_5tupleIJddEEENS0_10empty_typeEEEZNS1_10merge_implIS3_NS0_12zip_iteratorINS5_IJN6thrust23THRUST_200600_302600_NS6detail15normal_iteratorINSC_10device_ptrIKdEEEESI_EEEEESK_NSA_INS5_IJNSC_16discard_iteratorINSC_11use_defaultEEESN_EEEEEPS7_SQ_SQ_NSC_11hip_rocprim7__merge17predicate_wrapperIddNSC_4lessIdEEEEEE10hipError_tPvRmT0_T1_T2_T3_T4_T5_mmT6_P12ihipStream_tbEUlT_E0_NS1_11comp_targetILNS1_3genE4ELNS1_11target_archE910ELNS1_3gpuE8ELNS1_3repE0EEENS1_30default_config_static_selectorELNS0_4arch9wavefront6targetE0EEEvS11_.numbered_sgpr, 0
	.set _ZN7rocprim17ROCPRIM_400000_NS6detail17trampoline_kernelINS0_14default_configENS1_21merge_config_selectorINS0_5tupleIJddEEENS0_10empty_typeEEEZNS1_10merge_implIS3_NS0_12zip_iteratorINS5_IJN6thrust23THRUST_200600_302600_NS6detail15normal_iteratorINSC_10device_ptrIKdEEEESI_EEEEESK_NSA_INS5_IJNSC_16discard_iteratorINSC_11use_defaultEEESN_EEEEEPS7_SQ_SQ_NSC_11hip_rocprim7__merge17predicate_wrapperIddNSC_4lessIdEEEEEE10hipError_tPvRmT0_T1_T2_T3_T4_T5_mmT6_P12ihipStream_tbEUlT_E0_NS1_11comp_targetILNS1_3genE4ELNS1_11target_archE910ELNS1_3gpuE8ELNS1_3repE0EEENS1_30default_config_static_selectorELNS0_4arch9wavefront6targetE0EEEvS11_.num_named_barrier, 0
	.set _ZN7rocprim17ROCPRIM_400000_NS6detail17trampoline_kernelINS0_14default_configENS1_21merge_config_selectorINS0_5tupleIJddEEENS0_10empty_typeEEEZNS1_10merge_implIS3_NS0_12zip_iteratorINS5_IJN6thrust23THRUST_200600_302600_NS6detail15normal_iteratorINSC_10device_ptrIKdEEEESI_EEEEESK_NSA_INS5_IJNSC_16discard_iteratorINSC_11use_defaultEEESN_EEEEEPS7_SQ_SQ_NSC_11hip_rocprim7__merge17predicate_wrapperIddNSC_4lessIdEEEEEE10hipError_tPvRmT0_T1_T2_T3_T4_T5_mmT6_P12ihipStream_tbEUlT_E0_NS1_11comp_targetILNS1_3genE4ELNS1_11target_archE910ELNS1_3gpuE8ELNS1_3repE0EEENS1_30default_config_static_selectorELNS0_4arch9wavefront6targetE0EEEvS11_.private_seg_size, 0
	.set _ZN7rocprim17ROCPRIM_400000_NS6detail17trampoline_kernelINS0_14default_configENS1_21merge_config_selectorINS0_5tupleIJddEEENS0_10empty_typeEEEZNS1_10merge_implIS3_NS0_12zip_iteratorINS5_IJN6thrust23THRUST_200600_302600_NS6detail15normal_iteratorINSC_10device_ptrIKdEEEESI_EEEEESK_NSA_INS5_IJNSC_16discard_iteratorINSC_11use_defaultEEESN_EEEEEPS7_SQ_SQ_NSC_11hip_rocprim7__merge17predicate_wrapperIddNSC_4lessIdEEEEEE10hipError_tPvRmT0_T1_T2_T3_T4_T5_mmT6_P12ihipStream_tbEUlT_E0_NS1_11comp_targetILNS1_3genE4ELNS1_11target_archE910ELNS1_3gpuE8ELNS1_3repE0EEENS1_30default_config_static_selectorELNS0_4arch9wavefront6targetE0EEEvS11_.uses_vcc, 0
	.set _ZN7rocprim17ROCPRIM_400000_NS6detail17trampoline_kernelINS0_14default_configENS1_21merge_config_selectorINS0_5tupleIJddEEENS0_10empty_typeEEEZNS1_10merge_implIS3_NS0_12zip_iteratorINS5_IJN6thrust23THRUST_200600_302600_NS6detail15normal_iteratorINSC_10device_ptrIKdEEEESI_EEEEESK_NSA_INS5_IJNSC_16discard_iteratorINSC_11use_defaultEEESN_EEEEEPS7_SQ_SQ_NSC_11hip_rocprim7__merge17predicate_wrapperIddNSC_4lessIdEEEEEE10hipError_tPvRmT0_T1_T2_T3_T4_T5_mmT6_P12ihipStream_tbEUlT_E0_NS1_11comp_targetILNS1_3genE4ELNS1_11target_archE910ELNS1_3gpuE8ELNS1_3repE0EEENS1_30default_config_static_selectorELNS0_4arch9wavefront6targetE0EEEvS11_.uses_flat_scratch, 0
	.set _ZN7rocprim17ROCPRIM_400000_NS6detail17trampoline_kernelINS0_14default_configENS1_21merge_config_selectorINS0_5tupleIJddEEENS0_10empty_typeEEEZNS1_10merge_implIS3_NS0_12zip_iteratorINS5_IJN6thrust23THRUST_200600_302600_NS6detail15normal_iteratorINSC_10device_ptrIKdEEEESI_EEEEESK_NSA_INS5_IJNSC_16discard_iteratorINSC_11use_defaultEEESN_EEEEEPS7_SQ_SQ_NSC_11hip_rocprim7__merge17predicate_wrapperIddNSC_4lessIdEEEEEE10hipError_tPvRmT0_T1_T2_T3_T4_T5_mmT6_P12ihipStream_tbEUlT_E0_NS1_11comp_targetILNS1_3genE4ELNS1_11target_archE910ELNS1_3gpuE8ELNS1_3repE0EEENS1_30default_config_static_selectorELNS0_4arch9wavefront6targetE0EEEvS11_.has_dyn_sized_stack, 0
	.set _ZN7rocprim17ROCPRIM_400000_NS6detail17trampoline_kernelINS0_14default_configENS1_21merge_config_selectorINS0_5tupleIJddEEENS0_10empty_typeEEEZNS1_10merge_implIS3_NS0_12zip_iteratorINS5_IJN6thrust23THRUST_200600_302600_NS6detail15normal_iteratorINSC_10device_ptrIKdEEEESI_EEEEESK_NSA_INS5_IJNSC_16discard_iteratorINSC_11use_defaultEEESN_EEEEEPS7_SQ_SQ_NSC_11hip_rocprim7__merge17predicate_wrapperIddNSC_4lessIdEEEEEE10hipError_tPvRmT0_T1_T2_T3_T4_T5_mmT6_P12ihipStream_tbEUlT_E0_NS1_11comp_targetILNS1_3genE4ELNS1_11target_archE910ELNS1_3gpuE8ELNS1_3repE0EEENS1_30default_config_static_selectorELNS0_4arch9wavefront6targetE0EEEvS11_.has_recursion, 0
	.set _ZN7rocprim17ROCPRIM_400000_NS6detail17trampoline_kernelINS0_14default_configENS1_21merge_config_selectorINS0_5tupleIJddEEENS0_10empty_typeEEEZNS1_10merge_implIS3_NS0_12zip_iteratorINS5_IJN6thrust23THRUST_200600_302600_NS6detail15normal_iteratorINSC_10device_ptrIKdEEEESI_EEEEESK_NSA_INS5_IJNSC_16discard_iteratorINSC_11use_defaultEEESN_EEEEEPS7_SQ_SQ_NSC_11hip_rocprim7__merge17predicate_wrapperIddNSC_4lessIdEEEEEE10hipError_tPvRmT0_T1_T2_T3_T4_T5_mmT6_P12ihipStream_tbEUlT_E0_NS1_11comp_targetILNS1_3genE4ELNS1_11target_archE910ELNS1_3gpuE8ELNS1_3repE0EEENS1_30default_config_static_selectorELNS0_4arch9wavefront6targetE0EEEvS11_.has_indirect_call, 0
	.section	.AMDGPU.csdata,"",@progbits
; Kernel info:
; codeLenInByte = 0
; TotalNumSgprs: 0
; NumVgprs: 0
; ScratchSize: 0
; MemoryBound: 0
; FloatMode: 240
; IeeeMode: 1
; LDSByteSize: 0 bytes/workgroup (compile time only)
; SGPRBlocks: 0
; VGPRBlocks: 0
; NumSGPRsForWavesPerEU: 1
; NumVGPRsForWavesPerEU: 1
; Occupancy: 16
; WaveLimiterHint : 0
; COMPUTE_PGM_RSRC2:SCRATCH_EN: 0
; COMPUTE_PGM_RSRC2:USER_SGPR: 6
; COMPUTE_PGM_RSRC2:TRAP_HANDLER: 0
; COMPUTE_PGM_RSRC2:TGID_X_EN: 1
; COMPUTE_PGM_RSRC2:TGID_Y_EN: 0
; COMPUTE_PGM_RSRC2:TGID_Z_EN: 0
; COMPUTE_PGM_RSRC2:TIDIG_COMP_CNT: 0
	.section	.text._ZN7rocprim17ROCPRIM_400000_NS6detail17trampoline_kernelINS0_14default_configENS1_21merge_config_selectorINS0_5tupleIJddEEENS0_10empty_typeEEEZNS1_10merge_implIS3_NS0_12zip_iteratorINS5_IJN6thrust23THRUST_200600_302600_NS6detail15normal_iteratorINSC_10device_ptrIKdEEEESI_EEEEESK_NSA_INS5_IJNSC_16discard_iteratorINSC_11use_defaultEEESN_EEEEEPS7_SQ_SQ_NSC_11hip_rocprim7__merge17predicate_wrapperIddNSC_4lessIdEEEEEE10hipError_tPvRmT0_T1_T2_T3_T4_T5_mmT6_P12ihipStream_tbEUlT_E0_NS1_11comp_targetILNS1_3genE3ELNS1_11target_archE908ELNS1_3gpuE7ELNS1_3repE0EEENS1_30default_config_static_selectorELNS0_4arch9wavefront6targetE0EEEvS11_,"axG",@progbits,_ZN7rocprim17ROCPRIM_400000_NS6detail17trampoline_kernelINS0_14default_configENS1_21merge_config_selectorINS0_5tupleIJddEEENS0_10empty_typeEEEZNS1_10merge_implIS3_NS0_12zip_iteratorINS5_IJN6thrust23THRUST_200600_302600_NS6detail15normal_iteratorINSC_10device_ptrIKdEEEESI_EEEEESK_NSA_INS5_IJNSC_16discard_iteratorINSC_11use_defaultEEESN_EEEEEPS7_SQ_SQ_NSC_11hip_rocprim7__merge17predicate_wrapperIddNSC_4lessIdEEEEEE10hipError_tPvRmT0_T1_T2_T3_T4_T5_mmT6_P12ihipStream_tbEUlT_E0_NS1_11comp_targetILNS1_3genE3ELNS1_11target_archE908ELNS1_3gpuE7ELNS1_3repE0EEENS1_30default_config_static_selectorELNS0_4arch9wavefront6targetE0EEEvS11_,comdat
	.protected	_ZN7rocprim17ROCPRIM_400000_NS6detail17trampoline_kernelINS0_14default_configENS1_21merge_config_selectorINS0_5tupleIJddEEENS0_10empty_typeEEEZNS1_10merge_implIS3_NS0_12zip_iteratorINS5_IJN6thrust23THRUST_200600_302600_NS6detail15normal_iteratorINSC_10device_ptrIKdEEEESI_EEEEESK_NSA_INS5_IJNSC_16discard_iteratorINSC_11use_defaultEEESN_EEEEEPS7_SQ_SQ_NSC_11hip_rocprim7__merge17predicate_wrapperIddNSC_4lessIdEEEEEE10hipError_tPvRmT0_T1_T2_T3_T4_T5_mmT6_P12ihipStream_tbEUlT_E0_NS1_11comp_targetILNS1_3genE3ELNS1_11target_archE908ELNS1_3gpuE7ELNS1_3repE0EEENS1_30default_config_static_selectorELNS0_4arch9wavefront6targetE0EEEvS11_ ; -- Begin function _ZN7rocprim17ROCPRIM_400000_NS6detail17trampoline_kernelINS0_14default_configENS1_21merge_config_selectorINS0_5tupleIJddEEENS0_10empty_typeEEEZNS1_10merge_implIS3_NS0_12zip_iteratorINS5_IJN6thrust23THRUST_200600_302600_NS6detail15normal_iteratorINSC_10device_ptrIKdEEEESI_EEEEESK_NSA_INS5_IJNSC_16discard_iteratorINSC_11use_defaultEEESN_EEEEEPS7_SQ_SQ_NSC_11hip_rocprim7__merge17predicate_wrapperIddNSC_4lessIdEEEEEE10hipError_tPvRmT0_T1_T2_T3_T4_T5_mmT6_P12ihipStream_tbEUlT_E0_NS1_11comp_targetILNS1_3genE3ELNS1_11target_archE908ELNS1_3gpuE7ELNS1_3repE0EEENS1_30default_config_static_selectorELNS0_4arch9wavefront6targetE0EEEvS11_
	.globl	_ZN7rocprim17ROCPRIM_400000_NS6detail17trampoline_kernelINS0_14default_configENS1_21merge_config_selectorINS0_5tupleIJddEEENS0_10empty_typeEEEZNS1_10merge_implIS3_NS0_12zip_iteratorINS5_IJN6thrust23THRUST_200600_302600_NS6detail15normal_iteratorINSC_10device_ptrIKdEEEESI_EEEEESK_NSA_INS5_IJNSC_16discard_iteratorINSC_11use_defaultEEESN_EEEEEPS7_SQ_SQ_NSC_11hip_rocprim7__merge17predicate_wrapperIddNSC_4lessIdEEEEEE10hipError_tPvRmT0_T1_T2_T3_T4_T5_mmT6_P12ihipStream_tbEUlT_E0_NS1_11comp_targetILNS1_3genE3ELNS1_11target_archE908ELNS1_3gpuE7ELNS1_3repE0EEENS1_30default_config_static_selectorELNS0_4arch9wavefront6targetE0EEEvS11_
	.p2align	8
	.type	_ZN7rocprim17ROCPRIM_400000_NS6detail17trampoline_kernelINS0_14default_configENS1_21merge_config_selectorINS0_5tupleIJddEEENS0_10empty_typeEEEZNS1_10merge_implIS3_NS0_12zip_iteratorINS5_IJN6thrust23THRUST_200600_302600_NS6detail15normal_iteratorINSC_10device_ptrIKdEEEESI_EEEEESK_NSA_INS5_IJNSC_16discard_iteratorINSC_11use_defaultEEESN_EEEEEPS7_SQ_SQ_NSC_11hip_rocprim7__merge17predicate_wrapperIddNSC_4lessIdEEEEEE10hipError_tPvRmT0_T1_T2_T3_T4_T5_mmT6_P12ihipStream_tbEUlT_E0_NS1_11comp_targetILNS1_3genE3ELNS1_11target_archE908ELNS1_3gpuE7ELNS1_3repE0EEENS1_30default_config_static_selectorELNS0_4arch9wavefront6targetE0EEEvS11_,@function
_ZN7rocprim17ROCPRIM_400000_NS6detail17trampoline_kernelINS0_14default_configENS1_21merge_config_selectorINS0_5tupleIJddEEENS0_10empty_typeEEEZNS1_10merge_implIS3_NS0_12zip_iteratorINS5_IJN6thrust23THRUST_200600_302600_NS6detail15normal_iteratorINSC_10device_ptrIKdEEEESI_EEEEESK_NSA_INS5_IJNSC_16discard_iteratorINSC_11use_defaultEEESN_EEEEEPS7_SQ_SQ_NSC_11hip_rocprim7__merge17predicate_wrapperIddNSC_4lessIdEEEEEE10hipError_tPvRmT0_T1_T2_T3_T4_T5_mmT6_P12ihipStream_tbEUlT_E0_NS1_11comp_targetILNS1_3genE3ELNS1_11target_archE908ELNS1_3gpuE7ELNS1_3repE0EEENS1_30default_config_static_selectorELNS0_4arch9wavefront6targetE0EEEvS11_: ; @_ZN7rocprim17ROCPRIM_400000_NS6detail17trampoline_kernelINS0_14default_configENS1_21merge_config_selectorINS0_5tupleIJddEEENS0_10empty_typeEEEZNS1_10merge_implIS3_NS0_12zip_iteratorINS5_IJN6thrust23THRUST_200600_302600_NS6detail15normal_iteratorINSC_10device_ptrIKdEEEESI_EEEEESK_NSA_INS5_IJNSC_16discard_iteratorINSC_11use_defaultEEESN_EEEEEPS7_SQ_SQ_NSC_11hip_rocprim7__merge17predicate_wrapperIddNSC_4lessIdEEEEEE10hipError_tPvRmT0_T1_T2_T3_T4_T5_mmT6_P12ihipStream_tbEUlT_E0_NS1_11comp_targetILNS1_3genE3ELNS1_11target_archE908ELNS1_3gpuE7ELNS1_3repE0EEENS1_30default_config_static_selectorELNS0_4arch9wavefront6targetE0EEEvS11_
; %bb.0:
	.section	.rodata,"a",@progbits
	.p2align	6, 0x0
	.amdhsa_kernel _ZN7rocprim17ROCPRIM_400000_NS6detail17trampoline_kernelINS0_14default_configENS1_21merge_config_selectorINS0_5tupleIJddEEENS0_10empty_typeEEEZNS1_10merge_implIS3_NS0_12zip_iteratorINS5_IJN6thrust23THRUST_200600_302600_NS6detail15normal_iteratorINSC_10device_ptrIKdEEEESI_EEEEESK_NSA_INS5_IJNSC_16discard_iteratorINSC_11use_defaultEEESN_EEEEEPS7_SQ_SQ_NSC_11hip_rocprim7__merge17predicate_wrapperIddNSC_4lessIdEEEEEE10hipError_tPvRmT0_T1_T2_T3_T4_T5_mmT6_P12ihipStream_tbEUlT_E0_NS1_11comp_targetILNS1_3genE3ELNS1_11target_archE908ELNS1_3gpuE7ELNS1_3repE0EEENS1_30default_config_static_selectorELNS0_4arch9wavefront6targetE0EEEvS11_
		.amdhsa_group_segment_fixed_size 0
		.amdhsa_private_segment_fixed_size 0
		.amdhsa_kernarg_size 128
		.amdhsa_user_sgpr_count 6
		.amdhsa_user_sgpr_private_segment_buffer 1
		.amdhsa_user_sgpr_dispatch_ptr 0
		.amdhsa_user_sgpr_queue_ptr 0
		.amdhsa_user_sgpr_kernarg_segment_ptr 1
		.amdhsa_user_sgpr_dispatch_id 0
		.amdhsa_user_sgpr_flat_scratch_init 0
		.amdhsa_user_sgpr_private_segment_size 0
		.amdhsa_wavefront_size32 1
		.amdhsa_uses_dynamic_stack 0
		.amdhsa_system_sgpr_private_segment_wavefront_offset 0
		.amdhsa_system_sgpr_workgroup_id_x 1
		.amdhsa_system_sgpr_workgroup_id_y 0
		.amdhsa_system_sgpr_workgroup_id_z 0
		.amdhsa_system_sgpr_workgroup_info 0
		.amdhsa_system_vgpr_workitem_id 0
		.amdhsa_next_free_vgpr 1
		.amdhsa_next_free_sgpr 1
		.amdhsa_reserve_vcc 0
		.amdhsa_reserve_flat_scratch 0
		.amdhsa_float_round_mode_32 0
		.amdhsa_float_round_mode_16_64 0
		.amdhsa_float_denorm_mode_32 3
		.amdhsa_float_denorm_mode_16_64 3
		.amdhsa_dx10_clamp 1
		.amdhsa_ieee_mode 1
		.amdhsa_fp16_overflow 0
		.amdhsa_workgroup_processor_mode 1
		.amdhsa_memory_ordered 1
		.amdhsa_forward_progress 1
		.amdhsa_shared_vgpr_count 0
		.amdhsa_exception_fp_ieee_invalid_op 0
		.amdhsa_exception_fp_denorm_src 0
		.amdhsa_exception_fp_ieee_div_zero 0
		.amdhsa_exception_fp_ieee_overflow 0
		.amdhsa_exception_fp_ieee_underflow 0
		.amdhsa_exception_fp_ieee_inexact 0
		.amdhsa_exception_int_div_zero 0
	.end_amdhsa_kernel
	.section	.text._ZN7rocprim17ROCPRIM_400000_NS6detail17trampoline_kernelINS0_14default_configENS1_21merge_config_selectorINS0_5tupleIJddEEENS0_10empty_typeEEEZNS1_10merge_implIS3_NS0_12zip_iteratorINS5_IJN6thrust23THRUST_200600_302600_NS6detail15normal_iteratorINSC_10device_ptrIKdEEEESI_EEEEESK_NSA_INS5_IJNSC_16discard_iteratorINSC_11use_defaultEEESN_EEEEEPS7_SQ_SQ_NSC_11hip_rocprim7__merge17predicate_wrapperIddNSC_4lessIdEEEEEE10hipError_tPvRmT0_T1_T2_T3_T4_T5_mmT6_P12ihipStream_tbEUlT_E0_NS1_11comp_targetILNS1_3genE3ELNS1_11target_archE908ELNS1_3gpuE7ELNS1_3repE0EEENS1_30default_config_static_selectorELNS0_4arch9wavefront6targetE0EEEvS11_,"axG",@progbits,_ZN7rocprim17ROCPRIM_400000_NS6detail17trampoline_kernelINS0_14default_configENS1_21merge_config_selectorINS0_5tupleIJddEEENS0_10empty_typeEEEZNS1_10merge_implIS3_NS0_12zip_iteratorINS5_IJN6thrust23THRUST_200600_302600_NS6detail15normal_iteratorINSC_10device_ptrIKdEEEESI_EEEEESK_NSA_INS5_IJNSC_16discard_iteratorINSC_11use_defaultEEESN_EEEEEPS7_SQ_SQ_NSC_11hip_rocprim7__merge17predicate_wrapperIddNSC_4lessIdEEEEEE10hipError_tPvRmT0_T1_T2_T3_T4_T5_mmT6_P12ihipStream_tbEUlT_E0_NS1_11comp_targetILNS1_3genE3ELNS1_11target_archE908ELNS1_3gpuE7ELNS1_3repE0EEENS1_30default_config_static_selectorELNS0_4arch9wavefront6targetE0EEEvS11_,comdat
.Lfunc_end491:
	.size	_ZN7rocprim17ROCPRIM_400000_NS6detail17trampoline_kernelINS0_14default_configENS1_21merge_config_selectorINS0_5tupleIJddEEENS0_10empty_typeEEEZNS1_10merge_implIS3_NS0_12zip_iteratorINS5_IJN6thrust23THRUST_200600_302600_NS6detail15normal_iteratorINSC_10device_ptrIKdEEEESI_EEEEESK_NSA_INS5_IJNSC_16discard_iteratorINSC_11use_defaultEEESN_EEEEEPS7_SQ_SQ_NSC_11hip_rocprim7__merge17predicate_wrapperIddNSC_4lessIdEEEEEE10hipError_tPvRmT0_T1_T2_T3_T4_T5_mmT6_P12ihipStream_tbEUlT_E0_NS1_11comp_targetILNS1_3genE3ELNS1_11target_archE908ELNS1_3gpuE7ELNS1_3repE0EEENS1_30default_config_static_selectorELNS0_4arch9wavefront6targetE0EEEvS11_, .Lfunc_end491-_ZN7rocprim17ROCPRIM_400000_NS6detail17trampoline_kernelINS0_14default_configENS1_21merge_config_selectorINS0_5tupleIJddEEENS0_10empty_typeEEEZNS1_10merge_implIS3_NS0_12zip_iteratorINS5_IJN6thrust23THRUST_200600_302600_NS6detail15normal_iteratorINSC_10device_ptrIKdEEEESI_EEEEESK_NSA_INS5_IJNSC_16discard_iteratorINSC_11use_defaultEEESN_EEEEEPS7_SQ_SQ_NSC_11hip_rocprim7__merge17predicate_wrapperIddNSC_4lessIdEEEEEE10hipError_tPvRmT0_T1_T2_T3_T4_T5_mmT6_P12ihipStream_tbEUlT_E0_NS1_11comp_targetILNS1_3genE3ELNS1_11target_archE908ELNS1_3gpuE7ELNS1_3repE0EEENS1_30default_config_static_selectorELNS0_4arch9wavefront6targetE0EEEvS11_
                                        ; -- End function
	.set _ZN7rocprim17ROCPRIM_400000_NS6detail17trampoline_kernelINS0_14default_configENS1_21merge_config_selectorINS0_5tupleIJddEEENS0_10empty_typeEEEZNS1_10merge_implIS3_NS0_12zip_iteratorINS5_IJN6thrust23THRUST_200600_302600_NS6detail15normal_iteratorINSC_10device_ptrIKdEEEESI_EEEEESK_NSA_INS5_IJNSC_16discard_iteratorINSC_11use_defaultEEESN_EEEEEPS7_SQ_SQ_NSC_11hip_rocprim7__merge17predicate_wrapperIddNSC_4lessIdEEEEEE10hipError_tPvRmT0_T1_T2_T3_T4_T5_mmT6_P12ihipStream_tbEUlT_E0_NS1_11comp_targetILNS1_3genE3ELNS1_11target_archE908ELNS1_3gpuE7ELNS1_3repE0EEENS1_30default_config_static_selectorELNS0_4arch9wavefront6targetE0EEEvS11_.num_vgpr, 0
	.set _ZN7rocprim17ROCPRIM_400000_NS6detail17trampoline_kernelINS0_14default_configENS1_21merge_config_selectorINS0_5tupleIJddEEENS0_10empty_typeEEEZNS1_10merge_implIS3_NS0_12zip_iteratorINS5_IJN6thrust23THRUST_200600_302600_NS6detail15normal_iteratorINSC_10device_ptrIKdEEEESI_EEEEESK_NSA_INS5_IJNSC_16discard_iteratorINSC_11use_defaultEEESN_EEEEEPS7_SQ_SQ_NSC_11hip_rocprim7__merge17predicate_wrapperIddNSC_4lessIdEEEEEE10hipError_tPvRmT0_T1_T2_T3_T4_T5_mmT6_P12ihipStream_tbEUlT_E0_NS1_11comp_targetILNS1_3genE3ELNS1_11target_archE908ELNS1_3gpuE7ELNS1_3repE0EEENS1_30default_config_static_selectorELNS0_4arch9wavefront6targetE0EEEvS11_.num_agpr, 0
	.set _ZN7rocprim17ROCPRIM_400000_NS6detail17trampoline_kernelINS0_14default_configENS1_21merge_config_selectorINS0_5tupleIJddEEENS0_10empty_typeEEEZNS1_10merge_implIS3_NS0_12zip_iteratorINS5_IJN6thrust23THRUST_200600_302600_NS6detail15normal_iteratorINSC_10device_ptrIKdEEEESI_EEEEESK_NSA_INS5_IJNSC_16discard_iteratorINSC_11use_defaultEEESN_EEEEEPS7_SQ_SQ_NSC_11hip_rocprim7__merge17predicate_wrapperIddNSC_4lessIdEEEEEE10hipError_tPvRmT0_T1_T2_T3_T4_T5_mmT6_P12ihipStream_tbEUlT_E0_NS1_11comp_targetILNS1_3genE3ELNS1_11target_archE908ELNS1_3gpuE7ELNS1_3repE0EEENS1_30default_config_static_selectorELNS0_4arch9wavefront6targetE0EEEvS11_.numbered_sgpr, 0
	.set _ZN7rocprim17ROCPRIM_400000_NS6detail17trampoline_kernelINS0_14default_configENS1_21merge_config_selectorINS0_5tupleIJddEEENS0_10empty_typeEEEZNS1_10merge_implIS3_NS0_12zip_iteratorINS5_IJN6thrust23THRUST_200600_302600_NS6detail15normal_iteratorINSC_10device_ptrIKdEEEESI_EEEEESK_NSA_INS5_IJNSC_16discard_iteratorINSC_11use_defaultEEESN_EEEEEPS7_SQ_SQ_NSC_11hip_rocprim7__merge17predicate_wrapperIddNSC_4lessIdEEEEEE10hipError_tPvRmT0_T1_T2_T3_T4_T5_mmT6_P12ihipStream_tbEUlT_E0_NS1_11comp_targetILNS1_3genE3ELNS1_11target_archE908ELNS1_3gpuE7ELNS1_3repE0EEENS1_30default_config_static_selectorELNS0_4arch9wavefront6targetE0EEEvS11_.num_named_barrier, 0
	.set _ZN7rocprim17ROCPRIM_400000_NS6detail17trampoline_kernelINS0_14default_configENS1_21merge_config_selectorINS0_5tupleIJddEEENS0_10empty_typeEEEZNS1_10merge_implIS3_NS0_12zip_iteratorINS5_IJN6thrust23THRUST_200600_302600_NS6detail15normal_iteratorINSC_10device_ptrIKdEEEESI_EEEEESK_NSA_INS5_IJNSC_16discard_iteratorINSC_11use_defaultEEESN_EEEEEPS7_SQ_SQ_NSC_11hip_rocprim7__merge17predicate_wrapperIddNSC_4lessIdEEEEEE10hipError_tPvRmT0_T1_T2_T3_T4_T5_mmT6_P12ihipStream_tbEUlT_E0_NS1_11comp_targetILNS1_3genE3ELNS1_11target_archE908ELNS1_3gpuE7ELNS1_3repE0EEENS1_30default_config_static_selectorELNS0_4arch9wavefront6targetE0EEEvS11_.private_seg_size, 0
	.set _ZN7rocprim17ROCPRIM_400000_NS6detail17trampoline_kernelINS0_14default_configENS1_21merge_config_selectorINS0_5tupleIJddEEENS0_10empty_typeEEEZNS1_10merge_implIS3_NS0_12zip_iteratorINS5_IJN6thrust23THRUST_200600_302600_NS6detail15normal_iteratorINSC_10device_ptrIKdEEEESI_EEEEESK_NSA_INS5_IJNSC_16discard_iteratorINSC_11use_defaultEEESN_EEEEEPS7_SQ_SQ_NSC_11hip_rocprim7__merge17predicate_wrapperIddNSC_4lessIdEEEEEE10hipError_tPvRmT0_T1_T2_T3_T4_T5_mmT6_P12ihipStream_tbEUlT_E0_NS1_11comp_targetILNS1_3genE3ELNS1_11target_archE908ELNS1_3gpuE7ELNS1_3repE0EEENS1_30default_config_static_selectorELNS0_4arch9wavefront6targetE0EEEvS11_.uses_vcc, 0
	.set _ZN7rocprim17ROCPRIM_400000_NS6detail17trampoline_kernelINS0_14default_configENS1_21merge_config_selectorINS0_5tupleIJddEEENS0_10empty_typeEEEZNS1_10merge_implIS3_NS0_12zip_iteratorINS5_IJN6thrust23THRUST_200600_302600_NS6detail15normal_iteratorINSC_10device_ptrIKdEEEESI_EEEEESK_NSA_INS5_IJNSC_16discard_iteratorINSC_11use_defaultEEESN_EEEEEPS7_SQ_SQ_NSC_11hip_rocprim7__merge17predicate_wrapperIddNSC_4lessIdEEEEEE10hipError_tPvRmT0_T1_T2_T3_T4_T5_mmT6_P12ihipStream_tbEUlT_E0_NS1_11comp_targetILNS1_3genE3ELNS1_11target_archE908ELNS1_3gpuE7ELNS1_3repE0EEENS1_30default_config_static_selectorELNS0_4arch9wavefront6targetE0EEEvS11_.uses_flat_scratch, 0
	.set _ZN7rocprim17ROCPRIM_400000_NS6detail17trampoline_kernelINS0_14default_configENS1_21merge_config_selectorINS0_5tupleIJddEEENS0_10empty_typeEEEZNS1_10merge_implIS3_NS0_12zip_iteratorINS5_IJN6thrust23THRUST_200600_302600_NS6detail15normal_iteratorINSC_10device_ptrIKdEEEESI_EEEEESK_NSA_INS5_IJNSC_16discard_iteratorINSC_11use_defaultEEESN_EEEEEPS7_SQ_SQ_NSC_11hip_rocprim7__merge17predicate_wrapperIddNSC_4lessIdEEEEEE10hipError_tPvRmT0_T1_T2_T3_T4_T5_mmT6_P12ihipStream_tbEUlT_E0_NS1_11comp_targetILNS1_3genE3ELNS1_11target_archE908ELNS1_3gpuE7ELNS1_3repE0EEENS1_30default_config_static_selectorELNS0_4arch9wavefront6targetE0EEEvS11_.has_dyn_sized_stack, 0
	.set _ZN7rocprim17ROCPRIM_400000_NS6detail17trampoline_kernelINS0_14default_configENS1_21merge_config_selectorINS0_5tupleIJddEEENS0_10empty_typeEEEZNS1_10merge_implIS3_NS0_12zip_iteratorINS5_IJN6thrust23THRUST_200600_302600_NS6detail15normal_iteratorINSC_10device_ptrIKdEEEESI_EEEEESK_NSA_INS5_IJNSC_16discard_iteratorINSC_11use_defaultEEESN_EEEEEPS7_SQ_SQ_NSC_11hip_rocprim7__merge17predicate_wrapperIddNSC_4lessIdEEEEEE10hipError_tPvRmT0_T1_T2_T3_T4_T5_mmT6_P12ihipStream_tbEUlT_E0_NS1_11comp_targetILNS1_3genE3ELNS1_11target_archE908ELNS1_3gpuE7ELNS1_3repE0EEENS1_30default_config_static_selectorELNS0_4arch9wavefront6targetE0EEEvS11_.has_recursion, 0
	.set _ZN7rocprim17ROCPRIM_400000_NS6detail17trampoline_kernelINS0_14default_configENS1_21merge_config_selectorINS0_5tupleIJddEEENS0_10empty_typeEEEZNS1_10merge_implIS3_NS0_12zip_iteratorINS5_IJN6thrust23THRUST_200600_302600_NS6detail15normal_iteratorINSC_10device_ptrIKdEEEESI_EEEEESK_NSA_INS5_IJNSC_16discard_iteratorINSC_11use_defaultEEESN_EEEEEPS7_SQ_SQ_NSC_11hip_rocprim7__merge17predicate_wrapperIddNSC_4lessIdEEEEEE10hipError_tPvRmT0_T1_T2_T3_T4_T5_mmT6_P12ihipStream_tbEUlT_E0_NS1_11comp_targetILNS1_3genE3ELNS1_11target_archE908ELNS1_3gpuE7ELNS1_3repE0EEENS1_30default_config_static_selectorELNS0_4arch9wavefront6targetE0EEEvS11_.has_indirect_call, 0
	.section	.AMDGPU.csdata,"",@progbits
; Kernel info:
; codeLenInByte = 0
; TotalNumSgprs: 0
; NumVgprs: 0
; ScratchSize: 0
; MemoryBound: 0
; FloatMode: 240
; IeeeMode: 1
; LDSByteSize: 0 bytes/workgroup (compile time only)
; SGPRBlocks: 0
; VGPRBlocks: 0
; NumSGPRsForWavesPerEU: 1
; NumVGPRsForWavesPerEU: 1
; Occupancy: 16
; WaveLimiterHint : 0
; COMPUTE_PGM_RSRC2:SCRATCH_EN: 0
; COMPUTE_PGM_RSRC2:USER_SGPR: 6
; COMPUTE_PGM_RSRC2:TRAP_HANDLER: 0
; COMPUTE_PGM_RSRC2:TGID_X_EN: 1
; COMPUTE_PGM_RSRC2:TGID_Y_EN: 0
; COMPUTE_PGM_RSRC2:TGID_Z_EN: 0
; COMPUTE_PGM_RSRC2:TIDIG_COMP_CNT: 0
	.section	.text._ZN7rocprim17ROCPRIM_400000_NS6detail17trampoline_kernelINS0_14default_configENS1_21merge_config_selectorINS0_5tupleIJddEEENS0_10empty_typeEEEZNS1_10merge_implIS3_NS0_12zip_iteratorINS5_IJN6thrust23THRUST_200600_302600_NS6detail15normal_iteratorINSC_10device_ptrIKdEEEESI_EEEEESK_NSA_INS5_IJNSC_16discard_iteratorINSC_11use_defaultEEESN_EEEEEPS7_SQ_SQ_NSC_11hip_rocprim7__merge17predicate_wrapperIddNSC_4lessIdEEEEEE10hipError_tPvRmT0_T1_T2_T3_T4_T5_mmT6_P12ihipStream_tbEUlT_E0_NS1_11comp_targetILNS1_3genE2ELNS1_11target_archE906ELNS1_3gpuE6ELNS1_3repE0EEENS1_30default_config_static_selectorELNS0_4arch9wavefront6targetE0EEEvS11_,"axG",@progbits,_ZN7rocprim17ROCPRIM_400000_NS6detail17trampoline_kernelINS0_14default_configENS1_21merge_config_selectorINS0_5tupleIJddEEENS0_10empty_typeEEEZNS1_10merge_implIS3_NS0_12zip_iteratorINS5_IJN6thrust23THRUST_200600_302600_NS6detail15normal_iteratorINSC_10device_ptrIKdEEEESI_EEEEESK_NSA_INS5_IJNSC_16discard_iteratorINSC_11use_defaultEEESN_EEEEEPS7_SQ_SQ_NSC_11hip_rocprim7__merge17predicate_wrapperIddNSC_4lessIdEEEEEE10hipError_tPvRmT0_T1_T2_T3_T4_T5_mmT6_P12ihipStream_tbEUlT_E0_NS1_11comp_targetILNS1_3genE2ELNS1_11target_archE906ELNS1_3gpuE6ELNS1_3repE0EEENS1_30default_config_static_selectorELNS0_4arch9wavefront6targetE0EEEvS11_,comdat
	.protected	_ZN7rocprim17ROCPRIM_400000_NS6detail17trampoline_kernelINS0_14default_configENS1_21merge_config_selectorINS0_5tupleIJddEEENS0_10empty_typeEEEZNS1_10merge_implIS3_NS0_12zip_iteratorINS5_IJN6thrust23THRUST_200600_302600_NS6detail15normal_iteratorINSC_10device_ptrIKdEEEESI_EEEEESK_NSA_INS5_IJNSC_16discard_iteratorINSC_11use_defaultEEESN_EEEEEPS7_SQ_SQ_NSC_11hip_rocprim7__merge17predicate_wrapperIddNSC_4lessIdEEEEEE10hipError_tPvRmT0_T1_T2_T3_T4_T5_mmT6_P12ihipStream_tbEUlT_E0_NS1_11comp_targetILNS1_3genE2ELNS1_11target_archE906ELNS1_3gpuE6ELNS1_3repE0EEENS1_30default_config_static_selectorELNS0_4arch9wavefront6targetE0EEEvS11_ ; -- Begin function _ZN7rocprim17ROCPRIM_400000_NS6detail17trampoline_kernelINS0_14default_configENS1_21merge_config_selectorINS0_5tupleIJddEEENS0_10empty_typeEEEZNS1_10merge_implIS3_NS0_12zip_iteratorINS5_IJN6thrust23THRUST_200600_302600_NS6detail15normal_iteratorINSC_10device_ptrIKdEEEESI_EEEEESK_NSA_INS5_IJNSC_16discard_iteratorINSC_11use_defaultEEESN_EEEEEPS7_SQ_SQ_NSC_11hip_rocprim7__merge17predicate_wrapperIddNSC_4lessIdEEEEEE10hipError_tPvRmT0_T1_T2_T3_T4_T5_mmT6_P12ihipStream_tbEUlT_E0_NS1_11comp_targetILNS1_3genE2ELNS1_11target_archE906ELNS1_3gpuE6ELNS1_3repE0EEENS1_30default_config_static_selectorELNS0_4arch9wavefront6targetE0EEEvS11_
	.globl	_ZN7rocprim17ROCPRIM_400000_NS6detail17trampoline_kernelINS0_14default_configENS1_21merge_config_selectorINS0_5tupleIJddEEENS0_10empty_typeEEEZNS1_10merge_implIS3_NS0_12zip_iteratorINS5_IJN6thrust23THRUST_200600_302600_NS6detail15normal_iteratorINSC_10device_ptrIKdEEEESI_EEEEESK_NSA_INS5_IJNSC_16discard_iteratorINSC_11use_defaultEEESN_EEEEEPS7_SQ_SQ_NSC_11hip_rocprim7__merge17predicate_wrapperIddNSC_4lessIdEEEEEE10hipError_tPvRmT0_T1_T2_T3_T4_T5_mmT6_P12ihipStream_tbEUlT_E0_NS1_11comp_targetILNS1_3genE2ELNS1_11target_archE906ELNS1_3gpuE6ELNS1_3repE0EEENS1_30default_config_static_selectorELNS0_4arch9wavefront6targetE0EEEvS11_
	.p2align	8
	.type	_ZN7rocprim17ROCPRIM_400000_NS6detail17trampoline_kernelINS0_14default_configENS1_21merge_config_selectorINS0_5tupleIJddEEENS0_10empty_typeEEEZNS1_10merge_implIS3_NS0_12zip_iteratorINS5_IJN6thrust23THRUST_200600_302600_NS6detail15normal_iteratorINSC_10device_ptrIKdEEEESI_EEEEESK_NSA_INS5_IJNSC_16discard_iteratorINSC_11use_defaultEEESN_EEEEEPS7_SQ_SQ_NSC_11hip_rocprim7__merge17predicate_wrapperIddNSC_4lessIdEEEEEE10hipError_tPvRmT0_T1_T2_T3_T4_T5_mmT6_P12ihipStream_tbEUlT_E0_NS1_11comp_targetILNS1_3genE2ELNS1_11target_archE906ELNS1_3gpuE6ELNS1_3repE0EEENS1_30default_config_static_selectorELNS0_4arch9wavefront6targetE0EEEvS11_,@function
_ZN7rocprim17ROCPRIM_400000_NS6detail17trampoline_kernelINS0_14default_configENS1_21merge_config_selectorINS0_5tupleIJddEEENS0_10empty_typeEEEZNS1_10merge_implIS3_NS0_12zip_iteratorINS5_IJN6thrust23THRUST_200600_302600_NS6detail15normal_iteratorINSC_10device_ptrIKdEEEESI_EEEEESK_NSA_INS5_IJNSC_16discard_iteratorINSC_11use_defaultEEESN_EEEEEPS7_SQ_SQ_NSC_11hip_rocprim7__merge17predicate_wrapperIddNSC_4lessIdEEEEEE10hipError_tPvRmT0_T1_T2_T3_T4_T5_mmT6_P12ihipStream_tbEUlT_E0_NS1_11comp_targetILNS1_3genE2ELNS1_11target_archE906ELNS1_3gpuE6ELNS1_3repE0EEENS1_30default_config_static_selectorELNS0_4arch9wavefront6targetE0EEEvS11_: ; @_ZN7rocprim17ROCPRIM_400000_NS6detail17trampoline_kernelINS0_14default_configENS1_21merge_config_selectorINS0_5tupleIJddEEENS0_10empty_typeEEEZNS1_10merge_implIS3_NS0_12zip_iteratorINS5_IJN6thrust23THRUST_200600_302600_NS6detail15normal_iteratorINSC_10device_ptrIKdEEEESI_EEEEESK_NSA_INS5_IJNSC_16discard_iteratorINSC_11use_defaultEEESN_EEEEEPS7_SQ_SQ_NSC_11hip_rocprim7__merge17predicate_wrapperIddNSC_4lessIdEEEEEE10hipError_tPvRmT0_T1_T2_T3_T4_T5_mmT6_P12ihipStream_tbEUlT_E0_NS1_11comp_targetILNS1_3genE2ELNS1_11target_archE906ELNS1_3gpuE6ELNS1_3repE0EEENS1_30default_config_static_selectorELNS0_4arch9wavefront6targetE0EEEvS11_
; %bb.0:
	.section	.rodata,"a",@progbits
	.p2align	6, 0x0
	.amdhsa_kernel _ZN7rocprim17ROCPRIM_400000_NS6detail17trampoline_kernelINS0_14default_configENS1_21merge_config_selectorINS0_5tupleIJddEEENS0_10empty_typeEEEZNS1_10merge_implIS3_NS0_12zip_iteratorINS5_IJN6thrust23THRUST_200600_302600_NS6detail15normal_iteratorINSC_10device_ptrIKdEEEESI_EEEEESK_NSA_INS5_IJNSC_16discard_iteratorINSC_11use_defaultEEESN_EEEEEPS7_SQ_SQ_NSC_11hip_rocprim7__merge17predicate_wrapperIddNSC_4lessIdEEEEEE10hipError_tPvRmT0_T1_T2_T3_T4_T5_mmT6_P12ihipStream_tbEUlT_E0_NS1_11comp_targetILNS1_3genE2ELNS1_11target_archE906ELNS1_3gpuE6ELNS1_3repE0EEENS1_30default_config_static_selectorELNS0_4arch9wavefront6targetE0EEEvS11_
		.amdhsa_group_segment_fixed_size 0
		.amdhsa_private_segment_fixed_size 0
		.amdhsa_kernarg_size 128
		.amdhsa_user_sgpr_count 6
		.amdhsa_user_sgpr_private_segment_buffer 1
		.amdhsa_user_sgpr_dispatch_ptr 0
		.amdhsa_user_sgpr_queue_ptr 0
		.amdhsa_user_sgpr_kernarg_segment_ptr 1
		.amdhsa_user_sgpr_dispatch_id 0
		.amdhsa_user_sgpr_flat_scratch_init 0
		.amdhsa_user_sgpr_private_segment_size 0
		.amdhsa_wavefront_size32 1
		.amdhsa_uses_dynamic_stack 0
		.amdhsa_system_sgpr_private_segment_wavefront_offset 0
		.amdhsa_system_sgpr_workgroup_id_x 1
		.amdhsa_system_sgpr_workgroup_id_y 0
		.amdhsa_system_sgpr_workgroup_id_z 0
		.amdhsa_system_sgpr_workgroup_info 0
		.amdhsa_system_vgpr_workitem_id 0
		.amdhsa_next_free_vgpr 1
		.amdhsa_next_free_sgpr 1
		.amdhsa_reserve_vcc 0
		.amdhsa_reserve_flat_scratch 0
		.amdhsa_float_round_mode_32 0
		.amdhsa_float_round_mode_16_64 0
		.amdhsa_float_denorm_mode_32 3
		.amdhsa_float_denorm_mode_16_64 3
		.amdhsa_dx10_clamp 1
		.amdhsa_ieee_mode 1
		.amdhsa_fp16_overflow 0
		.amdhsa_workgroup_processor_mode 1
		.amdhsa_memory_ordered 1
		.amdhsa_forward_progress 1
		.amdhsa_shared_vgpr_count 0
		.amdhsa_exception_fp_ieee_invalid_op 0
		.amdhsa_exception_fp_denorm_src 0
		.amdhsa_exception_fp_ieee_div_zero 0
		.amdhsa_exception_fp_ieee_overflow 0
		.amdhsa_exception_fp_ieee_underflow 0
		.amdhsa_exception_fp_ieee_inexact 0
		.amdhsa_exception_int_div_zero 0
	.end_amdhsa_kernel
	.section	.text._ZN7rocprim17ROCPRIM_400000_NS6detail17trampoline_kernelINS0_14default_configENS1_21merge_config_selectorINS0_5tupleIJddEEENS0_10empty_typeEEEZNS1_10merge_implIS3_NS0_12zip_iteratorINS5_IJN6thrust23THRUST_200600_302600_NS6detail15normal_iteratorINSC_10device_ptrIKdEEEESI_EEEEESK_NSA_INS5_IJNSC_16discard_iteratorINSC_11use_defaultEEESN_EEEEEPS7_SQ_SQ_NSC_11hip_rocprim7__merge17predicate_wrapperIddNSC_4lessIdEEEEEE10hipError_tPvRmT0_T1_T2_T3_T4_T5_mmT6_P12ihipStream_tbEUlT_E0_NS1_11comp_targetILNS1_3genE2ELNS1_11target_archE906ELNS1_3gpuE6ELNS1_3repE0EEENS1_30default_config_static_selectorELNS0_4arch9wavefront6targetE0EEEvS11_,"axG",@progbits,_ZN7rocprim17ROCPRIM_400000_NS6detail17trampoline_kernelINS0_14default_configENS1_21merge_config_selectorINS0_5tupleIJddEEENS0_10empty_typeEEEZNS1_10merge_implIS3_NS0_12zip_iteratorINS5_IJN6thrust23THRUST_200600_302600_NS6detail15normal_iteratorINSC_10device_ptrIKdEEEESI_EEEEESK_NSA_INS5_IJNSC_16discard_iteratorINSC_11use_defaultEEESN_EEEEEPS7_SQ_SQ_NSC_11hip_rocprim7__merge17predicate_wrapperIddNSC_4lessIdEEEEEE10hipError_tPvRmT0_T1_T2_T3_T4_T5_mmT6_P12ihipStream_tbEUlT_E0_NS1_11comp_targetILNS1_3genE2ELNS1_11target_archE906ELNS1_3gpuE6ELNS1_3repE0EEENS1_30default_config_static_selectorELNS0_4arch9wavefront6targetE0EEEvS11_,comdat
.Lfunc_end492:
	.size	_ZN7rocprim17ROCPRIM_400000_NS6detail17trampoline_kernelINS0_14default_configENS1_21merge_config_selectorINS0_5tupleIJddEEENS0_10empty_typeEEEZNS1_10merge_implIS3_NS0_12zip_iteratorINS5_IJN6thrust23THRUST_200600_302600_NS6detail15normal_iteratorINSC_10device_ptrIKdEEEESI_EEEEESK_NSA_INS5_IJNSC_16discard_iteratorINSC_11use_defaultEEESN_EEEEEPS7_SQ_SQ_NSC_11hip_rocprim7__merge17predicate_wrapperIddNSC_4lessIdEEEEEE10hipError_tPvRmT0_T1_T2_T3_T4_T5_mmT6_P12ihipStream_tbEUlT_E0_NS1_11comp_targetILNS1_3genE2ELNS1_11target_archE906ELNS1_3gpuE6ELNS1_3repE0EEENS1_30default_config_static_selectorELNS0_4arch9wavefront6targetE0EEEvS11_, .Lfunc_end492-_ZN7rocprim17ROCPRIM_400000_NS6detail17trampoline_kernelINS0_14default_configENS1_21merge_config_selectorINS0_5tupleIJddEEENS0_10empty_typeEEEZNS1_10merge_implIS3_NS0_12zip_iteratorINS5_IJN6thrust23THRUST_200600_302600_NS6detail15normal_iteratorINSC_10device_ptrIKdEEEESI_EEEEESK_NSA_INS5_IJNSC_16discard_iteratorINSC_11use_defaultEEESN_EEEEEPS7_SQ_SQ_NSC_11hip_rocprim7__merge17predicate_wrapperIddNSC_4lessIdEEEEEE10hipError_tPvRmT0_T1_T2_T3_T4_T5_mmT6_P12ihipStream_tbEUlT_E0_NS1_11comp_targetILNS1_3genE2ELNS1_11target_archE906ELNS1_3gpuE6ELNS1_3repE0EEENS1_30default_config_static_selectorELNS0_4arch9wavefront6targetE0EEEvS11_
                                        ; -- End function
	.set _ZN7rocprim17ROCPRIM_400000_NS6detail17trampoline_kernelINS0_14default_configENS1_21merge_config_selectorINS0_5tupleIJddEEENS0_10empty_typeEEEZNS1_10merge_implIS3_NS0_12zip_iteratorINS5_IJN6thrust23THRUST_200600_302600_NS6detail15normal_iteratorINSC_10device_ptrIKdEEEESI_EEEEESK_NSA_INS5_IJNSC_16discard_iteratorINSC_11use_defaultEEESN_EEEEEPS7_SQ_SQ_NSC_11hip_rocprim7__merge17predicate_wrapperIddNSC_4lessIdEEEEEE10hipError_tPvRmT0_T1_T2_T3_T4_T5_mmT6_P12ihipStream_tbEUlT_E0_NS1_11comp_targetILNS1_3genE2ELNS1_11target_archE906ELNS1_3gpuE6ELNS1_3repE0EEENS1_30default_config_static_selectorELNS0_4arch9wavefront6targetE0EEEvS11_.num_vgpr, 0
	.set _ZN7rocprim17ROCPRIM_400000_NS6detail17trampoline_kernelINS0_14default_configENS1_21merge_config_selectorINS0_5tupleIJddEEENS0_10empty_typeEEEZNS1_10merge_implIS3_NS0_12zip_iteratorINS5_IJN6thrust23THRUST_200600_302600_NS6detail15normal_iteratorINSC_10device_ptrIKdEEEESI_EEEEESK_NSA_INS5_IJNSC_16discard_iteratorINSC_11use_defaultEEESN_EEEEEPS7_SQ_SQ_NSC_11hip_rocprim7__merge17predicate_wrapperIddNSC_4lessIdEEEEEE10hipError_tPvRmT0_T1_T2_T3_T4_T5_mmT6_P12ihipStream_tbEUlT_E0_NS1_11comp_targetILNS1_3genE2ELNS1_11target_archE906ELNS1_3gpuE6ELNS1_3repE0EEENS1_30default_config_static_selectorELNS0_4arch9wavefront6targetE0EEEvS11_.num_agpr, 0
	.set _ZN7rocprim17ROCPRIM_400000_NS6detail17trampoline_kernelINS0_14default_configENS1_21merge_config_selectorINS0_5tupleIJddEEENS0_10empty_typeEEEZNS1_10merge_implIS3_NS0_12zip_iteratorINS5_IJN6thrust23THRUST_200600_302600_NS6detail15normal_iteratorINSC_10device_ptrIKdEEEESI_EEEEESK_NSA_INS5_IJNSC_16discard_iteratorINSC_11use_defaultEEESN_EEEEEPS7_SQ_SQ_NSC_11hip_rocprim7__merge17predicate_wrapperIddNSC_4lessIdEEEEEE10hipError_tPvRmT0_T1_T2_T3_T4_T5_mmT6_P12ihipStream_tbEUlT_E0_NS1_11comp_targetILNS1_3genE2ELNS1_11target_archE906ELNS1_3gpuE6ELNS1_3repE0EEENS1_30default_config_static_selectorELNS0_4arch9wavefront6targetE0EEEvS11_.numbered_sgpr, 0
	.set _ZN7rocprim17ROCPRIM_400000_NS6detail17trampoline_kernelINS0_14default_configENS1_21merge_config_selectorINS0_5tupleIJddEEENS0_10empty_typeEEEZNS1_10merge_implIS3_NS0_12zip_iteratorINS5_IJN6thrust23THRUST_200600_302600_NS6detail15normal_iteratorINSC_10device_ptrIKdEEEESI_EEEEESK_NSA_INS5_IJNSC_16discard_iteratorINSC_11use_defaultEEESN_EEEEEPS7_SQ_SQ_NSC_11hip_rocprim7__merge17predicate_wrapperIddNSC_4lessIdEEEEEE10hipError_tPvRmT0_T1_T2_T3_T4_T5_mmT6_P12ihipStream_tbEUlT_E0_NS1_11comp_targetILNS1_3genE2ELNS1_11target_archE906ELNS1_3gpuE6ELNS1_3repE0EEENS1_30default_config_static_selectorELNS0_4arch9wavefront6targetE0EEEvS11_.num_named_barrier, 0
	.set _ZN7rocprim17ROCPRIM_400000_NS6detail17trampoline_kernelINS0_14default_configENS1_21merge_config_selectorINS0_5tupleIJddEEENS0_10empty_typeEEEZNS1_10merge_implIS3_NS0_12zip_iteratorINS5_IJN6thrust23THRUST_200600_302600_NS6detail15normal_iteratorINSC_10device_ptrIKdEEEESI_EEEEESK_NSA_INS5_IJNSC_16discard_iteratorINSC_11use_defaultEEESN_EEEEEPS7_SQ_SQ_NSC_11hip_rocprim7__merge17predicate_wrapperIddNSC_4lessIdEEEEEE10hipError_tPvRmT0_T1_T2_T3_T4_T5_mmT6_P12ihipStream_tbEUlT_E0_NS1_11comp_targetILNS1_3genE2ELNS1_11target_archE906ELNS1_3gpuE6ELNS1_3repE0EEENS1_30default_config_static_selectorELNS0_4arch9wavefront6targetE0EEEvS11_.private_seg_size, 0
	.set _ZN7rocprim17ROCPRIM_400000_NS6detail17trampoline_kernelINS0_14default_configENS1_21merge_config_selectorINS0_5tupleIJddEEENS0_10empty_typeEEEZNS1_10merge_implIS3_NS0_12zip_iteratorINS5_IJN6thrust23THRUST_200600_302600_NS6detail15normal_iteratorINSC_10device_ptrIKdEEEESI_EEEEESK_NSA_INS5_IJNSC_16discard_iteratorINSC_11use_defaultEEESN_EEEEEPS7_SQ_SQ_NSC_11hip_rocprim7__merge17predicate_wrapperIddNSC_4lessIdEEEEEE10hipError_tPvRmT0_T1_T2_T3_T4_T5_mmT6_P12ihipStream_tbEUlT_E0_NS1_11comp_targetILNS1_3genE2ELNS1_11target_archE906ELNS1_3gpuE6ELNS1_3repE0EEENS1_30default_config_static_selectorELNS0_4arch9wavefront6targetE0EEEvS11_.uses_vcc, 0
	.set _ZN7rocprim17ROCPRIM_400000_NS6detail17trampoline_kernelINS0_14default_configENS1_21merge_config_selectorINS0_5tupleIJddEEENS0_10empty_typeEEEZNS1_10merge_implIS3_NS0_12zip_iteratorINS5_IJN6thrust23THRUST_200600_302600_NS6detail15normal_iteratorINSC_10device_ptrIKdEEEESI_EEEEESK_NSA_INS5_IJNSC_16discard_iteratorINSC_11use_defaultEEESN_EEEEEPS7_SQ_SQ_NSC_11hip_rocprim7__merge17predicate_wrapperIddNSC_4lessIdEEEEEE10hipError_tPvRmT0_T1_T2_T3_T4_T5_mmT6_P12ihipStream_tbEUlT_E0_NS1_11comp_targetILNS1_3genE2ELNS1_11target_archE906ELNS1_3gpuE6ELNS1_3repE0EEENS1_30default_config_static_selectorELNS0_4arch9wavefront6targetE0EEEvS11_.uses_flat_scratch, 0
	.set _ZN7rocprim17ROCPRIM_400000_NS6detail17trampoline_kernelINS0_14default_configENS1_21merge_config_selectorINS0_5tupleIJddEEENS0_10empty_typeEEEZNS1_10merge_implIS3_NS0_12zip_iteratorINS5_IJN6thrust23THRUST_200600_302600_NS6detail15normal_iteratorINSC_10device_ptrIKdEEEESI_EEEEESK_NSA_INS5_IJNSC_16discard_iteratorINSC_11use_defaultEEESN_EEEEEPS7_SQ_SQ_NSC_11hip_rocprim7__merge17predicate_wrapperIddNSC_4lessIdEEEEEE10hipError_tPvRmT0_T1_T2_T3_T4_T5_mmT6_P12ihipStream_tbEUlT_E0_NS1_11comp_targetILNS1_3genE2ELNS1_11target_archE906ELNS1_3gpuE6ELNS1_3repE0EEENS1_30default_config_static_selectorELNS0_4arch9wavefront6targetE0EEEvS11_.has_dyn_sized_stack, 0
	.set _ZN7rocprim17ROCPRIM_400000_NS6detail17trampoline_kernelINS0_14default_configENS1_21merge_config_selectorINS0_5tupleIJddEEENS0_10empty_typeEEEZNS1_10merge_implIS3_NS0_12zip_iteratorINS5_IJN6thrust23THRUST_200600_302600_NS6detail15normal_iteratorINSC_10device_ptrIKdEEEESI_EEEEESK_NSA_INS5_IJNSC_16discard_iteratorINSC_11use_defaultEEESN_EEEEEPS7_SQ_SQ_NSC_11hip_rocprim7__merge17predicate_wrapperIddNSC_4lessIdEEEEEE10hipError_tPvRmT0_T1_T2_T3_T4_T5_mmT6_P12ihipStream_tbEUlT_E0_NS1_11comp_targetILNS1_3genE2ELNS1_11target_archE906ELNS1_3gpuE6ELNS1_3repE0EEENS1_30default_config_static_selectorELNS0_4arch9wavefront6targetE0EEEvS11_.has_recursion, 0
	.set _ZN7rocprim17ROCPRIM_400000_NS6detail17trampoline_kernelINS0_14default_configENS1_21merge_config_selectorINS0_5tupleIJddEEENS0_10empty_typeEEEZNS1_10merge_implIS3_NS0_12zip_iteratorINS5_IJN6thrust23THRUST_200600_302600_NS6detail15normal_iteratorINSC_10device_ptrIKdEEEESI_EEEEESK_NSA_INS5_IJNSC_16discard_iteratorINSC_11use_defaultEEESN_EEEEEPS7_SQ_SQ_NSC_11hip_rocprim7__merge17predicate_wrapperIddNSC_4lessIdEEEEEE10hipError_tPvRmT0_T1_T2_T3_T4_T5_mmT6_P12ihipStream_tbEUlT_E0_NS1_11comp_targetILNS1_3genE2ELNS1_11target_archE906ELNS1_3gpuE6ELNS1_3repE0EEENS1_30default_config_static_selectorELNS0_4arch9wavefront6targetE0EEEvS11_.has_indirect_call, 0
	.section	.AMDGPU.csdata,"",@progbits
; Kernel info:
; codeLenInByte = 0
; TotalNumSgprs: 0
; NumVgprs: 0
; ScratchSize: 0
; MemoryBound: 0
; FloatMode: 240
; IeeeMode: 1
; LDSByteSize: 0 bytes/workgroup (compile time only)
; SGPRBlocks: 0
; VGPRBlocks: 0
; NumSGPRsForWavesPerEU: 1
; NumVGPRsForWavesPerEU: 1
; Occupancy: 16
; WaveLimiterHint : 0
; COMPUTE_PGM_RSRC2:SCRATCH_EN: 0
; COMPUTE_PGM_RSRC2:USER_SGPR: 6
; COMPUTE_PGM_RSRC2:TRAP_HANDLER: 0
; COMPUTE_PGM_RSRC2:TGID_X_EN: 1
; COMPUTE_PGM_RSRC2:TGID_Y_EN: 0
; COMPUTE_PGM_RSRC2:TGID_Z_EN: 0
; COMPUTE_PGM_RSRC2:TIDIG_COMP_CNT: 0
	.section	.text._ZN7rocprim17ROCPRIM_400000_NS6detail17trampoline_kernelINS0_14default_configENS1_21merge_config_selectorINS0_5tupleIJddEEENS0_10empty_typeEEEZNS1_10merge_implIS3_NS0_12zip_iteratorINS5_IJN6thrust23THRUST_200600_302600_NS6detail15normal_iteratorINSC_10device_ptrIKdEEEESI_EEEEESK_NSA_INS5_IJNSC_16discard_iteratorINSC_11use_defaultEEESN_EEEEEPS7_SQ_SQ_NSC_11hip_rocprim7__merge17predicate_wrapperIddNSC_4lessIdEEEEEE10hipError_tPvRmT0_T1_T2_T3_T4_T5_mmT6_P12ihipStream_tbEUlT_E0_NS1_11comp_targetILNS1_3genE10ELNS1_11target_archE1201ELNS1_3gpuE5ELNS1_3repE0EEENS1_30default_config_static_selectorELNS0_4arch9wavefront6targetE0EEEvS11_,"axG",@progbits,_ZN7rocprim17ROCPRIM_400000_NS6detail17trampoline_kernelINS0_14default_configENS1_21merge_config_selectorINS0_5tupleIJddEEENS0_10empty_typeEEEZNS1_10merge_implIS3_NS0_12zip_iteratorINS5_IJN6thrust23THRUST_200600_302600_NS6detail15normal_iteratorINSC_10device_ptrIKdEEEESI_EEEEESK_NSA_INS5_IJNSC_16discard_iteratorINSC_11use_defaultEEESN_EEEEEPS7_SQ_SQ_NSC_11hip_rocprim7__merge17predicate_wrapperIddNSC_4lessIdEEEEEE10hipError_tPvRmT0_T1_T2_T3_T4_T5_mmT6_P12ihipStream_tbEUlT_E0_NS1_11comp_targetILNS1_3genE10ELNS1_11target_archE1201ELNS1_3gpuE5ELNS1_3repE0EEENS1_30default_config_static_selectorELNS0_4arch9wavefront6targetE0EEEvS11_,comdat
	.protected	_ZN7rocprim17ROCPRIM_400000_NS6detail17trampoline_kernelINS0_14default_configENS1_21merge_config_selectorINS0_5tupleIJddEEENS0_10empty_typeEEEZNS1_10merge_implIS3_NS0_12zip_iteratorINS5_IJN6thrust23THRUST_200600_302600_NS6detail15normal_iteratorINSC_10device_ptrIKdEEEESI_EEEEESK_NSA_INS5_IJNSC_16discard_iteratorINSC_11use_defaultEEESN_EEEEEPS7_SQ_SQ_NSC_11hip_rocprim7__merge17predicate_wrapperIddNSC_4lessIdEEEEEE10hipError_tPvRmT0_T1_T2_T3_T4_T5_mmT6_P12ihipStream_tbEUlT_E0_NS1_11comp_targetILNS1_3genE10ELNS1_11target_archE1201ELNS1_3gpuE5ELNS1_3repE0EEENS1_30default_config_static_selectorELNS0_4arch9wavefront6targetE0EEEvS11_ ; -- Begin function _ZN7rocprim17ROCPRIM_400000_NS6detail17trampoline_kernelINS0_14default_configENS1_21merge_config_selectorINS0_5tupleIJddEEENS0_10empty_typeEEEZNS1_10merge_implIS3_NS0_12zip_iteratorINS5_IJN6thrust23THRUST_200600_302600_NS6detail15normal_iteratorINSC_10device_ptrIKdEEEESI_EEEEESK_NSA_INS5_IJNSC_16discard_iteratorINSC_11use_defaultEEESN_EEEEEPS7_SQ_SQ_NSC_11hip_rocprim7__merge17predicate_wrapperIddNSC_4lessIdEEEEEE10hipError_tPvRmT0_T1_T2_T3_T4_T5_mmT6_P12ihipStream_tbEUlT_E0_NS1_11comp_targetILNS1_3genE10ELNS1_11target_archE1201ELNS1_3gpuE5ELNS1_3repE0EEENS1_30default_config_static_selectorELNS0_4arch9wavefront6targetE0EEEvS11_
	.globl	_ZN7rocprim17ROCPRIM_400000_NS6detail17trampoline_kernelINS0_14default_configENS1_21merge_config_selectorINS0_5tupleIJddEEENS0_10empty_typeEEEZNS1_10merge_implIS3_NS0_12zip_iteratorINS5_IJN6thrust23THRUST_200600_302600_NS6detail15normal_iteratorINSC_10device_ptrIKdEEEESI_EEEEESK_NSA_INS5_IJNSC_16discard_iteratorINSC_11use_defaultEEESN_EEEEEPS7_SQ_SQ_NSC_11hip_rocprim7__merge17predicate_wrapperIddNSC_4lessIdEEEEEE10hipError_tPvRmT0_T1_T2_T3_T4_T5_mmT6_P12ihipStream_tbEUlT_E0_NS1_11comp_targetILNS1_3genE10ELNS1_11target_archE1201ELNS1_3gpuE5ELNS1_3repE0EEENS1_30default_config_static_selectorELNS0_4arch9wavefront6targetE0EEEvS11_
	.p2align	8
	.type	_ZN7rocprim17ROCPRIM_400000_NS6detail17trampoline_kernelINS0_14default_configENS1_21merge_config_selectorINS0_5tupleIJddEEENS0_10empty_typeEEEZNS1_10merge_implIS3_NS0_12zip_iteratorINS5_IJN6thrust23THRUST_200600_302600_NS6detail15normal_iteratorINSC_10device_ptrIKdEEEESI_EEEEESK_NSA_INS5_IJNSC_16discard_iteratorINSC_11use_defaultEEESN_EEEEEPS7_SQ_SQ_NSC_11hip_rocprim7__merge17predicate_wrapperIddNSC_4lessIdEEEEEE10hipError_tPvRmT0_T1_T2_T3_T4_T5_mmT6_P12ihipStream_tbEUlT_E0_NS1_11comp_targetILNS1_3genE10ELNS1_11target_archE1201ELNS1_3gpuE5ELNS1_3repE0EEENS1_30default_config_static_selectorELNS0_4arch9wavefront6targetE0EEEvS11_,@function
_ZN7rocprim17ROCPRIM_400000_NS6detail17trampoline_kernelINS0_14default_configENS1_21merge_config_selectorINS0_5tupleIJddEEENS0_10empty_typeEEEZNS1_10merge_implIS3_NS0_12zip_iteratorINS5_IJN6thrust23THRUST_200600_302600_NS6detail15normal_iteratorINSC_10device_ptrIKdEEEESI_EEEEESK_NSA_INS5_IJNSC_16discard_iteratorINSC_11use_defaultEEESN_EEEEEPS7_SQ_SQ_NSC_11hip_rocprim7__merge17predicate_wrapperIddNSC_4lessIdEEEEEE10hipError_tPvRmT0_T1_T2_T3_T4_T5_mmT6_P12ihipStream_tbEUlT_E0_NS1_11comp_targetILNS1_3genE10ELNS1_11target_archE1201ELNS1_3gpuE5ELNS1_3repE0EEENS1_30default_config_static_selectorELNS0_4arch9wavefront6targetE0EEEvS11_: ; @_ZN7rocprim17ROCPRIM_400000_NS6detail17trampoline_kernelINS0_14default_configENS1_21merge_config_selectorINS0_5tupleIJddEEENS0_10empty_typeEEEZNS1_10merge_implIS3_NS0_12zip_iteratorINS5_IJN6thrust23THRUST_200600_302600_NS6detail15normal_iteratorINSC_10device_ptrIKdEEEESI_EEEEESK_NSA_INS5_IJNSC_16discard_iteratorINSC_11use_defaultEEESN_EEEEEPS7_SQ_SQ_NSC_11hip_rocprim7__merge17predicate_wrapperIddNSC_4lessIdEEEEEE10hipError_tPvRmT0_T1_T2_T3_T4_T5_mmT6_P12ihipStream_tbEUlT_E0_NS1_11comp_targetILNS1_3genE10ELNS1_11target_archE1201ELNS1_3gpuE5ELNS1_3repE0EEENS1_30default_config_static_selectorELNS0_4arch9wavefront6targetE0EEEvS11_
; %bb.0:
	.section	.rodata,"a",@progbits
	.p2align	6, 0x0
	.amdhsa_kernel _ZN7rocprim17ROCPRIM_400000_NS6detail17trampoline_kernelINS0_14default_configENS1_21merge_config_selectorINS0_5tupleIJddEEENS0_10empty_typeEEEZNS1_10merge_implIS3_NS0_12zip_iteratorINS5_IJN6thrust23THRUST_200600_302600_NS6detail15normal_iteratorINSC_10device_ptrIKdEEEESI_EEEEESK_NSA_INS5_IJNSC_16discard_iteratorINSC_11use_defaultEEESN_EEEEEPS7_SQ_SQ_NSC_11hip_rocprim7__merge17predicate_wrapperIddNSC_4lessIdEEEEEE10hipError_tPvRmT0_T1_T2_T3_T4_T5_mmT6_P12ihipStream_tbEUlT_E0_NS1_11comp_targetILNS1_3genE10ELNS1_11target_archE1201ELNS1_3gpuE5ELNS1_3repE0EEENS1_30default_config_static_selectorELNS0_4arch9wavefront6targetE0EEEvS11_
		.amdhsa_group_segment_fixed_size 0
		.amdhsa_private_segment_fixed_size 0
		.amdhsa_kernarg_size 128
		.amdhsa_user_sgpr_count 6
		.amdhsa_user_sgpr_private_segment_buffer 1
		.amdhsa_user_sgpr_dispatch_ptr 0
		.amdhsa_user_sgpr_queue_ptr 0
		.amdhsa_user_sgpr_kernarg_segment_ptr 1
		.amdhsa_user_sgpr_dispatch_id 0
		.amdhsa_user_sgpr_flat_scratch_init 0
		.amdhsa_user_sgpr_private_segment_size 0
		.amdhsa_wavefront_size32 1
		.amdhsa_uses_dynamic_stack 0
		.amdhsa_system_sgpr_private_segment_wavefront_offset 0
		.amdhsa_system_sgpr_workgroup_id_x 1
		.amdhsa_system_sgpr_workgroup_id_y 0
		.amdhsa_system_sgpr_workgroup_id_z 0
		.amdhsa_system_sgpr_workgroup_info 0
		.amdhsa_system_vgpr_workitem_id 0
		.amdhsa_next_free_vgpr 1
		.amdhsa_next_free_sgpr 1
		.amdhsa_reserve_vcc 0
		.amdhsa_reserve_flat_scratch 0
		.amdhsa_float_round_mode_32 0
		.amdhsa_float_round_mode_16_64 0
		.amdhsa_float_denorm_mode_32 3
		.amdhsa_float_denorm_mode_16_64 3
		.amdhsa_dx10_clamp 1
		.amdhsa_ieee_mode 1
		.amdhsa_fp16_overflow 0
		.amdhsa_workgroup_processor_mode 1
		.amdhsa_memory_ordered 1
		.amdhsa_forward_progress 1
		.amdhsa_shared_vgpr_count 0
		.amdhsa_exception_fp_ieee_invalid_op 0
		.amdhsa_exception_fp_denorm_src 0
		.amdhsa_exception_fp_ieee_div_zero 0
		.amdhsa_exception_fp_ieee_overflow 0
		.amdhsa_exception_fp_ieee_underflow 0
		.amdhsa_exception_fp_ieee_inexact 0
		.amdhsa_exception_int_div_zero 0
	.end_amdhsa_kernel
	.section	.text._ZN7rocprim17ROCPRIM_400000_NS6detail17trampoline_kernelINS0_14default_configENS1_21merge_config_selectorINS0_5tupleIJddEEENS0_10empty_typeEEEZNS1_10merge_implIS3_NS0_12zip_iteratorINS5_IJN6thrust23THRUST_200600_302600_NS6detail15normal_iteratorINSC_10device_ptrIKdEEEESI_EEEEESK_NSA_INS5_IJNSC_16discard_iteratorINSC_11use_defaultEEESN_EEEEEPS7_SQ_SQ_NSC_11hip_rocprim7__merge17predicate_wrapperIddNSC_4lessIdEEEEEE10hipError_tPvRmT0_T1_T2_T3_T4_T5_mmT6_P12ihipStream_tbEUlT_E0_NS1_11comp_targetILNS1_3genE10ELNS1_11target_archE1201ELNS1_3gpuE5ELNS1_3repE0EEENS1_30default_config_static_selectorELNS0_4arch9wavefront6targetE0EEEvS11_,"axG",@progbits,_ZN7rocprim17ROCPRIM_400000_NS6detail17trampoline_kernelINS0_14default_configENS1_21merge_config_selectorINS0_5tupleIJddEEENS0_10empty_typeEEEZNS1_10merge_implIS3_NS0_12zip_iteratorINS5_IJN6thrust23THRUST_200600_302600_NS6detail15normal_iteratorINSC_10device_ptrIKdEEEESI_EEEEESK_NSA_INS5_IJNSC_16discard_iteratorINSC_11use_defaultEEESN_EEEEEPS7_SQ_SQ_NSC_11hip_rocprim7__merge17predicate_wrapperIddNSC_4lessIdEEEEEE10hipError_tPvRmT0_T1_T2_T3_T4_T5_mmT6_P12ihipStream_tbEUlT_E0_NS1_11comp_targetILNS1_3genE10ELNS1_11target_archE1201ELNS1_3gpuE5ELNS1_3repE0EEENS1_30default_config_static_selectorELNS0_4arch9wavefront6targetE0EEEvS11_,comdat
.Lfunc_end493:
	.size	_ZN7rocprim17ROCPRIM_400000_NS6detail17trampoline_kernelINS0_14default_configENS1_21merge_config_selectorINS0_5tupleIJddEEENS0_10empty_typeEEEZNS1_10merge_implIS3_NS0_12zip_iteratorINS5_IJN6thrust23THRUST_200600_302600_NS6detail15normal_iteratorINSC_10device_ptrIKdEEEESI_EEEEESK_NSA_INS5_IJNSC_16discard_iteratorINSC_11use_defaultEEESN_EEEEEPS7_SQ_SQ_NSC_11hip_rocprim7__merge17predicate_wrapperIddNSC_4lessIdEEEEEE10hipError_tPvRmT0_T1_T2_T3_T4_T5_mmT6_P12ihipStream_tbEUlT_E0_NS1_11comp_targetILNS1_3genE10ELNS1_11target_archE1201ELNS1_3gpuE5ELNS1_3repE0EEENS1_30default_config_static_selectorELNS0_4arch9wavefront6targetE0EEEvS11_, .Lfunc_end493-_ZN7rocprim17ROCPRIM_400000_NS6detail17trampoline_kernelINS0_14default_configENS1_21merge_config_selectorINS0_5tupleIJddEEENS0_10empty_typeEEEZNS1_10merge_implIS3_NS0_12zip_iteratorINS5_IJN6thrust23THRUST_200600_302600_NS6detail15normal_iteratorINSC_10device_ptrIKdEEEESI_EEEEESK_NSA_INS5_IJNSC_16discard_iteratorINSC_11use_defaultEEESN_EEEEEPS7_SQ_SQ_NSC_11hip_rocprim7__merge17predicate_wrapperIddNSC_4lessIdEEEEEE10hipError_tPvRmT0_T1_T2_T3_T4_T5_mmT6_P12ihipStream_tbEUlT_E0_NS1_11comp_targetILNS1_3genE10ELNS1_11target_archE1201ELNS1_3gpuE5ELNS1_3repE0EEENS1_30default_config_static_selectorELNS0_4arch9wavefront6targetE0EEEvS11_
                                        ; -- End function
	.set _ZN7rocprim17ROCPRIM_400000_NS6detail17trampoline_kernelINS0_14default_configENS1_21merge_config_selectorINS0_5tupleIJddEEENS0_10empty_typeEEEZNS1_10merge_implIS3_NS0_12zip_iteratorINS5_IJN6thrust23THRUST_200600_302600_NS6detail15normal_iteratorINSC_10device_ptrIKdEEEESI_EEEEESK_NSA_INS5_IJNSC_16discard_iteratorINSC_11use_defaultEEESN_EEEEEPS7_SQ_SQ_NSC_11hip_rocprim7__merge17predicate_wrapperIddNSC_4lessIdEEEEEE10hipError_tPvRmT0_T1_T2_T3_T4_T5_mmT6_P12ihipStream_tbEUlT_E0_NS1_11comp_targetILNS1_3genE10ELNS1_11target_archE1201ELNS1_3gpuE5ELNS1_3repE0EEENS1_30default_config_static_selectorELNS0_4arch9wavefront6targetE0EEEvS11_.num_vgpr, 0
	.set _ZN7rocprim17ROCPRIM_400000_NS6detail17trampoline_kernelINS0_14default_configENS1_21merge_config_selectorINS0_5tupleIJddEEENS0_10empty_typeEEEZNS1_10merge_implIS3_NS0_12zip_iteratorINS5_IJN6thrust23THRUST_200600_302600_NS6detail15normal_iteratorINSC_10device_ptrIKdEEEESI_EEEEESK_NSA_INS5_IJNSC_16discard_iteratorINSC_11use_defaultEEESN_EEEEEPS7_SQ_SQ_NSC_11hip_rocprim7__merge17predicate_wrapperIddNSC_4lessIdEEEEEE10hipError_tPvRmT0_T1_T2_T3_T4_T5_mmT6_P12ihipStream_tbEUlT_E0_NS1_11comp_targetILNS1_3genE10ELNS1_11target_archE1201ELNS1_3gpuE5ELNS1_3repE0EEENS1_30default_config_static_selectorELNS0_4arch9wavefront6targetE0EEEvS11_.num_agpr, 0
	.set _ZN7rocprim17ROCPRIM_400000_NS6detail17trampoline_kernelINS0_14default_configENS1_21merge_config_selectorINS0_5tupleIJddEEENS0_10empty_typeEEEZNS1_10merge_implIS3_NS0_12zip_iteratorINS5_IJN6thrust23THRUST_200600_302600_NS6detail15normal_iteratorINSC_10device_ptrIKdEEEESI_EEEEESK_NSA_INS5_IJNSC_16discard_iteratorINSC_11use_defaultEEESN_EEEEEPS7_SQ_SQ_NSC_11hip_rocprim7__merge17predicate_wrapperIddNSC_4lessIdEEEEEE10hipError_tPvRmT0_T1_T2_T3_T4_T5_mmT6_P12ihipStream_tbEUlT_E0_NS1_11comp_targetILNS1_3genE10ELNS1_11target_archE1201ELNS1_3gpuE5ELNS1_3repE0EEENS1_30default_config_static_selectorELNS0_4arch9wavefront6targetE0EEEvS11_.numbered_sgpr, 0
	.set _ZN7rocprim17ROCPRIM_400000_NS6detail17trampoline_kernelINS0_14default_configENS1_21merge_config_selectorINS0_5tupleIJddEEENS0_10empty_typeEEEZNS1_10merge_implIS3_NS0_12zip_iteratorINS5_IJN6thrust23THRUST_200600_302600_NS6detail15normal_iteratorINSC_10device_ptrIKdEEEESI_EEEEESK_NSA_INS5_IJNSC_16discard_iteratorINSC_11use_defaultEEESN_EEEEEPS7_SQ_SQ_NSC_11hip_rocprim7__merge17predicate_wrapperIddNSC_4lessIdEEEEEE10hipError_tPvRmT0_T1_T2_T3_T4_T5_mmT6_P12ihipStream_tbEUlT_E0_NS1_11comp_targetILNS1_3genE10ELNS1_11target_archE1201ELNS1_3gpuE5ELNS1_3repE0EEENS1_30default_config_static_selectorELNS0_4arch9wavefront6targetE0EEEvS11_.num_named_barrier, 0
	.set _ZN7rocprim17ROCPRIM_400000_NS6detail17trampoline_kernelINS0_14default_configENS1_21merge_config_selectorINS0_5tupleIJddEEENS0_10empty_typeEEEZNS1_10merge_implIS3_NS0_12zip_iteratorINS5_IJN6thrust23THRUST_200600_302600_NS6detail15normal_iteratorINSC_10device_ptrIKdEEEESI_EEEEESK_NSA_INS5_IJNSC_16discard_iteratorINSC_11use_defaultEEESN_EEEEEPS7_SQ_SQ_NSC_11hip_rocprim7__merge17predicate_wrapperIddNSC_4lessIdEEEEEE10hipError_tPvRmT0_T1_T2_T3_T4_T5_mmT6_P12ihipStream_tbEUlT_E0_NS1_11comp_targetILNS1_3genE10ELNS1_11target_archE1201ELNS1_3gpuE5ELNS1_3repE0EEENS1_30default_config_static_selectorELNS0_4arch9wavefront6targetE0EEEvS11_.private_seg_size, 0
	.set _ZN7rocprim17ROCPRIM_400000_NS6detail17trampoline_kernelINS0_14default_configENS1_21merge_config_selectorINS0_5tupleIJddEEENS0_10empty_typeEEEZNS1_10merge_implIS3_NS0_12zip_iteratorINS5_IJN6thrust23THRUST_200600_302600_NS6detail15normal_iteratorINSC_10device_ptrIKdEEEESI_EEEEESK_NSA_INS5_IJNSC_16discard_iteratorINSC_11use_defaultEEESN_EEEEEPS7_SQ_SQ_NSC_11hip_rocprim7__merge17predicate_wrapperIddNSC_4lessIdEEEEEE10hipError_tPvRmT0_T1_T2_T3_T4_T5_mmT6_P12ihipStream_tbEUlT_E0_NS1_11comp_targetILNS1_3genE10ELNS1_11target_archE1201ELNS1_3gpuE5ELNS1_3repE0EEENS1_30default_config_static_selectorELNS0_4arch9wavefront6targetE0EEEvS11_.uses_vcc, 0
	.set _ZN7rocprim17ROCPRIM_400000_NS6detail17trampoline_kernelINS0_14default_configENS1_21merge_config_selectorINS0_5tupleIJddEEENS0_10empty_typeEEEZNS1_10merge_implIS3_NS0_12zip_iteratorINS5_IJN6thrust23THRUST_200600_302600_NS6detail15normal_iteratorINSC_10device_ptrIKdEEEESI_EEEEESK_NSA_INS5_IJNSC_16discard_iteratorINSC_11use_defaultEEESN_EEEEEPS7_SQ_SQ_NSC_11hip_rocprim7__merge17predicate_wrapperIddNSC_4lessIdEEEEEE10hipError_tPvRmT0_T1_T2_T3_T4_T5_mmT6_P12ihipStream_tbEUlT_E0_NS1_11comp_targetILNS1_3genE10ELNS1_11target_archE1201ELNS1_3gpuE5ELNS1_3repE0EEENS1_30default_config_static_selectorELNS0_4arch9wavefront6targetE0EEEvS11_.uses_flat_scratch, 0
	.set _ZN7rocprim17ROCPRIM_400000_NS6detail17trampoline_kernelINS0_14default_configENS1_21merge_config_selectorINS0_5tupleIJddEEENS0_10empty_typeEEEZNS1_10merge_implIS3_NS0_12zip_iteratorINS5_IJN6thrust23THRUST_200600_302600_NS6detail15normal_iteratorINSC_10device_ptrIKdEEEESI_EEEEESK_NSA_INS5_IJNSC_16discard_iteratorINSC_11use_defaultEEESN_EEEEEPS7_SQ_SQ_NSC_11hip_rocprim7__merge17predicate_wrapperIddNSC_4lessIdEEEEEE10hipError_tPvRmT0_T1_T2_T3_T4_T5_mmT6_P12ihipStream_tbEUlT_E0_NS1_11comp_targetILNS1_3genE10ELNS1_11target_archE1201ELNS1_3gpuE5ELNS1_3repE0EEENS1_30default_config_static_selectorELNS0_4arch9wavefront6targetE0EEEvS11_.has_dyn_sized_stack, 0
	.set _ZN7rocprim17ROCPRIM_400000_NS6detail17trampoline_kernelINS0_14default_configENS1_21merge_config_selectorINS0_5tupleIJddEEENS0_10empty_typeEEEZNS1_10merge_implIS3_NS0_12zip_iteratorINS5_IJN6thrust23THRUST_200600_302600_NS6detail15normal_iteratorINSC_10device_ptrIKdEEEESI_EEEEESK_NSA_INS5_IJNSC_16discard_iteratorINSC_11use_defaultEEESN_EEEEEPS7_SQ_SQ_NSC_11hip_rocprim7__merge17predicate_wrapperIddNSC_4lessIdEEEEEE10hipError_tPvRmT0_T1_T2_T3_T4_T5_mmT6_P12ihipStream_tbEUlT_E0_NS1_11comp_targetILNS1_3genE10ELNS1_11target_archE1201ELNS1_3gpuE5ELNS1_3repE0EEENS1_30default_config_static_selectorELNS0_4arch9wavefront6targetE0EEEvS11_.has_recursion, 0
	.set _ZN7rocprim17ROCPRIM_400000_NS6detail17trampoline_kernelINS0_14default_configENS1_21merge_config_selectorINS0_5tupleIJddEEENS0_10empty_typeEEEZNS1_10merge_implIS3_NS0_12zip_iteratorINS5_IJN6thrust23THRUST_200600_302600_NS6detail15normal_iteratorINSC_10device_ptrIKdEEEESI_EEEEESK_NSA_INS5_IJNSC_16discard_iteratorINSC_11use_defaultEEESN_EEEEEPS7_SQ_SQ_NSC_11hip_rocprim7__merge17predicate_wrapperIddNSC_4lessIdEEEEEE10hipError_tPvRmT0_T1_T2_T3_T4_T5_mmT6_P12ihipStream_tbEUlT_E0_NS1_11comp_targetILNS1_3genE10ELNS1_11target_archE1201ELNS1_3gpuE5ELNS1_3repE0EEENS1_30default_config_static_selectorELNS0_4arch9wavefront6targetE0EEEvS11_.has_indirect_call, 0
	.section	.AMDGPU.csdata,"",@progbits
; Kernel info:
; codeLenInByte = 0
; TotalNumSgprs: 0
; NumVgprs: 0
; ScratchSize: 0
; MemoryBound: 0
; FloatMode: 240
; IeeeMode: 1
; LDSByteSize: 0 bytes/workgroup (compile time only)
; SGPRBlocks: 0
; VGPRBlocks: 0
; NumSGPRsForWavesPerEU: 1
; NumVGPRsForWavesPerEU: 1
; Occupancy: 16
; WaveLimiterHint : 0
; COMPUTE_PGM_RSRC2:SCRATCH_EN: 0
; COMPUTE_PGM_RSRC2:USER_SGPR: 6
; COMPUTE_PGM_RSRC2:TRAP_HANDLER: 0
; COMPUTE_PGM_RSRC2:TGID_X_EN: 1
; COMPUTE_PGM_RSRC2:TGID_Y_EN: 0
; COMPUTE_PGM_RSRC2:TGID_Z_EN: 0
; COMPUTE_PGM_RSRC2:TIDIG_COMP_CNT: 0
	.section	.text._ZN7rocprim17ROCPRIM_400000_NS6detail17trampoline_kernelINS0_14default_configENS1_21merge_config_selectorINS0_5tupleIJddEEENS0_10empty_typeEEEZNS1_10merge_implIS3_NS0_12zip_iteratorINS5_IJN6thrust23THRUST_200600_302600_NS6detail15normal_iteratorINSC_10device_ptrIKdEEEESI_EEEEESK_NSA_INS5_IJNSC_16discard_iteratorINSC_11use_defaultEEESN_EEEEEPS7_SQ_SQ_NSC_11hip_rocprim7__merge17predicate_wrapperIddNSC_4lessIdEEEEEE10hipError_tPvRmT0_T1_T2_T3_T4_T5_mmT6_P12ihipStream_tbEUlT_E0_NS1_11comp_targetILNS1_3genE10ELNS1_11target_archE1200ELNS1_3gpuE4ELNS1_3repE0EEENS1_30default_config_static_selectorELNS0_4arch9wavefront6targetE0EEEvS11_,"axG",@progbits,_ZN7rocprim17ROCPRIM_400000_NS6detail17trampoline_kernelINS0_14default_configENS1_21merge_config_selectorINS0_5tupleIJddEEENS0_10empty_typeEEEZNS1_10merge_implIS3_NS0_12zip_iteratorINS5_IJN6thrust23THRUST_200600_302600_NS6detail15normal_iteratorINSC_10device_ptrIKdEEEESI_EEEEESK_NSA_INS5_IJNSC_16discard_iteratorINSC_11use_defaultEEESN_EEEEEPS7_SQ_SQ_NSC_11hip_rocprim7__merge17predicate_wrapperIddNSC_4lessIdEEEEEE10hipError_tPvRmT0_T1_T2_T3_T4_T5_mmT6_P12ihipStream_tbEUlT_E0_NS1_11comp_targetILNS1_3genE10ELNS1_11target_archE1200ELNS1_3gpuE4ELNS1_3repE0EEENS1_30default_config_static_selectorELNS0_4arch9wavefront6targetE0EEEvS11_,comdat
	.protected	_ZN7rocprim17ROCPRIM_400000_NS6detail17trampoline_kernelINS0_14default_configENS1_21merge_config_selectorINS0_5tupleIJddEEENS0_10empty_typeEEEZNS1_10merge_implIS3_NS0_12zip_iteratorINS5_IJN6thrust23THRUST_200600_302600_NS6detail15normal_iteratorINSC_10device_ptrIKdEEEESI_EEEEESK_NSA_INS5_IJNSC_16discard_iteratorINSC_11use_defaultEEESN_EEEEEPS7_SQ_SQ_NSC_11hip_rocprim7__merge17predicate_wrapperIddNSC_4lessIdEEEEEE10hipError_tPvRmT0_T1_T2_T3_T4_T5_mmT6_P12ihipStream_tbEUlT_E0_NS1_11comp_targetILNS1_3genE10ELNS1_11target_archE1200ELNS1_3gpuE4ELNS1_3repE0EEENS1_30default_config_static_selectorELNS0_4arch9wavefront6targetE0EEEvS11_ ; -- Begin function _ZN7rocprim17ROCPRIM_400000_NS6detail17trampoline_kernelINS0_14default_configENS1_21merge_config_selectorINS0_5tupleIJddEEENS0_10empty_typeEEEZNS1_10merge_implIS3_NS0_12zip_iteratorINS5_IJN6thrust23THRUST_200600_302600_NS6detail15normal_iteratorINSC_10device_ptrIKdEEEESI_EEEEESK_NSA_INS5_IJNSC_16discard_iteratorINSC_11use_defaultEEESN_EEEEEPS7_SQ_SQ_NSC_11hip_rocprim7__merge17predicate_wrapperIddNSC_4lessIdEEEEEE10hipError_tPvRmT0_T1_T2_T3_T4_T5_mmT6_P12ihipStream_tbEUlT_E0_NS1_11comp_targetILNS1_3genE10ELNS1_11target_archE1200ELNS1_3gpuE4ELNS1_3repE0EEENS1_30default_config_static_selectorELNS0_4arch9wavefront6targetE0EEEvS11_
	.globl	_ZN7rocprim17ROCPRIM_400000_NS6detail17trampoline_kernelINS0_14default_configENS1_21merge_config_selectorINS0_5tupleIJddEEENS0_10empty_typeEEEZNS1_10merge_implIS3_NS0_12zip_iteratorINS5_IJN6thrust23THRUST_200600_302600_NS6detail15normal_iteratorINSC_10device_ptrIKdEEEESI_EEEEESK_NSA_INS5_IJNSC_16discard_iteratorINSC_11use_defaultEEESN_EEEEEPS7_SQ_SQ_NSC_11hip_rocprim7__merge17predicate_wrapperIddNSC_4lessIdEEEEEE10hipError_tPvRmT0_T1_T2_T3_T4_T5_mmT6_P12ihipStream_tbEUlT_E0_NS1_11comp_targetILNS1_3genE10ELNS1_11target_archE1200ELNS1_3gpuE4ELNS1_3repE0EEENS1_30default_config_static_selectorELNS0_4arch9wavefront6targetE0EEEvS11_
	.p2align	8
	.type	_ZN7rocprim17ROCPRIM_400000_NS6detail17trampoline_kernelINS0_14default_configENS1_21merge_config_selectorINS0_5tupleIJddEEENS0_10empty_typeEEEZNS1_10merge_implIS3_NS0_12zip_iteratorINS5_IJN6thrust23THRUST_200600_302600_NS6detail15normal_iteratorINSC_10device_ptrIKdEEEESI_EEEEESK_NSA_INS5_IJNSC_16discard_iteratorINSC_11use_defaultEEESN_EEEEEPS7_SQ_SQ_NSC_11hip_rocprim7__merge17predicate_wrapperIddNSC_4lessIdEEEEEE10hipError_tPvRmT0_T1_T2_T3_T4_T5_mmT6_P12ihipStream_tbEUlT_E0_NS1_11comp_targetILNS1_3genE10ELNS1_11target_archE1200ELNS1_3gpuE4ELNS1_3repE0EEENS1_30default_config_static_selectorELNS0_4arch9wavefront6targetE0EEEvS11_,@function
_ZN7rocprim17ROCPRIM_400000_NS6detail17trampoline_kernelINS0_14default_configENS1_21merge_config_selectorINS0_5tupleIJddEEENS0_10empty_typeEEEZNS1_10merge_implIS3_NS0_12zip_iteratorINS5_IJN6thrust23THRUST_200600_302600_NS6detail15normal_iteratorINSC_10device_ptrIKdEEEESI_EEEEESK_NSA_INS5_IJNSC_16discard_iteratorINSC_11use_defaultEEESN_EEEEEPS7_SQ_SQ_NSC_11hip_rocprim7__merge17predicate_wrapperIddNSC_4lessIdEEEEEE10hipError_tPvRmT0_T1_T2_T3_T4_T5_mmT6_P12ihipStream_tbEUlT_E0_NS1_11comp_targetILNS1_3genE10ELNS1_11target_archE1200ELNS1_3gpuE4ELNS1_3repE0EEENS1_30default_config_static_selectorELNS0_4arch9wavefront6targetE0EEEvS11_: ; @_ZN7rocprim17ROCPRIM_400000_NS6detail17trampoline_kernelINS0_14default_configENS1_21merge_config_selectorINS0_5tupleIJddEEENS0_10empty_typeEEEZNS1_10merge_implIS3_NS0_12zip_iteratorINS5_IJN6thrust23THRUST_200600_302600_NS6detail15normal_iteratorINSC_10device_ptrIKdEEEESI_EEEEESK_NSA_INS5_IJNSC_16discard_iteratorINSC_11use_defaultEEESN_EEEEEPS7_SQ_SQ_NSC_11hip_rocprim7__merge17predicate_wrapperIddNSC_4lessIdEEEEEE10hipError_tPvRmT0_T1_T2_T3_T4_T5_mmT6_P12ihipStream_tbEUlT_E0_NS1_11comp_targetILNS1_3genE10ELNS1_11target_archE1200ELNS1_3gpuE4ELNS1_3repE0EEENS1_30default_config_static_selectorELNS0_4arch9wavefront6targetE0EEEvS11_
; %bb.0:
	.section	.rodata,"a",@progbits
	.p2align	6, 0x0
	.amdhsa_kernel _ZN7rocprim17ROCPRIM_400000_NS6detail17trampoline_kernelINS0_14default_configENS1_21merge_config_selectorINS0_5tupleIJddEEENS0_10empty_typeEEEZNS1_10merge_implIS3_NS0_12zip_iteratorINS5_IJN6thrust23THRUST_200600_302600_NS6detail15normal_iteratorINSC_10device_ptrIKdEEEESI_EEEEESK_NSA_INS5_IJNSC_16discard_iteratorINSC_11use_defaultEEESN_EEEEEPS7_SQ_SQ_NSC_11hip_rocprim7__merge17predicate_wrapperIddNSC_4lessIdEEEEEE10hipError_tPvRmT0_T1_T2_T3_T4_T5_mmT6_P12ihipStream_tbEUlT_E0_NS1_11comp_targetILNS1_3genE10ELNS1_11target_archE1200ELNS1_3gpuE4ELNS1_3repE0EEENS1_30default_config_static_selectorELNS0_4arch9wavefront6targetE0EEEvS11_
		.amdhsa_group_segment_fixed_size 0
		.amdhsa_private_segment_fixed_size 0
		.amdhsa_kernarg_size 128
		.amdhsa_user_sgpr_count 6
		.amdhsa_user_sgpr_private_segment_buffer 1
		.amdhsa_user_sgpr_dispatch_ptr 0
		.amdhsa_user_sgpr_queue_ptr 0
		.amdhsa_user_sgpr_kernarg_segment_ptr 1
		.amdhsa_user_sgpr_dispatch_id 0
		.amdhsa_user_sgpr_flat_scratch_init 0
		.amdhsa_user_sgpr_private_segment_size 0
		.amdhsa_wavefront_size32 1
		.amdhsa_uses_dynamic_stack 0
		.amdhsa_system_sgpr_private_segment_wavefront_offset 0
		.amdhsa_system_sgpr_workgroup_id_x 1
		.amdhsa_system_sgpr_workgroup_id_y 0
		.amdhsa_system_sgpr_workgroup_id_z 0
		.amdhsa_system_sgpr_workgroup_info 0
		.amdhsa_system_vgpr_workitem_id 0
		.amdhsa_next_free_vgpr 1
		.amdhsa_next_free_sgpr 1
		.amdhsa_reserve_vcc 0
		.amdhsa_reserve_flat_scratch 0
		.amdhsa_float_round_mode_32 0
		.amdhsa_float_round_mode_16_64 0
		.amdhsa_float_denorm_mode_32 3
		.amdhsa_float_denorm_mode_16_64 3
		.amdhsa_dx10_clamp 1
		.amdhsa_ieee_mode 1
		.amdhsa_fp16_overflow 0
		.amdhsa_workgroup_processor_mode 1
		.amdhsa_memory_ordered 1
		.amdhsa_forward_progress 1
		.amdhsa_shared_vgpr_count 0
		.amdhsa_exception_fp_ieee_invalid_op 0
		.amdhsa_exception_fp_denorm_src 0
		.amdhsa_exception_fp_ieee_div_zero 0
		.amdhsa_exception_fp_ieee_overflow 0
		.amdhsa_exception_fp_ieee_underflow 0
		.amdhsa_exception_fp_ieee_inexact 0
		.amdhsa_exception_int_div_zero 0
	.end_amdhsa_kernel
	.section	.text._ZN7rocprim17ROCPRIM_400000_NS6detail17trampoline_kernelINS0_14default_configENS1_21merge_config_selectorINS0_5tupleIJddEEENS0_10empty_typeEEEZNS1_10merge_implIS3_NS0_12zip_iteratorINS5_IJN6thrust23THRUST_200600_302600_NS6detail15normal_iteratorINSC_10device_ptrIKdEEEESI_EEEEESK_NSA_INS5_IJNSC_16discard_iteratorINSC_11use_defaultEEESN_EEEEEPS7_SQ_SQ_NSC_11hip_rocprim7__merge17predicate_wrapperIddNSC_4lessIdEEEEEE10hipError_tPvRmT0_T1_T2_T3_T4_T5_mmT6_P12ihipStream_tbEUlT_E0_NS1_11comp_targetILNS1_3genE10ELNS1_11target_archE1200ELNS1_3gpuE4ELNS1_3repE0EEENS1_30default_config_static_selectorELNS0_4arch9wavefront6targetE0EEEvS11_,"axG",@progbits,_ZN7rocprim17ROCPRIM_400000_NS6detail17trampoline_kernelINS0_14default_configENS1_21merge_config_selectorINS0_5tupleIJddEEENS0_10empty_typeEEEZNS1_10merge_implIS3_NS0_12zip_iteratorINS5_IJN6thrust23THRUST_200600_302600_NS6detail15normal_iteratorINSC_10device_ptrIKdEEEESI_EEEEESK_NSA_INS5_IJNSC_16discard_iteratorINSC_11use_defaultEEESN_EEEEEPS7_SQ_SQ_NSC_11hip_rocprim7__merge17predicate_wrapperIddNSC_4lessIdEEEEEE10hipError_tPvRmT0_T1_T2_T3_T4_T5_mmT6_P12ihipStream_tbEUlT_E0_NS1_11comp_targetILNS1_3genE10ELNS1_11target_archE1200ELNS1_3gpuE4ELNS1_3repE0EEENS1_30default_config_static_selectorELNS0_4arch9wavefront6targetE0EEEvS11_,comdat
.Lfunc_end494:
	.size	_ZN7rocprim17ROCPRIM_400000_NS6detail17trampoline_kernelINS0_14default_configENS1_21merge_config_selectorINS0_5tupleIJddEEENS0_10empty_typeEEEZNS1_10merge_implIS3_NS0_12zip_iteratorINS5_IJN6thrust23THRUST_200600_302600_NS6detail15normal_iteratorINSC_10device_ptrIKdEEEESI_EEEEESK_NSA_INS5_IJNSC_16discard_iteratorINSC_11use_defaultEEESN_EEEEEPS7_SQ_SQ_NSC_11hip_rocprim7__merge17predicate_wrapperIddNSC_4lessIdEEEEEE10hipError_tPvRmT0_T1_T2_T3_T4_T5_mmT6_P12ihipStream_tbEUlT_E0_NS1_11comp_targetILNS1_3genE10ELNS1_11target_archE1200ELNS1_3gpuE4ELNS1_3repE0EEENS1_30default_config_static_selectorELNS0_4arch9wavefront6targetE0EEEvS11_, .Lfunc_end494-_ZN7rocprim17ROCPRIM_400000_NS6detail17trampoline_kernelINS0_14default_configENS1_21merge_config_selectorINS0_5tupleIJddEEENS0_10empty_typeEEEZNS1_10merge_implIS3_NS0_12zip_iteratorINS5_IJN6thrust23THRUST_200600_302600_NS6detail15normal_iteratorINSC_10device_ptrIKdEEEESI_EEEEESK_NSA_INS5_IJNSC_16discard_iteratorINSC_11use_defaultEEESN_EEEEEPS7_SQ_SQ_NSC_11hip_rocprim7__merge17predicate_wrapperIddNSC_4lessIdEEEEEE10hipError_tPvRmT0_T1_T2_T3_T4_T5_mmT6_P12ihipStream_tbEUlT_E0_NS1_11comp_targetILNS1_3genE10ELNS1_11target_archE1200ELNS1_3gpuE4ELNS1_3repE0EEENS1_30default_config_static_selectorELNS0_4arch9wavefront6targetE0EEEvS11_
                                        ; -- End function
	.set _ZN7rocprim17ROCPRIM_400000_NS6detail17trampoline_kernelINS0_14default_configENS1_21merge_config_selectorINS0_5tupleIJddEEENS0_10empty_typeEEEZNS1_10merge_implIS3_NS0_12zip_iteratorINS5_IJN6thrust23THRUST_200600_302600_NS6detail15normal_iteratorINSC_10device_ptrIKdEEEESI_EEEEESK_NSA_INS5_IJNSC_16discard_iteratorINSC_11use_defaultEEESN_EEEEEPS7_SQ_SQ_NSC_11hip_rocprim7__merge17predicate_wrapperIddNSC_4lessIdEEEEEE10hipError_tPvRmT0_T1_T2_T3_T4_T5_mmT6_P12ihipStream_tbEUlT_E0_NS1_11comp_targetILNS1_3genE10ELNS1_11target_archE1200ELNS1_3gpuE4ELNS1_3repE0EEENS1_30default_config_static_selectorELNS0_4arch9wavefront6targetE0EEEvS11_.num_vgpr, 0
	.set _ZN7rocprim17ROCPRIM_400000_NS6detail17trampoline_kernelINS0_14default_configENS1_21merge_config_selectorINS0_5tupleIJddEEENS0_10empty_typeEEEZNS1_10merge_implIS3_NS0_12zip_iteratorINS5_IJN6thrust23THRUST_200600_302600_NS6detail15normal_iteratorINSC_10device_ptrIKdEEEESI_EEEEESK_NSA_INS5_IJNSC_16discard_iteratorINSC_11use_defaultEEESN_EEEEEPS7_SQ_SQ_NSC_11hip_rocprim7__merge17predicate_wrapperIddNSC_4lessIdEEEEEE10hipError_tPvRmT0_T1_T2_T3_T4_T5_mmT6_P12ihipStream_tbEUlT_E0_NS1_11comp_targetILNS1_3genE10ELNS1_11target_archE1200ELNS1_3gpuE4ELNS1_3repE0EEENS1_30default_config_static_selectorELNS0_4arch9wavefront6targetE0EEEvS11_.num_agpr, 0
	.set _ZN7rocprim17ROCPRIM_400000_NS6detail17trampoline_kernelINS0_14default_configENS1_21merge_config_selectorINS0_5tupleIJddEEENS0_10empty_typeEEEZNS1_10merge_implIS3_NS0_12zip_iteratorINS5_IJN6thrust23THRUST_200600_302600_NS6detail15normal_iteratorINSC_10device_ptrIKdEEEESI_EEEEESK_NSA_INS5_IJNSC_16discard_iteratorINSC_11use_defaultEEESN_EEEEEPS7_SQ_SQ_NSC_11hip_rocprim7__merge17predicate_wrapperIddNSC_4lessIdEEEEEE10hipError_tPvRmT0_T1_T2_T3_T4_T5_mmT6_P12ihipStream_tbEUlT_E0_NS1_11comp_targetILNS1_3genE10ELNS1_11target_archE1200ELNS1_3gpuE4ELNS1_3repE0EEENS1_30default_config_static_selectorELNS0_4arch9wavefront6targetE0EEEvS11_.numbered_sgpr, 0
	.set _ZN7rocprim17ROCPRIM_400000_NS6detail17trampoline_kernelINS0_14default_configENS1_21merge_config_selectorINS0_5tupleIJddEEENS0_10empty_typeEEEZNS1_10merge_implIS3_NS0_12zip_iteratorINS5_IJN6thrust23THRUST_200600_302600_NS6detail15normal_iteratorINSC_10device_ptrIKdEEEESI_EEEEESK_NSA_INS5_IJNSC_16discard_iteratorINSC_11use_defaultEEESN_EEEEEPS7_SQ_SQ_NSC_11hip_rocprim7__merge17predicate_wrapperIddNSC_4lessIdEEEEEE10hipError_tPvRmT0_T1_T2_T3_T4_T5_mmT6_P12ihipStream_tbEUlT_E0_NS1_11comp_targetILNS1_3genE10ELNS1_11target_archE1200ELNS1_3gpuE4ELNS1_3repE0EEENS1_30default_config_static_selectorELNS0_4arch9wavefront6targetE0EEEvS11_.num_named_barrier, 0
	.set _ZN7rocprim17ROCPRIM_400000_NS6detail17trampoline_kernelINS0_14default_configENS1_21merge_config_selectorINS0_5tupleIJddEEENS0_10empty_typeEEEZNS1_10merge_implIS3_NS0_12zip_iteratorINS5_IJN6thrust23THRUST_200600_302600_NS6detail15normal_iteratorINSC_10device_ptrIKdEEEESI_EEEEESK_NSA_INS5_IJNSC_16discard_iteratorINSC_11use_defaultEEESN_EEEEEPS7_SQ_SQ_NSC_11hip_rocprim7__merge17predicate_wrapperIddNSC_4lessIdEEEEEE10hipError_tPvRmT0_T1_T2_T3_T4_T5_mmT6_P12ihipStream_tbEUlT_E0_NS1_11comp_targetILNS1_3genE10ELNS1_11target_archE1200ELNS1_3gpuE4ELNS1_3repE0EEENS1_30default_config_static_selectorELNS0_4arch9wavefront6targetE0EEEvS11_.private_seg_size, 0
	.set _ZN7rocprim17ROCPRIM_400000_NS6detail17trampoline_kernelINS0_14default_configENS1_21merge_config_selectorINS0_5tupleIJddEEENS0_10empty_typeEEEZNS1_10merge_implIS3_NS0_12zip_iteratorINS5_IJN6thrust23THRUST_200600_302600_NS6detail15normal_iteratorINSC_10device_ptrIKdEEEESI_EEEEESK_NSA_INS5_IJNSC_16discard_iteratorINSC_11use_defaultEEESN_EEEEEPS7_SQ_SQ_NSC_11hip_rocprim7__merge17predicate_wrapperIddNSC_4lessIdEEEEEE10hipError_tPvRmT0_T1_T2_T3_T4_T5_mmT6_P12ihipStream_tbEUlT_E0_NS1_11comp_targetILNS1_3genE10ELNS1_11target_archE1200ELNS1_3gpuE4ELNS1_3repE0EEENS1_30default_config_static_selectorELNS0_4arch9wavefront6targetE0EEEvS11_.uses_vcc, 0
	.set _ZN7rocprim17ROCPRIM_400000_NS6detail17trampoline_kernelINS0_14default_configENS1_21merge_config_selectorINS0_5tupleIJddEEENS0_10empty_typeEEEZNS1_10merge_implIS3_NS0_12zip_iteratorINS5_IJN6thrust23THRUST_200600_302600_NS6detail15normal_iteratorINSC_10device_ptrIKdEEEESI_EEEEESK_NSA_INS5_IJNSC_16discard_iteratorINSC_11use_defaultEEESN_EEEEEPS7_SQ_SQ_NSC_11hip_rocprim7__merge17predicate_wrapperIddNSC_4lessIdEEEEEE10hipError_tPvRmT0_T1_T2_T3_T4_T5_mmT6_P12ihipStream_tbEUlT_E0_NS1_11comp_targetILNS1_3genE10ELNS1_11target_archE1200ELNS1_3gpuE4ELNS1_3repE0EEENS1_30default_config_static_selectorELNS0_4arch9wavefront6targetE0EEEvS11_.uses_flat_scratch, 0
	.set _ZN7rocprim17ROCPRIM_400000_NS6detail17trampoline_kernelINS0_14default_configENS1_21merge_config_selectorINS0_5tupleIJddEEENS0_10empty_typeEEEZNS1_10merge_implIS3_NS0_12zip_iteratorINS5_IJN6thrust23THRUST_200600_302600_NS6detail15normal_iteratorINSC_10device_ptrIKdEEEESI_EEEEESK_NSA_INS5_IJNSC_16discard_iteratorINSC_11use_defaultEEESN_EEEEEPS7_SQ_SQ_NSC_11hip_rocprim7__merge17predicate_wrapperIddNSC_4lessIdEEEEEE10hipError_tPvRmT0_T1_T2_T3_T4_T5_mmT6_P12ihipStream_tbEUlT_E0_NS1_11comp_targetILNS1_3genE10ELNS1_11target_archE1200ELNS1_3gpuE4ELNS1_3repE0EEENS1_30default_config_static_selectorELNS0_4arch9wavefront6targetE0EEEvS11_.has_dyn_sized_stack, 0
	.set _ZN7rocprim17ROCPRIM_400000_NS6detail17trampoline_kernelINS0_14default_configENS1_21merge_config_selectorINS0_5tupleIJddEEENS0_10empty_typeEEEZNS1_10merge_implIS3_NS0_12zip_iteratorINS5_IJN6thrust23THRUST_200600_302600_NS6detail15normal_iteratorINSC_10device_ptrIKdEEEESI_EEEEESK_NSA_INS5_IJNSC_16discard_iteratorINSC_11use_defaultEEESN_EEEEEPS7_SQ_SQ_NSC_11hip_rocprim7__merge17predicate_wrapperIddNSC_4lessIdEEEEEE10hipError_tPvRmT0_T1_T2_T3_T4_T5_mmT6_P12ihipStream_tbEUlT_E0_NS1_11comp_targetILNS1_3genE10ELNS1_11target_archE1200ELNS1_3gpuE4ELNS1_3repE0EEENS1_30default_config_static_selectorELNS0_4arch9wavefront6targetE0EEEvS11_.has_recursion, 0
	.set _ZN7rocprim17ROCPRIM_400000_NS6detail17trampoline_kernelINS0_14default_configENS1_21merge_config_selectorINS0_5tupleIJddEEENS0_10empty_typeEEEZNS1_10merge_implIS3_NS0_12zip_iteratorINS5_IJN6thrust23THRUST_200600_302600_NS6detail15normal_iteratorINSC_10device_ptrIKdEEEESI_EEEEESK_NSA_INS5_IJNSC_16discard_iteratorINSC_11use_defaultEEESN_EEEEEPS7_SQ_SQ_NSC_11hip_rocprim7__merge17predicate_wrapperIddNSC_4lessIdEEEEEE10hipError_tPvRmT0_T1_T2_T3_T4_T5_mmT6_P12ihipStream_tbEUlT_E0_NS1_11comp_targetILNS1_3genE10ELNS1_11target_archE1200ELNS1_3gpuE4ELNS1_3repE0EEENS1_30default_config_static_selectorELNS0_4arch9wavefront6targetE0EEEvS11_.has_indirect_call, 0
	.section	.AMDGPU.csdata,"",@progbits
; Kernel info:
; codeLenInByte = 0
; TotalNumSgprs: 0
; NumVgprs: 0
; ScratchSize: 0
; MemoryBound: 0
; FloatMode: 240
; IeeeMode: 1
; LDSByteSize: 0 bytes/workgroup (compile time only)
; SGPRBlocks: 0
; VGPRBlocks: 0
; NumSGPRsForWavesPerEU: 1
; NumVGPRsForWavesPerEU: 1
; Occupancy: 16
; WaveLimiterHint : 0
; COMPUTE_PGM_RSRC2:SCRATCH_EN: 0
; COMPUTE_PGM_RSRC2:USER_SGPR: 6
; COMPUTE_PGM_RSRC2:TRAP_HANDLER: 0
; COMPUTE_PGM_RSRC2:TGID_X_EN: 1
; COMPUTE_PGM_RSRC2:TGID_Y_EN: 0
; COMPUTE_PGM_RSRC2:TGID_Z_EN: 0
; COMPUTE_PGM_RSRC2:TIDIG_COMP_CNT: 0
	.section	.text._ZN7rocprim17ROCPRIM_400000_NS6detail17trampoline_kernelINS0_14default_configENS1_21merge_config_selectorINS0_5tupleIJddEEENS0_10empty_typeEEEZNS1_10merge_implIS3_NS0_12zip_iteratorINS5_IJN6thrust23THRUST_200600_302600_NS6detail15normal_iteratorINSC_10device_ptrIKdEEEESI_EEEEESK_NSA_INS5_IJNSC_16discard_iteratorINSC_11use_defaultEEESN_EEEEEPS7_SQ_SQ_NSC_11hip_rocprim7__merge17predicate_wrapperIddNSC_4lessIdEEEEEE10hipError_tPvRmT0_T1_T2_T3_T4_T5_mmT6_P12ihipStream_tbEUlT_E0_NS1_11comp_targetILNS1_3genE9ELNS1_11target_archE1100ELNS1_3gpuE3ELNS1_3repE0EEENS1_30default_config_static_selectorELNS0_4arch9wavefront6targetE0EEEvS11_,"axG",@progbits,_ZN7rocprim17ROCPRIM_400000_NS6detail17trampoline_kernelINS0_14default_configENS1_21merge_config_selectorINS0_5tupleIJddEEENS0_10empty_typeEEEZNS1_10merge_implIS3_NS0_12zip_iteratorINS5_IJN6thrust23THRUST_200600_302600_NS6detail15normal_iteratorINSC_10device_ptrIKdEEEESI_EEEEESK_NSA_INS5_IJNSC_16discard_iteratorINSC_11use_defaultEEESN_EEEEEPS7_SQ_SQ_NSC_11hip_rocprim7__merge17predicate_wrapperIddNSC_4lessIdEEEEEE10hipError_tPvRmT0_T1_T2_T3_T4_T5_mmT6_P12ihipStream_tbEUlT_E0_NS1_11comp_targetILNS1_3genE9ELNS1_11target_archE1100ELNS1_3gpuE3ELNS1_3repE0EEENS1_30default_config_static_selectorELNS0_4arch9wavefront6targetE0EEEvS11_,comdat
	.protected	_ZN7rocprim17ROCPRIM_400000_NS6detail17trampoline_kernelINS0_14default_configENS1_21merge_config_selectorINS0_5tupleIJddEEENS0_10empty_typeEEEZNS1_10merge_implIS3_NS0_12zip_iteratorINS5_IJN6thrust23THRUST_200600_302600_NS6detail15normal_iteratorINSC_10device_ptrIKdEEEESI_EEEEESK_NSA_INS5_IJNSC_16discard_iteratorINSC_11use_defaultEEESN_EEEEEPS7_SQ_SQ_NSC_11hip_rocprim7__merge17predicate_wrapperIddNSC_4lessIdEEEEEE10hipError_tPvRmT0_T1_T2_T3_T4_T5_mmT6_P12ihipStream_tbEUlT_E0_NS1_11comp_targetILNS1_3genE9ELNS1_11target_archE1100ELNS1_3gpuE3ELNS1_3repE0EEENS1_30default_config_static_selectorELNS0_4arch9wavefront6targetE0EEEvS11_ ; -- Begin function _ZN7rocprim17ROCPRIM_400000_NS6detail17trampoline_kernelINS0_14default_configENS1_21merge_config_selectorINS0_5tupleIJddEEENS0_10empty_typeEEEZNS1_10merge_implIS3_NS0_12zip_iteratorINS5_IJN6thrust23THRUST_200600_302600_NS6detail15normal_iteratorINSC_10device_ptrIKdEEEESI_EEEEESK_NSA_INS5_IJNSC_16discard_iteratorINSC_11use_defaultEEESN_EEEEEPS7_SQ_SQ_NSC_11hip_rocprim7__merge17predicate_wrapperIddNSC_4lessIdEEEEEE10hipError_tPvRmT0_T1_T2_T3_T4_T5_mmT6_P12ihipStream_tbEUlT_E0_NS1_11comp_targetILNS1_3genE9ELNS1_11target_archE1100ELNS1_3gpuE3ELNS1_3repE0EEENS1_30default_config_static_selectorELNS0_4arch9wavefront6targetE0EEEvS11_
	.globl	_ZN7rocprim17ROCPRIM_400000_NS6detail17trampoline_kernelINS0_14default_configENS1_21merge_config_selectorINS0_5tupleIJddEEENS0_10empty_typeEEEZNS1_10merge_implIS3_NS0_12zip_iteratorINS5_IJN6thrust23THRUST_200600_302600_NS6detail15normal_iteratorINSC_10device_ptrIKdEEEESI_EEEEESK_NSA_INS5_IJNSC_16discard_iteratorINSC_11use_defaultEEESN_EEEEEPS7_SQ_SQ_NSC_11hip_rocprim7__merge17predicate_wrapperIddNSC_4lessIdEEEEEE10hipError_tPvRmT0_T1_T2_T3_T4_T5_mmT6_P12ihipStream_tbEUlT_E0_NS1_11comp_targetILNS1_3genE9ELNS1_11target_archE1100ELNS1_3gpuE3ELNS1_3repE0EEENS1_30default_config_static_selectorELNS0_4arch9wavefront6targetE0EEEvS11_
	.p2align	8
	.type	_ZN7rocprim17ROCPRIM_400000_NS6detail17trampoline_kernelINS0_14default_configENS1_21merge_config_selectorINS0_5tupleIJddEEENS0_10empty_typeEEEZNS1_10merge_implIS3_NS0_12zip_iteratorINS5_IJN6thrust23THRUST_200600_302600_NS6detail15normal_iteratorINSC_10device_ptrIKdEEEESI_EEEEESK_NSA_INS5_IJNSC_16discard_iteratorINSC_11use_defaultEEESN_EEEEEPS7_SQ_SQ_NSC_11hip_rocprim7__merge17predicate_wrapperIddNSC_4lessIdEEEEEE10hipError_tPvRmT0_T1_T2_T3_T4_T5_mmT6_P12ihipStream_tbEUlT_E0_NS1_11comp_targetILNS1_3genE9ELNS1_11target_archE1100ELNS1_3gpuE3ELNS1_3repE0EEENS1_30default_config_static_selectorELNS0_4arch9wavefront6targetE0EEEvS11_,@function
_ZN7rocprim17ROCPRIM_400000_NS6detail17trampoline_kernelINS0_14default_configENS1_21merge_config_selectorINS0_5tupleIJddEEENS0_10empty_typeEEEZNS1_10merge_implIS3_NS0_12zip_iteratorINS5_IJN6thrust23THRUST_200600_302600_NS6detail15normal_iteratorINSC_10device_ptrIKdEEEESI_EEEEESK_NSA_INS5_IJNSC_16discard_iteratorINSC_11use_defaultEEESN_EEEEEPS7_SQ_SQ_NSC_11hip_rocprim7__merge17predicate_wrapperIddNSC_4lessIdEEEEEE10hipError_tPvRmT0_T1_T2_T3_T4_T5_mmT6_P12ihipStream_tbEUlT_E0_NS1_11comp_targetILNS1_3genE9ELNS1_11target_archE1100ELNS1_3gpuE3ELNS1_3repE0EEENS1_30default_config_static_selectorELNS0_4arch9wavefront6targetE0EEEvS11_: ; @_ZN7rocprim17ROCPRIM_400000_NS6detail17trampoline_kernelINS0_14default_configENS1_21merge_config_selectorINS0_5tupleIJddEEENS0_10empty_typeEEEZNS1_10merge_implIS3_NS0_12zip_iteratorINS5_IJN6thrust23THRUST_200600_302600_NS6detail15normal_iteratorINSC_10device_ptrIKdEEEESI_EEEEESK_NSA_INS5_IJNSC_16discard_iteratorINSC_11use_defaultEEESN_EEEEEPS7_SQ_SQ_NSC_11hip_rocprim7__merge17predicate_wrapperIddNSC_4lessIdEEEEEE10hipError_tPvRmT0_T1_T2_T3_T4_T5_mmT6_P12ihipStream_tbEUlT_E0_NS1_11comp_targetILNS1_3genE9ELNS1_11target_archE1100ELNS1_3gpuE3ELNS1_3repE0EEENS1_30default_config_static_selectorELNS0_4arch9wavefront6targetE0EEEvS11_
; %bb.0:
	.section	.rodata,"a",@progbits
	.p2align	6, 0x0
	.amdhsa_kernel _ZN7rocprim17ROCPRIM_400000_NS6detail17trampoline_kernelINS0_14default_configENS1_21merge_config_selectorINS0_5tupleIJddEEENS0_10empty_typeEEEZNS1_10merge_implIS3_NS0_12zip_iteratorINS5_IJN6thrust23THRUST_200600_302600_NS6detail15normal_iteratorINSC_10device_ptrIKdEEEESI_EEEEESK_NSA_INS5_IJNSC_16discard_iteratorINSC_11use_defaultEEESN_EEEEEPS7_SQ_SQ_NSC_11hip_rocprim7__merge17predicate_wrapperIddNSC_4lessIdEEEEEE10hipError_tPvRmT0_T1_T2_T3_T4_T5_mmT6_P12ihipStream_tbEUlT_E0_NS1_11comp_targetILNS1_3genE9ELNS1_11target_archE1100ELNS1_3gpuE3ELNS1_3repE0EEENS1_30default_config_static_selectorELNS0_4arch9wavefront6targetE0EEEvS11_
		.amdhsa_group_segment_fixed_size 0
		.amdhsa_private_segment_fixed_size 0
		.amdhsa_kernarg_size 128
		.amdhsa_user_sgpr_count 6
		.amdhsa_user_sgpr_private_segment_buffer 1
		.amdhsa_user_sgpr_dispatch_ptr 0
		.amdhsa_user_sgpr_queue_ptr 0
		.amdhsa_user_sgpr_kernarg_segment_ptr 1
		.amdhsa_user_sgpr_dispatch_id 0
		.amdhsa_user_sgpr_flat_scratch_init 0
		.amdhsa_user_sgpr_private_segment_size 0
		.amdhsa_wavefront_size32 1
		.amdhsa_uses_dynamic_stack 0
		.amdhsa_system_sgpr_private_segment_wavefront_offset 0
		.amdhsa_system_sgpr_workgroup_id_x 1
		.amdhsa_system_sgpr_workgroup_id_y 0
		.amdhsa_system_sgpr_workgroup_id_z 0
		.amdhsa_system_sgpr_workgroup_info 0
		.amdhsa_system_vgpr_workitem_id 0
		.amdhsa_next_free_vgpr 1
		.amdhsa_next_free_sgpr 1
		.amdhsa_reserve_vcc 0
		.amdhsa_reserve_flat_scratch 0
		.amdhsa_float_round_mode_32 0
		.amdhsa_float_round_mode_16_64 0
		.amdhsa_float_denorm_mode_32 3
		.amdhsa_float_denorm_mode_16_64 3
		.amdhsa_dx10_clamp 1
		.amdhsa_ieee_mode 1
		.amdhsa_fp16_overflow 0
		.amdhsa_workgroup_processor_mode 1
		.amdhsa_memory_ordered 1
		.amdhsa_forward_progress 1
		.amdhsa_shared_vgpr_count 0
		.amdhsa_exception_fp_ieee_invalid_op 0
		.amdhsa_exception_fp_denorm_src 0
		.amdhsa_exception_fp_ieee_div_zero 0
		.amdhsa_exception_fp_ieee_overflow 0
		.amdhsa_exception_fp_ieee_underflow 0
		.amdhsa_exception_fp_ieee_inexact 0
		.amdhsa_exception_int_div_zero 0
	.end_amdhsa_kernel
	.section	.text._ZN7rocprim17ROCPRIM_400000_NS6detail17trampoline_kernelINS0_14default_configENS1_21merge_config_selectorINS0_5tupleIJddEEENS0_10empty_typeEEEZNS1_10merge_implIS3_NS0_12zip_iteratorINS5_IJN6thrust23THRUST_200600_302600_NS6detail15normal_iteratorINSC_10device_ptrIKdEEEESI_EEEEESK_NSA_INS5_IJNSC_16discard_iteratorINSC_11use_defaultEEESN_EEEEEPS7_SQ_SQ_NSC_11hip_rocprim7__merge17predicate_wrapperIddNSC_4lessIdEEEEEE10hipError_tPvRmT0_T1_T2_T3_T4_T5_mmT6_P12ihipStream_tbEUlT_E0_NS1_11comp_targetILNS1_3genE9ELNS1_11target_archE1100ELNS1_3gpuE3ELNS1_3repE0EEENS1_30default_config_static_selectorELNS0_4arch9wavefront6targetE0EEEvS11_,"axG",@progbits,_ZN7rocprim17ROCPRIM_400000_NS6detail17trampoline_kernelINS0_14default_configENS1_21merge_config_selectorINS0_5tupleIJddEEENS0_10empty_typeEEEZNS1_10merge_implIS3_NS0_12zip_iteratorINS5_IJN6thrust23THRUST_200600_302600_NS6detail15normal_iteratorINSC_10device_ptrIKdEEEESI_EEEEESK_NSA_INS5_IJNSC_16discard_iteratorINSC_11use_defaultEEESN_EEEEEPS7_SQ_SQ_NSC_11hip_rocprim7__merge17predicate_wrapperIddNSC_4lessIdEEEEEE10hipError_tPvRmT0_T1_T2_T3_T4_T5_mmT6_P12ihipStream_tbEUlT_E0_NS1_11comp_targetILNS1_3genE9ELNS1_11target_archE1100ELNS1_3gpuE3ELNS1_3repE0EEENS1_30default_config_static_selectorELNS0_4arch9wavefront6targetE0EEEvS11_,comdat
.Lfunc_end495:
	.size	_ZN7rocprim17ROCPRIM_400000_NS6detail17trampoline_kernelINS0_14default_configENS1_21merge_config_selectorINS0_5tupleIJddEEENS0_10empty_typeEEEZNS1_10merge_implIS3_NS0_12zip_iteratorINS5_IJN6thrust23THRUST_200600_302600_NS6detail15normal_iteratorINSC_10device_ptrIKdEEEESI_EEEEESK_NSA_INS5_IJNSC_16discard_iteratorINSC_11use_defaultEEESN_EEEEEPS7_SQ_SQ_NSC_11hip_rocprim7__merge17predicate_wrapperIddNSC_4lessIdEEEEEE10hipError_tPvRmT0_T1_T2_T3_T4_T5_mmT6_P12ihipStream_tbEUlT_E0_NS1_11comp_targetILNS1_3genE9ELNS1_11target_archE1100ELNS1_3gpuE3ELNS1_3repE0EEENS1_30default_config_static_selectorELNS0_4arch9wavefront6targetE0EEEvS11_, .Lfunc_end495-_ZN7rocprim17ROCPRIM_400000_NS6detail17trampoline_kernelINS0_14default_configENS1_21merge_config_selectorINS0_5tupleIJddEEENS0_10empty_typeEEEZNS1_10merge_implIS3_NS0_12zip_iteratorINS5_IJN6thrust23THRUST_200600_302600_NS6detail15normal_iteratorINSC_10device_ptrIKdEEEESI_EEEEESK_NSA_INS5_IJNSC_16discard_iteratorINSC_11use_defaultEEESN_EEEEEPS7_SQ_SQ_NSC_11hip_rocprim7__merge17predicate_wrapperIddNSC_4lessIdEEEEEE10hipError_tPvRmT0_T1_T2_T3_T4_T5_mmT6_P12ihipStream_tbEUlT_E0_NS1_11comp_targetILNS1_3genE9ELNS1_11target_archE1100ELNS1_3gpuE3ELNS1_3repE0EEENS1_30default_config_static_selectorELNS0_4arch9wavefront6targetE0EEEvS11_
                                        ; -- End function
	.set _ZN7rocprim17ROCPRIM_400000_NS6detail17trampoline_kernelINS0_14default_configENS1_21merge_config_selectorINS0_5tupleIJddEEENS0_10empty_typeEEEZNS1_10merge_implIS3_NS0_12zip_iteratorINS5_IJN6thrust23THRUST_200600_302600_NS6detail15normal_iteratorINSC_10device_ptrIKdEEEESI_EEEEESK_NSA_INS5_IJNSC_16discard_iteratorINSC_11use_defaultEEESN_EEEEEPS7_SQ_SQ_NSC_11hip_rocprim7__merge17predicate_wrapperIddNSC_4lessIdEEEEEE10hipError_tPvRmT0_T1_T2_T3_T4_T5_mmT6_P12ihipStream_tbEUlT_E0_NS1_11comp_targetILNS1_3genE9ELNS1_11target_archE1100ELNS1_3gpuE3ELNS1_3repE0EEENS1_30default_config_static_selectorELNS0_4arch9wavefront6targetE0EEEvS11_.num_vgpr, 0
	.set _ZN7rocprim17ROCPRIM_400000_NS6detail17trampoline_kernelINS0_14default_configENS1_21merge_config_selectorINS0_5tupleIJddEEENS0_10empty_typeEEEZNS1_10merge_implIS3_NS0_12zip_iteratorINS5_IJN6thrust23THRUST_200600_302600_NS6detail15normal_iteratorINSC_10device_ptrIKdEEEESI_EEEEESK_NSA_INS5_IJNSC_16discard_iteratorINSC_11use_defaultEEESN_EEEEEPS7_SQ_SQ_NSC_11hip_rocprim7__merge17predicate_wrapperIddNSC_4lessIdEEEEEE10hipError_tPvRmT0_T1_T2_T3_T4_T5_mmT6_P12ihipStream_tbEUlT_E0_NS1_11comp_targetILNS1_3genE9ELNS1_11target_archE1100ELNS1_3gpuE3ELNS1_3repE0EEENS1_30default_config_static_selectorELNS0_4arch9wavefront6targetE0EEEvS11_.num_agpr, 0
	.set _ZN7rocprim17ROCPRIM_400000_NS6detail17trampoline_kernelINS0_14default_configENS1_21merge_config_selectorINS0_5tupleIJddEEENS0_10empty_typeEEEZNS1_10merge_implIS3_NS0_12zip_iteratorINS5_IJN6thrust23THRUST_200600_302600_NS6detail15normal_iteratorINSC_10device_ptrIKdEEEESI_EEEEESK_NSA_INS5_IJNSC_16discard_iteratorINSC_11use_defaultEEESN_EEEEEPS7_SQ_SQ_NSC_11hip_rocprim7__merge17predicate_wrapperIddNSC_4lessIdEEEEEE10hipError_tPvRmT0_T1_T2_T3_T4_T5_mmT6_P12ihipStream_tbEUlT_E0_NS1_11comp_targetILNS1_3genE9ELNS1_11target_archE1100ELNS1_3gpuE3ELNS1_3repE0EEENS1_30default_config_static_selectorELNS0_4arch9wavefront6targetE0EEEvS11_.numbered_sgpr, 0
	.set _ZN7rocprim17ROCPRIM_400000_NS6detail17trampoline_kernelINS0_14default_configENS1_21merge_config_selectorINS0_5tupleIJddEEENS0_10empty_typeEEEZNS1_10merge_implIS3_NS0_12zip_iteratorINS5_IJN6thrust23THRUST_200600_302600_NS6detail15normal_iteratorINSC_10device_ptrIKdEEEESI_EEEEESK_NSA_INS5_IJNSC_16discard_iteratorINSC_11use_defaultEEESN_EEEEEPS7_SQ_SQ_NSC_11hip_rocprim7__merge17predicate_wrapperIddNSC_4lessIdEEEEEE10hipError_tPvRmT0_T1_T2_T3_T4_T5_mmT6_P12ihipStream_tbEUlT_E0_NS1_11comp_targetILNS1_3genE9ELNS1_11target_archE1100ELNS1_3gpuE3ELNS1_3repE0EEENS1_30default_config_static_selectorELNS0_4arch9wavefront6targetE0EEEvS11_.num_named_barrier, 0
	.set _ZN7rocprim17ROCPRIM_400000_NS6detail17trampoline_kernelINS0_14default_configENS1_21merge_config_selectorINS0_5tupleIJddEEENS0_10empty_typeEEEZNS1_10merge_implIS3_NS0_12zip_iteratorINS5_IJN6thrust23THRUST_200600_302600_NS6detail15normal_iteratorINSC_10device_ptrIKdEEEESI_EEEEESK_NSA_INS5_IJNSC_16discard_iteratorINSC_11use_defaultEEESN_EEEEEPS7_SQ_SQ_NSC_11hip_rocprim7__merge17predicate_wrapperIddNSC_4lessIdEEEEEE10hipError_tPvRmT0_T1_T2_T3_T4_T5_mmT6_P12ihipStream_tbEUlT_E0_NS1_11comp_targetILNS1_3genE9ELNS1_11target_archE1100ELNS1_3gpuE3ELNS1_3repE0EEENS1_30default_config_static_selectorELNS0_4arch9wavefront6targetE0EEEvS11_.private_seg_size, 0
	.set _ZN7rocprim17ROCPRIM_400000_NS6detail17trampoline_kernelINS0_14default_configENS1_21merge_config_selectorINS0_5tupleIJddEEENS0_10empty_typeEEEZNS1_10merge_implIS3_NS0_12zip_iteratorINS5_IJN6thrust23THRUST_200600_302600_NS6detail15normal_iteratorINSC_10device_ptrIKdEEEESI_EEEEESK_NSA_INS5_IJNSC_16discard_iteratorINSC_11use_defaultEEESN_EEEEEPS7_SQ_SQ_NSC_11hip_rocprim7__merge17predicate_wrapperIddNSC_4lessIdEEEEEE10hipError_tPvRmT0_T1_T2_T3_T4_T5_mmT6_P12ihipStream_tbEUlT_E0_NS1_11comp_targetILNS1_3genE9ELNS1_11target_archE1100ELNS1_3gpuE3ELNS1_3repE0EEENS1_30default_config_static_selectorELNS0_4arch9wavefront6targetE0EEEvS11_.uses_vcc, 0
	.set _ZN7rocprim17ROCPRIM_400000_NS6detail17trampoline_kernelINS0_14default_configENS1_21merge_config_selectorINS0_5tupleIJddEEENS0_10empty_typeEEEZNS1_10merge_implIS3_NS0_12zip_iteratorINS5_IJN6thrust23THRUST_200600_302600_NS6detail15normal_iteratorINSC_10device_ptrIKdEEEESI_EEEEESK_NSA_INS5_IJNSC_16discard_iteratorINSC_11use_defaultEEESN_EEEEEPS7_SQ_SQ_NSC_11hip_rocprim7__merge17predicate_wrapperIddNSC_4lessIdEEEEEE10hipError_tPvRmT0_T1_T2_T3_T4_T5_mmT6_P12ihipStream_tbEUlT_E0_NS1_11comp_targetILNS1_3genE9ELNS1_11target_archE1100ELNS1_3gpuE3ELNS1_3repE0EEENS1_30default_config_static_selectorELNS0_4arch9wavefront6targetE0EEEvS11_.uses_flat_scratch, 0
	.set _ZN7rocprim17ROCPRIM_400000_NS6detail17trampoline_kernelINS0_14default_configENS1_21merge_config_selectorINS0_5tupleIJddEEENS0_10empty_typeEEEZNS1_10merge_implIS3_NS0_12zip_iteratorINS5_IJN6thrust23THRUST_200600_302600_NS6detail15normal_iteratorINSC_10device_ptrIKdEEEESI_EEEEESK_NSA_INS5_IJNSC_16discard_iteratorINSC_11use_defaultEEESN_EEEEEPS7_SQ_SQ_NSC_11hip_rocprim7__merge17predicate_wrapperIddNSC_4lessIdEEEEEE10hipError_tPvRmT0_T1_T2_T3_T4_T5_mmT6_P12ihipStream_tbEUlT_E0_NS1_11comp_targetILNS1_3genE9ELNS1_11target_archE1100ELNS1_3gpuE3ELNS1_3repE0EEENS1_30default_config_static_selectorELNS0_4arch9wavefront6targetE0EEEvS11_.has_dyn_sized_stack, 0
	.set _ZN7rocprim17ROCPRIM_400000_NS6detail17trampoline_kernelINS0_14default_configENS1_21merge_config_selectorINS0_5tupleIJddEEENS0_10empty_typeEEEZNS1_10merge_implIS3_NS0_12zip_iteratorINS5_IJN6thrust23THRUST_200600_302600_NS6detail15normal_iteratorINSC_10device_ptrIKdEEEESI_EEEEESK_NSA_INS5_IJNSC_16discard_iteratorINSC_11use_defaultEEESN_EEEEEPS7_SQ_SQ_NSC_11hip_rocprim7__merge17predicate_wrapperIddNSC_4lessIdEEEEEE10hipError_tPvRmT0_T1_T2_T3_T4_T5_mmT6_P12ihipStream_tbEUlT_E0_NS1_11comp_targetILNS1_3genE9ELNS1_11target_archE1100ELNS1_3gpuE3ELNS1_3repE0EEENS1_30default_config_static_selectorELNS0_4arch9wavefront6targetE0EEEvS11_.has_recursion, 0
	.set _ZN7rocprim17ROCPRIM_400000_NS6detail17trampoline_kernelINS0_14default_configENS1_21merge_config_selectorINS0_5tupleIJddEEENS0_10empty_typeEEEZNS1_10merge_implIS3_NS0_12zip_iteratorINS5_IJN6thrust23THRUST_200600_302600_NS6detail15normal_iteratorINSC_10device_ptrIKdEEEESI_EEEEESK_NSA_INS5_IJNSC_16discard_iteratorINSC_11use_defaultEEESN_EEEEEPS7_SQ_SQ_NSC_11hip_rocprim7__merge17predicate_wrapperIddNSC_4lessIdEEEEEE10hipError_tPvRmT0_T1_T2_T3_T4_T5_mmT6_P12ihipStream_tbEUlT_E0_NS1_11comp_targetILNS1_3genE9ELNS1_11target_archE1100ELNS1_3gpuE3ELNS1_3repE0EEENS1_30default_config_static_selectorELNS0_4arch9wavefront6targetE0EEEvS11_.has_indirect_call, 0
	.section	.AMDGPU.csdata,"",@progbits
; Kernel info:
; codeLenInByte = 0
; TotalNumSgprs: 0
; NumVgprs: 0
; ScratchSize: 0
; MemoryBound: 0
; FloatMode: 240
; IeeeMode: 1
; LDSByteSize: 0 bytes/workgroup (compile time only)
; SGPRBlocks: 0
; VGPRBlocks: 0
; NumSGPRsForWavesPerEU: 1
; NumVGPRsForWavesPerEU: 1
; Occupancy: 16
; WaveLimiterHint : 0
; COMPUTE_PGM_RSRC2:SCRATCH_EN: 0
; COMPUTE_PGM_RSRC2:USER_SGPR: 6
; COMPUTE_PGM_RSRC2:TRAP_HANDLER: 0
; COMPUTE_PGM_RSRC2:TGID_X_EN: 1
; COMPUTE_PGM_RSRC2:TGID_Y_EN: 0
; COMPUTE_PGM_RSRC2:TGID_Z_EN: 0
; COMPUTE_PGM_RSRC2:TIDIG_COMP_CNT: 0
	.section	.text._ZN7rocprim17ROCPRIM_400000_NS6detail17trampoline_kernelINS0_14default_configENS1_21merge_config_selectorINS0_5tupleIJddEEENS0_10empty_typeEEEZNS1_10merge_implIS3_NS0_12zip_iteratorINS5_IJN6thrust23THRUST_200600_302600_NS6detail15normal_iteratorINSC_10device_ptrIKdEEEESI_EEEEESK_NSA_INS5_IJNSC_16discard_iteratorINSC_11use_defaultEEESN_EEEEEPS7_SQ_SQ_NSC_11hip_rocprim7__merge17predicate_wrapperIddNSC_4lessIdEEEEEE10hipError_tPvRmT0_T1_T2_T3_T4_T5_mmT6_P12ihipStream_tbEUlT_E0_NS1_11comp_targetILNS1_3genE8ELNS1_11target_archE1030ELNS1_3gpuE2ELNS1_3repE0EEENS1_30default_config_static_selectorELNS0_4arch9wavefront6targetE0EEEvS11_,"axG",@progbits,_ZN7rocprim17ROCPRIM_400000_NS6detail17trampoline_kernelINS0_14default_configENS1_21merge_config_selectorINS0_5tupleIJddEEENS0_10empty_typeEEEZNS1_10merge_implIS3_NS0_12zip_iteratorINS5_IJN6thrust23THRUST_200600_302600_NS6detail15normal_iteratorINSC_10device_ptrIKdEEEESI_EEEEESK_NSA_INS5_IJNSC_16discard_iteratorINSC_11use_defaultEEESN_EEEEEPS7_SQ_SQ_NSC_11hip_rocprim7__merge17predicate_wrapperIddNSC_4lessIdEEEEEE10hipError_tPvRmT0_T1_T2_T3_T4_T5_mmT6_P12ihipStream_tbEUlT_E0_NS1_11comp_targetILNS1_3genE8ELNS1_11target_archE1030ELNS1_3gpuE2ELNS1_3repE0EEENS1_30default_config_static_selectorELNS0_4arch9wavefront6targetE0EEEvS11_,comdat
	.protected	_ZN7rocprim17ROCPRIM_400000_NS6detail17trampoline_kernelINS0_14default_configENS1_21merge_config_selectorINS0_5tupleIJddEEENS0_10empty_typeEEEZNS1_10merge_implIS3_NS0_12zip_iteratorINS5_IJN6thrust23THRUST_200600_302600_NS6detail15normal_iteratorINSC_10device_ptrIKdEEEESI_EEEEESK_NSA_INS5_IJNSC_16discard_iteratorINSC_11use_defaultEEESN_EEEEEPS7_SQ_SQ_NSC_11hip_rocprim7__merge17predicate_wrapperIddNSC_4lessIdEEEEEE10hipError_tPvRmT0_T1_T2_T3_T4_T5_mmT6_P12ihipStream_tbEUlT_E0_NS1_11comp_targetILNS1_3genE8ELNS1_11target_archE1030ELNS1_3gpuE2ELNS1_3repE0EEENS1_30default_config_static_selectorELNS0_4arch9wavefront6targetE0EEEvS11_ ; -- Begin function _ZN7rocprim17ROCPRIM_400000_NS6detail17trampoline_kernelINS0_14default_configENS1_21merge_config_selectorINS0_5tupleIJddEEENS0_10empty_typeEEEZNS1_10merge_implIS3_NS0_12zip_iteratorINS5_IJN6thrust23THRUST_200600_302600_NS6detail15normal_iteratorINSC_10device_ptrIKdEEEESI_EEEEESK_NSA_INS5_IJNSC_16discard_iteratorINSC_11use_defaultEEESN_EEEEEPS7_SQ_SQ_NSC_11hip_rocprim7__merge17predicate_wrapperIddNSC_4lessIdEEEEEE10hipError_tPvRmT0_T1_T2_T3_T4_T5_mmT6_P12ihipStream_tbEUlT_E0_NS1_11comp_targetILNS1_3genE8ELNS1_11target_archE1030ELNS1_3gpuE2ELNS1_3repE0EEENS1_30default_config_static_selectorELNS0_4arch9wavefront6targetE0EEEvS11_
	.globl	_ZN7rocprim17ROCPRIM_400000_NS6detail17trampoline_kernelINS0_14default_configENS1_21merge_config_selectorINS0_5tupleIJddEEENS0_10empty_typeEEEZNS1_10merge_implIS3_NS0_12zip_iteratorINS5_IJN6thrust23THRUST_200600_302600_NS6detail15normal_iteratorINSC_10device_ptrIKdEEEESI_EEEEESK_NSA_INS5_IJNSC_16discard_iteratorINSC_11use_defaultEEESN_EEEEEPS7_SQ_SQ_NSC_11hip_rocprim7__merge17predicate_wrapperIddNSC_4lessIdEEEEEE10hipError_tPvRmT0_T1_T2_T3_T4_T5_mmT6_P12ihipStream_tbEUlT_E0_NS1_11comp_targetILNS1_3genE8ELNS1_11target_archE1030ELNS1_3gpuE2ELNS1_3repE0EEENS1_30default_config_static_selectorELNS0_4arch9wavefront6targetE0EEEvS11_
	.p2align	8
	.type	_ZN7rocprim17ROCPRIM_400000_NS6detail17trampoline_kernelINS0_14default_configENS1_21merge_config_selectorINS0_5tupleIJddEEENS0_10empty_typeEEEZNS1_10merge_implIS3_NS0_12zip_iteratorINS5_IJN6thrust23THRUST_200600_302600_NS6detail15normal_iteratorINSC_10device_ptrIKdEEEESI_EEEEESK_NSA_INS5_IJNSC_16discard_iteratorINSC_11use_defaultEEESN_EEEEEPS7_SQ_SQ_NSC_11hip_rocprim7__merge17predicate_wrapperIddNSC_4lessIdEEEEEE10hipError_tPvRmT0_T1_T2_T3_T4_T5_mmT6_P12ihipStream_tbEUlT_E0_NS1_11comp_targetILNS1_3genE8ELNS1_11target_archE1030ELNS1_3gpuE2ELNS1_3repE0EEENS1_30default_config_static_selectorELNS0_4arch9wavefront6targetE0EEEvS11_,@function
_ZN7rocprim17ROCPRIM_400000_NS6detail17trampoline_kernelINS0_14default_configENS1_21merge_config_selectorINS0_5tupleIJddEEENS0_10empty_typeEEEZNS1_10merge_implIS3_NS0_12zip_iteratorINS5_IJN6thrust23THRUST_200600_302600_NS6detail15normal_iteratorINSC_10device_ptrIKdEEEESI_EEEEESK_NSA_INS5_IJNSC_16discard_iteratorINSC_11use_defaultEEESN_EEEEEPS7_SQ_SQ_NSC_11hip_rocprim7__merge17predicate_wrapperIddNSC_4lessIdEEEEEE10hipError_tPvRmT0_T1_T2_T3_T4_T5_mmT6_P12ihipStream_tbEUlT_E0_NS1_11comp_targetILNS1_3genE8ELNS1_11target_archE1030ELNS1_3gpuE2ELNS1_3repE0EEENS1_30default_config_static_selectorELNS0_4arch9wavefront6targetE0EEEvS11_: ; @_ZN7rocprim17ROCPRIM_400000_NS6detail17trampoline_kernelINS0_14default_configENS1_21merge_config_selectorINS0_5tupleIJddEEENS0_10empty_typeEEEZNS1_10merge_implIS3_NS0_12zip_iteratorINS5_IJN6thrust23THRUST_200600_302600_NS6detail15normal_iteratorINSC_10device_ptrIKdEEEESI_EEEEESK_NSA_INS5_IJNSC_16discard_iteratorINSC_11use_defaultEEESN_EEEEEPS7_SQ_SQ_NSC_11hip_rocprim7__merge17predicate_wrapperIddNSC_4lessIdEEEEEE10hipError_tPvRmT0_T1_T2_T3_T4_T5_mmT6_P12ihipStream_tbEUlT_E0_NS1_11comp_targetILNS1_3genE8ELNS1_11target_archE1030ELNS1_3gpuE2ELNS1_3repE0EEENS1_30default_config_static_selectorELNS0_4arch9wavefront6targetE0EEEvS11_
; %bb.0:
	s_clause 0x2
	s_load_dwordx4 s[0:3], s[4:5], 0x68
	s_load_dwordx8 s[8:15], s[4:5], 0x8
	s_load_dwordx2 s[20:21], s[4:5], 0x28
	s_lshl_b32 s17, s6, 11
	s_mov_b32 s19, 0
	v_mov_b32_e32 v1, 0
	s_waitcnt lgkmcnt(0)
	s_add_i32 s16, s2, s0
	s_add_i32 s0, s16, 0x7ff
	s_lshr_b32 s0, s0, 11
	s_min_u32 s1, s6, s0
	s_lshl_b32 s1, s1, 2
	s_load_dword s18, s[8:9], s1 offset:0x0
	s_add_i32 s1, s6, 1
	s_min_u32 s0, s1, s0
	s_lshl_b32 s0, s0, 2
	s_load_dword s22, s[8:9], s0 offset:0x0
	s_add_i32 s0, s17, 0x800
	s_mov_b32 s9, s19
	s_min_u32 s23, s16, s0
	s_waitcnt lgkmcnt(0)
	s_lshl_b64 s[2:3], s[18:19], 3
	s_sub_i32 s8, s17, s18
	s_add_u32 s0, s10, s2
	s_addc_u32 s1, s11, s3
	s_add_u32 s2, s12, s2
	s_addc_u32 s3, s13, s3
	s_lshl_b64 s[6:7], s[8:9], 3
	s_mov_b32 s12, exec_lo
	s_add_u32 s4, s14, s6
	s_addc_u32 s5, s15, s7
	s_add_u32 s6, s20, s6
	s_addc_u32 s7, s21, s7
	s_add_i32 s8, s8, s22
	s_sub_i32 s10, s22, s18
	s_sub_i32 s11, s23, s8
	s_add_u32 s8, s11, s10
	s_addc_u32 s9, 0, 0
	v_cmpx_le_u32_e64 s10, v0
	s_xor_b32 s12, exec_lo, s12
	s_cbranch_execz .LBB496_4
; %bb.1:
	s_mov_b32 s13, exec_lo
	v_cmpx_gt_u64_e64 s[8:9], v[0:1]
	s_cbranch_execz .LBB496_3
; %bb.2:
	v_subrev_nc_u32_e32 v1, s10, v0
	v_lshlrev_b32_e32 v5, 4, v0
	v_lshlrev_b32_e32 v3, 3, v1
	s_clause 0x1
	global_load_dwordx2 v[1:2], v3, s[4:5]
	global_load_dwordx2 v[3:4], v3, s[6:7]
	s_waitcnt vmcnt(0)
	ds_write_b128 v5, v[1:4]
.LBB496_3:
	s_or_b32 exec_lo, exec_lo, s13
.LBB496_4:
	s_or_saveexec_b32 s12, s12
	v_lshlrev_b32_e32 v33, 3, v0
	v_lshlrev_b32_e32 v3, 4, v0
	s_xor_b32 exec_lo, exec_lo, s12
	s_cbranch_execz .LBB496_6
; %bb.5:
	s_clause 0x1
	global_load_dwordx2 v[4:5], v33, s[0:1]
	global_load_dwordx2 v[6:7], v33, s[2:3]
	s_waitcnt vmcnt(0)
	ds_write_b128 v3, v[4:7]
.LBB496_6:
	s_or_b32 exec_lo, exec_lo, s12
	v_or_b32_e32 v1, 0x100, v0
	v_mov_b32_e32 v2, 0
	s_mov_b32 s12, exec_lo
	v_cmpx_le_u32_e64 s10, v1
	s_xor_b32 s12, exec_lo, s12
	s_cbranch_execz .LBB496_10
; %bb.7:
	s_mov_b32 s13, exec_lo
	v_cmpx_gt_u64_e64 s[8:9], v[1:2]
	s_cbranch_execz .LBB496_9
; %bb.8:
	v_subrev_nc_u32_e32 v1, s10, v1
	v_lshlrev_b32_e32 v1, 3, v1
	s_clause 0x1
	global_load_dwordx2 v[4:5], v1, s[4:5]
	global_load_dwordx2 v[6:7], v1, s[6:7]
	s_waitcnt vmcnt(0)
	ds_write_b128 v3, v[4:7] offset:4096
.LBB496_9:
	s_or_b32 exec_lo, exec_lo, s13
                                        ; implicit-def: $vgpr1_vgpr2
.LBB496_10:
	s_andn2_saveexec_b32 s12, s12
	s_cbranch_execz .LBB496_12
; %bb.11:
	v_lshlrev_b32_e32 v1, 3, v1
	s_clause 0x1
	global_load_dwordx2 v[4:5], v1, s[0:1]
	global_load_dwordx2 v[6:7], v1, s[2:3]
	s_waitcnt vmcnt(0)
	ds_write_b128 v3, v[4:7] offset:4096
.LBB496_12:
	s_or_b32 exec_lo, exec_lo, s12
	v_or_b32_e32 v1, 0x200, v0
	v_mov_b32_e32 v2, 0
	s_mov_b32 s12, exec_lo
	v_cmpx_le_u32_e64 s10, v1
	s_xor_b32 s12, exec_lo, s12
	s_cbranch_execz .LBB496_16
; %bb.13:
	s_mov_b32 s13, exec_lo
	v_cmpx_gt_u64_e64 s[8:9], v[1:2]
	s_cbranch_execz .LBB496_15
; %bb.14:
	v_subrev_nc_u32_e32 v1, s10, v1
	v_lshlrev_b32_e32 v1, 3, v1
	s_clause 0x1
	global_load_dwordx2 v[4:5], v1, s[4:5]
	global_load_dwordx2 v[6:7], v1, s[6:7]
	s_waitcnt vmcnt(0)
	ds_write_b128 v3, v[4:7] offset:8192
.LBB496_15:
	s_or_b32 exec_lo, exec_lo, s13
                                        ; implicit-def: $vgpr1_vgpr2
.LBB496_16:
	s_andn2_saveexec_b32 s12, s12
	s_cbranch_execz .LBB496_18
; %bb.17:
	v_lshlrev_b32_e32 v1, 3, v1
	s_clause 0x1
	global_load_dwordx2 v[4:5], v1, s[0:1]
	global_load_dwordx2 v[6:7], v1, s[2:3]
	s_waitcnt vmcnt(0)
	ds_write_b128 v3, v[4:7] offset:8192
.LBB496_18:
	;; [unrolled: 33-line block ×6, first 2 shown]
	s_or_b32 exec_lo, exec_lo, s12
	v_or_b32_e32 v1, 0x700, v0
	v_mov_b32_e32 v2, 0
	s_mov_b32 s12, exec_lo
	v_cmpx_le_u32_e64 s10, v1
	s_xor_b32 s12, exec_lo, s12
	s_cbranch_execz .LBB496_46
; %bb.43:
	v_cmp_gt_u64_e32 vcc_lo, s[8:9], v[1:2]
	s_and_saveexec_b32 s8, vcc_lo
	s_cbranch_execz .LBB496_45
; %bb.44:
	v_subrev_nc_u32_e32 v1, s10, v1
	v_lshlrev_b32_e32 v1, 3, v1
	s_clause 0x1
	global_load_dwordx2 v[4:5], v1, s[4:5]
	global_load_dwordx2 v[6:7], v1, s[6:7]
	s_waitcnt vmcnt(0)
	ds_write_b128 v3, v[4:7] offset:28672
.LBB496_45:
	s_or_b32 exec_lo, exec_lo, s8
                                        ; implicit-def: $vgpr1_vgpr2
                                        ; implicit-def: $vgpr3
.LBB496_46:
	s_andn2_saveexec_b32 s4, s12
	s_cbranch_execz .LBB496_48
; %bb.47:
	v_lshlrev_b32_e32 v1, 3, v1
	s_clause 0x1
	global_load_dwordx2 v[4:5], v1, s[0:1]
	global_load_dwordx2 v[6:7], v1, s[2:3]
	s_waitcnt vmcnt(0)
	ds_write_b128 v3, v[4:7] offset:28672
.LBB496_48:
	s_or_b32 exec_lo, exec_lo, s4
	v_sub_nc_u32_e64 v34, v33, s11 clamp
	v_min_u32_e32 v1, s10, v33
	s_mov_b32 s0, exec_lo
	s_waitcnt lgkmcnt(0)
	s_barrier
	buffer_gl0_inv
	v_cmpx_lt_u32_e64 v34, v1
	s_cbranch_execz .LBB496_52
; %bb.49:
	v_lshlrev_b32_e32 v2, 4, v33
	s_mov_b32 s1, 0
	v_lshl_add_u32 v2, s10, 4, v2
	.p2align	6
.LBB496_50:                             ; =>This Inner Loop Header: Depth=1
	v_add_nc_u32_e32 v3, v1, v34
	v_lshrrev_b32_e32 v7, 1, v3
	v_not_b32_e32 v3, v7
	v_lshlrev_b32_e32 v4, 4, v7
	v_lshl_add_u32 v5, v3, 4, v2
	ds_read_b64 v[3:4], v4
	ds_read_b64 v[5:6], v5
	s_waitcnt lgkmcnt(0)
	v_cmp_lt_f64_e32 vcc_lo, v[5:6], v[3:4]
	v_add_nc_u32_e32 v3, 1, v7
	v_cndmask_b32_e32 v1, v1, v7, vcc_lo
	v_cndmask_b32_e32 v34, v3, v34, vcc_lo
	v_cmp_ge_u32_e32 vcc_lo, v34, v1
	s_or_b32 s1, vcc_lo, s1
	s_andn2_b32 exec_lo, exec_lo, s1
	s_cbranch_execnz .LBB496_50
; %bb.51:
	s_or_b32 exec_lo, exec_lo, s1
.LBB496_52:
	s_or_b32 exec_lo, exec_lo, s0
	v_add_nc_u32_e32 v1, s10, v33
	s_add_i32 s11, s11, s10
	v_cmp_ge_u32_e32 vcc_lo, s10, v34
	v_mov_b32_e32 v11, 0
	v_mov_b32_e32 v3, 0
	v_sub_nc_u32_e32 v35, v1, v34
	v_mov_b32_e32 v7, 0
	v_mov_b32_e32 v15, 0
	;; [unrolled: 1-line block ×4, first 2 shown]
	v_cmp_ge_u32_e64 s0, s11, v35
	v_mov_b32_e32 v27, 0
	v_mov_b32_e32 v31, 0
	;; [unrolled: 1-line block ×26, first 2 shown]
	s_or_b32 s0, vcc_lo, s0
	s_and_saveexec_b32 s8, s0
	s_cbranch_execz .LBB496_58
; %bb.53:
	v_mov_b32_e32 v7, 0
	v_mov_b32_e32 v3, 0
	;; [unrolled: 1-line block ×6, first 2 shown]
	v_cmp_gt_u32_e32 vcc_lo, s10, v34
	s_and_saveexec_b32 s0, vcc_lo
; %bb.54:
	v_lshlrev_b32_e32 v1, 4, v34
	ds_read_b128 v[1:4], v1
; %bb.55:
	s_or_b32 exec_lo, exec_lo, s0
	v_mov_b32_e32 v5, 0
	v_cmp_le_u32_e64 s0, s11, v35
	v_mov_b32_e32 v6, 0
	s_mov_b32 s2, exec_lo
	v_cmpx_gt_u32_e64 s11, v35
; %bb.56:
	v_lshlrev_b32_e32 v5, 4, v35
	ds_read_b128 v[5:8], v5
; %bb.57:
	s_or_b32 exec_lo, exec_lo, s2
	s_waitcnt lgkmcnt(0)
	v_cmp_nlt_f64_e64 s1, v[5:6], v[1:2]
	v_mov_b32_e32 v9, s10
	s_and_b32 s1, vcc_lo, s1
	s_or_b32 vcc_lo, s0, s1
	v_cndmask_b32_e32 v10, v35, v34, vcc_lo
	v_cndmask_b32_e32 v11, s11, v9, vcc_lo
	v_add_nc_u32_e32 v10, 1, v10
	v_add_nc_u32_e32 v11, -1, v11
	v_min_u32_e32 v11, v10, v11
	v_lshlrev_b32_e32 v11, 4, v11
	ds_read_b128 v[11:14], v11
	s_waitcnt lgkmcnt(0)
	v_cndmask_b32_e32 v32, v12, v6, vcc_lo
	v_cndmask_b32_e32 v31, v11, v5, vcc_lo
	v_cndmask_b32_e32 v39, v2, v12, vcc_lo
	v_cndmask_b32_e32 v38, v1, v11, vcc_lo
	v_cndmask_b32_e32 v11, v34, v10, vcc_lo
	v_cndmask_b32_e32 v10, v10, v35, vcc_lo
	v_cmp_nlt_f64_e64 s0, v[31:32], v[38:39]
	v_cmp_gt_u32_e64 s1, s10, v11
	v_cmp_le_u32_e64 s2, s11, v10
	s_and_b32 s0, s1, s0
	s_or_b32 s0, s2, s0
	v_cndmask_b32_e64 v12, v10, v11, s0
	v_cndmask_b32_e64 v15, s11, v9, s0
	v_add_nc_u32_e32 v12, 1, v12
	v_add_nc_u32_e32 v15, -1, v15
	v_cndmask_b32_e64 v11, v11, v12, s0
	v_min_u32_e32 v15, v12, v15
	v_cndmask_b32_e64 v10, v12, v10, s0
	v_cmp_gt_u32_e64 s2, s10, v11
	v_lshlrev_b32_e32 v15, 4, v15
	v_cmp_le_u32_e64 s3, s11, v10
	ds_read_b128 v[15:18], v15
	s_waitcnt lgkmcnt(0)
	v_cndmask_b32_e64 v43, v16, v32, s0
	v_cndmask_b32_e64 v42, v15, v31, s0
	v_cndmask_b32_e64 v16, v39, v16, s0
	v_cndmask_b32_e64 v15, v38, v15, s0
	v_cmp_nlt_f64_e64 s1, v[42:43], v[15:16]
	s_and_b32 s1, s2, s1
	s_or_b32 s1, s3, s1
	v_cndmask_b32_e64 v12, v10, v11, s1
	v_cndmask_b32_e64 v19, s11, v9, s1
	v_add_nc_u32_e32 v12, 1, v12
	v_add_nc_u32_e32 v19, -1, v19
	v_cndmask_b32_e64 v11, v11, v12, s1
	v_min_u32_e32 v19, v12, v19
	v_cndmask_b32_e64 v10, v12, v10, s1
	v_cmp_gt_u32_e64 s3, s10, v11
	v_lshlrev_b32_e32 v19, 4, v19
	v_cmp_le_u32_e64 s4, s11, v10
	ds_read_b128 v[19:22], v19
	s_waitcnt lgkmcnt(0)
	v_cndmask_b32_e64 v45, v20, v43, s1
	v_cndmask_b32_e64 v44, v19, v42, s1
	v_cndmask_b32_e64 v20, v16, v20, s1
	v_cndmask_b32_e64 v19, v15, v19, s1
	v_cmp_nlt_f64_e64 s2, v[44:45], v[19:20]
	;; [unrolled: 19-line block ×4, first 2 shown]
	s_and_b32 s4, s5, s4
	s_or_b32 s4, s6, s4
	v_cndmask_b32_e64 v12, v10, v11, s4
	v_cndmask_b32_e64 v34, s11, v9, s4
	v_add_nc_u32_e32 v12, 1, v12
	v_add_nc_u32_e32 v34, -1, v34
	v_cndmask_b32_e64 v52, v11, v12, s4
	v_min_u32_e32 v34, v12, v34
	v_cndmask_b32_e64 v53, v12, v10, s4
	v_cndmask_b32_e32 v10, v6, v2, vcc_lo
	v_cndmask_b32_e32 v12, v8, v4, vcc_lo
	v_cmp_gt_u32_e64 s6, s10, v52
	v_lshlrev_b32_e32 v34, 4, v34
	v_cmp_le_u32_e64 s7, s11, v53
	v_cndmask_b32_e32 v6, v14, v8, vcc_lo
	v_cndmask_b32_e64 v2, v32, v39, s0
	ds_read_b128 v[34:37], v34
	s_waitcnt lgkmcnt(0)
	v_cndmask_b32_e64 v51, v35, v49, s4
	v_cndmask_b32_e64 v50, v34, v48, s4
	;; [unrolled: 1-line block ×4, first 2 shown]
	v_cmp_nlt_f64_e64 s5, v[50:51], v[34:35]
	s_and_b32 s5, s6, s5
	s_or_b32 s5, s7, s5
	v_cndmask_b32_e64 v11, v53, v52, s5
	v_cndmask_b32_e64 v40, s11, v9, s5
	v_cndmask_b32_e32 v9, v5, v1, vcc_lo
	v_cndmask_b32_e32 v5, v13, v7, vcc_lo
	;; [unrolled: 1-line block ×3, first 2 shown]
	v_add_nc_u32_e32 v54, 1, v11
	v_add_nc_u32_e32 v1, -1, v40
	v_cndmask_b32_e32 v11, v7, v3, vcc_lo
	v_cndmask_b32_e32 v7, v4, v14, vcc_lo
	v_cndmask_b32_e64 v3, v5, v13, s0
	v_cndmask_b32_e64 v14, v17, v5, s0
	v_min_u32_e32 v8, v54, v1
	v_cndmask_b32_e64 v1, v31, v38, s0
	v_cndmask_b32_e64 v4, v6, v7, s0
	;; [unrolled: 1-line block ×4, first 2 shown]
	v_lshlrev_b32_e32 v8, 4, v8
	v_cndmask_b32_e64 v13, v13, v17, s0
	v_cndmask_b32_e64 v17, v21, v14, s1
	;; [unrolled: 1-line block ×4, first 2 shown]
	ds_read_b128 v[38:41], v8
	v_cndmask_b32_e64 v8, v31, v7, s1
	v_cndmask_b32_e64 v21, v13, v21, s1
	;; [unrolled: 1-line block ×19, first 2 shown]
	s_waitcnt lgkmcnt(0)
	v_cndmask_b32_e64 v32, v39, v51, s5
	v_cndmask_b32_e64 v31, v38, v50, s5
	;; [unrolled: 1-line block ×8, first 2 shown]
	v_cmp_nlt_f64_e32 vcc_lo, v[31:32], v[38:39]
	v_cndmask_b32_e64 v20, v42, v22, s3
	v_cndmask_b32_e64 v23, v25, v29, s4
	;; [unrolled: 1-line block ×6, first 2 shown]
	v_cmp_gt_u32_e64 s0, s10, v35
	v_cndmask_b32_e64 v25, v50, v34, s5
	v_cndmask_b32_e64 v34, v40, v42, s5
	v_cmp_le_u32_e64 s1, s11, v36
	v_cndmask_b32_e64 v35, v41, v43, s5
	v_cndmask_b32_e64 v36, v30, v41, s5
	;; [unrolled: 1-line block ×8, first 2 shown]
	s_and_b32 s0, s0, vcc_lo
	s_or_b32 vcc_lo, s1, s0
	v_cndmask_b32_e32 v30, v32, v39, vcc_lo
	v_cndmask_b32_e32 v29, v31, v38, vcc_lo
	v_cndmask_b32_e32 v32, v35, v36, vcc_lo
	v_cndmask_b32_e32 v31, v34, v37, vcc_lo
.LBB496_58:
	s_or_b32 exec_lo, exec_lo, s8
	v_lshlrev_b32_e32 v0, 2, v0
	s_sub_i32 s0, s16, s17
	s_cmpk_gt_u32 s0, 0x7ff
	s_mov_b32 s0, -1
	v_and_b32_e32 v0, 0x3f0, v0
	s_barrier
	buffer_gl0_inv
	v_lshl_add_u32 v0, v33, 4, v0
	ds_write_b128 v0, v[9:12]
	ds_write_b128 v0, v[1:4] offset:16
	ds_write_b128 v0, v[5:8] offset:32
	;; [unrolled: 1-line block ×7, first 2 shown]
	s_waitcnt lgkmcnt(0)
	s_cbranch_scc1 .LBB496_61
; %bb.59:
	s_andn2_b32 vcc_lo, exec_lo, s0
	s_cbranch_vccz .LBB496_62
.LBB496_60:
	buffer_gl0_inv
	s_endpgm
.LBB496_61:
	s_barrier
	s_cbranch_execnz .LBB496_60
.LBB496_62:
	s_barrier
	buffer_gl0_inv
	s_endpgm
	.section	.rodata,"a",@progbits
	.p2align	6, 0x0
	.amdhsa_kernel _ZN7rocprim17ROCPRIM_400000_NS6detail17trampoline_kernelINS0_14default_configENS1_21merge_config_selectorINS0_5tupleIJddEEENS0_10empty_typeEEEZNS1_10merge_implIS3_NS0_12zip_iteratorINS5_IJN6thrust23THRUST_200600_302600_NS6detail15normal_iteratorINSC_10device_ptrIKdEEEESI_EEEEESK_NSA_INS5_IJNSC_16discard_iteratorINSC_11use_defaultEEESN_EEEEEPS7_SQ_SQ_NSC_11hip_rocprim7__merge17predicate_wrapperIddNSC_4lessIdEEEEEE10hipError_tPvRmT0_T1_T2_T3_T4_T5_mmT6_P12ihipStream_tbEUlT_E0_NS1_11comp_targetILNS1_3genE8ELNS1_11target_archE1030ELNS1_3gpuE2ELNS1_3repE0EEENS1_30default_config_static_selectorELNS0_4arch9wavefront6targetE0EEEvS11_
		.amdhsa_group_segment_fixed_size 33792
		.amdhsa_private_segment_fixed_size 0
		.amdhsa_kernarg_size 128
		.amdhsa_user_sgpr_count 6
		.amdhsa_user_sgpr_private_segment_buffer 1
		.amdhsa_user_sgpr_dispatch_ptr 0
		.amdhsa_user_sgpr_queue_ptr 0
		.amdhsa_user_sgpr_kernarg_segment_ptr 1
		.amdhsa_user_sgpr_dispatch_id 0
		.amdhsa_user_sgpr_flat_scratch_init 0
		.amdhsa_user_sgpr_private_segment_size 0
		.amdhsa_wavefront_size32 1
		.amdhsa_uses_dynamic_stack 0
		.amdhsa_system_sgpr_private_segment_wavefront_offset 0
		.amdhsa_system_sgpr_workgroup_id_x 1
		.amdhsa_system_sgpr_workgroup_id_y 0
		.amdhsa_system_sgpr_workgroup_id_z 0
		.amdhsa_system_sgpr_workgroup_info 0
		.amdhsa_system_vgpr_workitem_id 0
		.amdhsa_next_free_vgpr 145
		.amdhsa_next_free_sgpr 24
		.amdhsa_reserve_vcc 1
		.amdhsa_reserve_flat_scratch 0
		.amdhsa_float_round_mode_32 0
		.amdhsa_float_round_mode_16_64 0
		.amdhsa_float_denorm_mode_32 3
		.amdhsa_float_denorm_mode_16_64 3
		.amdhsa_dx10_clamp 1
		.amdhsa_ieee_mode 1
		.amdhsa_fp16_overflow 0
		.amdhsa_workgroup_processor_mode 1
		.amdhsa_memory_ordered 1
		.amdhsa_forward_progress 1
		.amdhsa_shared_vgpr_count 0
		.amdhsa_exception_fp_ieee_invalid_op 0
		.amdhsa_exception_fp_denorm_src 0
		.amdhsa_exception_fp_ieee_div_zero 0
		.amdhsa_exception_fp_ieee_overflow 0
		.amdhsa_exception_fp_ieee_underflow 0
		.amdhsa_exception_fp_ieee_inexact 0
		.amdhsa_exception_int_div_zero 0
	.end_amdhsa_kernel
	.section	.text._ZN7rocprim17ROCPRIM_400000_NS6detail17trampoline_kernelINS0_14default_configENS1_21merge_config_selectorINS0_5tupleIJddEEENS0_10empty_typeEEEZNS1_10merge_implIS3_NS0_12zip_iteratorINS5_IJN6thrust23THRUST_200600_302600_NS6detail15normal_iteratorINSC_10device_ptrIKdEEEESI_EEEEESK_NSA_INS5_IJNSC_16discard_iteratorINSC_11use_defaultEEESN_EEEEEPS7_SQ_SQ_NSC_11hip_rocprim7__merge17predicate_wrapperIddNSC_4lessIdEEEEEE10hipError_tPvRmT0_T1_T2_T3_T4_T5_mmT6_P12ihipStream_tbEUlT_E0_NS1_11comp_targetILNS1_3genE8ELNS1_11target_archE1030ELNS1_3gpuE2ELNS1_3repE0EEENS1_30default_config_static_selectorELNS0_4arch9wavefront6targetE0EEEvS11_,"axG",@progbits,_ZN7rocprim17ROCPRIM_400000_NS6detail17trampoline_kernelINS0_14default_configENS1_21merge_config_selectorINS0_5tupleIJddEEENS0_10empty_typeEEEZNS1_10merge_implIS3_NS0_12zip_iteratorINS5_IJN6thrust23THRUST_200600_302600_NS6detail15normal_iteratorINSC_10device_ptrIKdEEEESI_EEEEESK_NSA_INS5_IJNSC_16discard_iteratorINSC_11use_defaultEEESN_EEEEEPS7_SQ_SQ_NSC_11hip_rocprim7__merge17predicate_wrapperIddNSC_4lessIdEEEEEE10hipError_tPvRmT0_T1_T2_T3_T4_T5_mmT6_P12ihipStream_tbEUlT_E0_NS1_11comp_targetILNS1_3genE8ELNS1_11target_archE1030ELNS1_3gpuE2ELNS1_3repE0EEENS1_30default_config_static_selectorELNS0_4arch9wavefront6targetE0EEEvS11_,comdat
.Lfunc_end496:
	.size	_ZN7rocprim17ROCPRIM_400000_NS6detail17trampoline_kernelINS0_14default_configENS1_21merge_config_selectorINS0_5tupleIJddEEENS0_10empty_typeEEEZNS1_10merge_implIS3_NS0_12zip_iteratorINS5_IJN6thrust23THRUST_200600_302600_NS6detail15normal_iteratorINSC_10device_ptrIKdEEEESI_EEEEESK_NSA_INS5_IJNSC_16discard_iteratorINSC_11use_defaultEEESN_EEEEEPS7_SQ_SQ_NSC_11hip_rocprim7__merge17predicate_wrapperIddNSC_4lessIdEEEEEE10hipError_tPvRmT0_T1_T2_T3_T4_T5_mmT6_P12ihipStream_tbEUlT_E0_NS1_11comp_targetILNS1_3genE8ELNS1_11target_archE1030ELNS1_3gpuE2ELNS1_3repE0EEENS1_30default_config_static_selectorELNS0_4arch9wavefront6targetE0EEEvS11_, .Lfunc_end496-_ZN7rocprim17ROCPRIM_400000_NS6detail17trampoline_kernelINS0_14default_configENS1_21merge_config_selectorINS0_5tupleIJddEEENS0_10empty_typeEEEZNS1_10merge_implIS3_NS0_12zip_iteratorINS5_IJN6thrust23THRUST_200600_302600_NS6detail15normal_iteratorINSC_10device_ptrIKdEEEESI_EEEEESK_NSA_INS5_IJNSC_16discard_iteratorINSC_11use_defaultEEESN_EEEEEPS7_SQ_SQ_NSC_11hip_rocprim7__merge17predicate_wrapperIddNSC_4lessIdEEEEEE10hipError_tPvRmT0_T1_T2_T3_T4_T5_mmT6_P12ihipStream_tbEUlT_E0_NS1_11comp_targetILNS1_3genE8ELNS1_11target_archE1030ELNS1_3gpuE2ELNS1_3repE0EEENS1_30default_config_static_selectorELNS0_4arch9wavefront6targetE0EEEvS11_
                                        ; -- End function
	.set _ZN7rocprim17ROCPRIM_400000_NS6detail17trampoline_kernelINS0_14default_configENS1_21merge_config_selectorINS0_5tupleIJddEEENS0_10empty_typeEEEZNS1_10merge_implIS3_NS0_12zip_iteratorINS5_IJN6thrust23THRUST_200600_302600_NS6detail15normal_iteratorINSC_10device_ptrIKdEEEESI_EEEEESK_NSA_INS5_IJNSC_16discard_iteratorINSC_11use_defaultEEESN_EEEEEPS7_SQ_SQ_NSC_11hip_rocprim7__merge17predicate_wrapperIddNSC_4lessIdEEEEEE10hipError_tPvRmT0_T1_T2_T3_T4_T5_mmT6_P12ihipStream_tbEUlT_E0_NS1_11comp_targetILNS1_3genE8ELNS1_11target_archE1030ELNS1_3gpuE2ELNS1_3repE0EEENS1_30default_config_static_selectorELNS0_4arch9wavefront6targetE0EEEvS11_.num_vgpr, 55
	.set _ZN7rocprim17ROCPRIM_400000_NS6detail17trampoline_kernelINS0_14default_configENS1_21merge_config_selectorINS0_5tupleIJddEEENS0_10empty_typeEEEZNS1_10merge_implIS3_NS0_12zip_iteratorINS5_IJN6thrust23THRUST_200600_302600_NS6detail15normal_iteratorINSC_10device_ptrIKdEEEESI_EEEEESK_NSA_INS5_IJNSC_16discard_iteratorINSC_11use_defaultEEESN_EEEEEPS7_SQ_SQ_NSC_11hip_rocprim7__merge17predicate_wrapperIddNSC_4lessIdEEEEEE10hipError_tPvRmT0_T1_T2_T3_T4_T5_mmT6_P12ihipStream_tbEUlT_E0_NS1_11comp_targetILNS1_3genE8ELNS1_11target_archE1030ELNS1_3gpuE2ELNS1_3repE0EEENS1_30default_config_static_selectorELNS0_4arch9wavefront6targetE0EEEvS11_.num_agpr, 0
	.set _ZN7rocprim17ROCPRIM_400000_NS6detail17trampoline_kernelINS0_14default_configENS1_21merge_config_selectorINS0_5tupleIJddEEENS0_10empty_typeEEEZNS1_10merge_implIS3_NS0_12zip_iteratorINS5_IJN6thrust23THRUST_200600_302600_NS6detail15normal_iteratorINSC_10device_ptrIKdEEEESI_EEEEESK_NSA_INS5_IJNSC_16discard_iteratorINSC_11use_defaultEEESN_EEEEEPS7_SQ_SQ_NSC_11hip_rocprim7__merge17predicate_wrapperIddNSC_4lessIdEEEEEE10hipError_tPvRmT0_T1_T2_T3_T4_T5_mmT6_P12ihipStream_tbEUlT_E0_NS1_11comp_targetILNS1_3genE8ELNS1_11target_archE1030ELNS1_3gpuE2ELNS1_3repE0EEENS1_30default_config_static_selectorELNS0_4arch9wavefront6targetE0EEEvS11_.numbered_sgpr, 24
	.set _ZN7rocprim17ROCPRIM_400000_NS6detail17trampoline_kernelINS0_14default_configENS1_21merge_config_selectorINS0_5tupleIJddEEENS0_10empty_typeEEEZNS1_10merge_implIS3_NS0_12zip_iteratorINS5_IJN6thrust23THRUST_200600_302600_NS6detail15normal_iteratorINSC_10device_ptrIKdEEEESI_EEEEESK_NSA_INS5_IJNSC_16discard_iteratorINSC_11use_defaultEEESN_EEEEEPS7_SQ_SQ_NSC_11hip_rocprim7__merge17predicate_wrapperIddNSC_4lessIdEEEEEE10hipError_tPvRmT0_T1_T2_T3_T4_T5_mmT6_P12ihipStream_tbEUlT_E0_NS1_11comp_targetILNS1_3genE8ELNS1_11target_archE1030ELNS1_3gpuE2ELNS1_3repE0EEENS1_30default_config_static_selectorELNS0_4arch9wavefront6targetE0EEEvS11_.num_named_barrier, 0
	.set _ZN7rocprim17ROCPRIM_400000_NS6detail17trampoline_kernelINS0_14default_configENS1_21merge_config_selectorINS0_5tupleIJddEEENS0_10empty_typeEEEZNS1_10merge_implIS3_NS0_12zip_iteratorINS5_IJN6thrust23THRUST_200600_302600_NS6detail15normal_iteratorINSC_10device_ptrIKdEEEESI_EEEEESK_NSA_INS5_IJNSC_16discard_iteratorINSC_11use_defaultEEESN_EEEEEPS7_SQ_SQ_NSC_11hip_rocprim7__merge17predicate_wrapperIddNSC_4lessIdEEEEEE10hipError_tPvRmT0_T1_T2_T3_T4_T5_mmT6_P12ihipStream_tbEUlT_E0_NS1_11comp_targetILNS1_3genE8ELNS1_11target_archE1030ELNS1_3gpuE2ELNS1_3repE0EEENS1_30default_config_static_selectorELNS0_4arch9wavefront6targetE0EEEvS11_.private_seg_size, 0
	.set _ZN7rocprim17ROCPRIM_400000_NS6detail17trampoline_kernelINS0_14default_configENS1_21merge_config_selectorINS0_5tupleIJddEEENS0_10empty_typeEEEZNS1_10merge_implIS3_NS0_12zip_iteratorINS5_IJN6thrust23THRUST_200600_302600_NS6detail15normal_iteratorINSC_10device_ptrIKdEEEESI_EEEEESK_NSA_INS5_IJNSC_16discard_iteratorINSC_11use_defaultEEESN_EEEEEPS7_SQ_SQ_NSC_11hip_rocprim7__merge17predicate_wrapperIddNSC_4lessIdEEEEEE10hipError_tPvRmT0_T1_T2_T3_T4_T5_mmT6_P12ihipStream_tbEUlT_E0_NS1_11comp_targetILNS1_3genE8ELNS1_11target_archE1030ELNS1_3gpuE2ELNS1_3repE0EEENS1_30default_config_static_selectorELNS0_4arch9wavefront6targetE0EEEvS11_.uses_vcc, 1
	.set _ZN7rocprim17ROCPRIM_400000_NS6detail17trampoline_kernelINS0_14default_configENS1_21merge_config_selectorINS0_5tupleIJddEEENS0_10empty_typeEEEZNS1_10merge_implIS3_NS0_12zip_iteratorINS5_IJN6thrust23THRUST_200600_302600_NS6detail15normal_iteratorINSC_10device_ptrIKdEEEESI_EEEEESK_NSA_INS5_IJNSC_16discard_iteratorINSC_11use_defaultEEESN_EEEEEPS7_SQ_SQ_NSC_11hip_rocprim7__merge17predicate_wrapperIddNSC_4lessIdEEEEEE10hipError_tPvRmT0_T1_T2_T3_T4_T5_mmT6_P12ihipStream_tbEUlT_E0_NS1_11comp_targetILNS1_3genE8ELNS1_11target_archE1030ELNS1_3gpuE2ELNS1_3repE0EEENS1_30default_config_static_selectorELNS0_4arch9wavefront6targetE0EEEvS11_.uses_flat_scratch, 0
	.set _ZN7rocprim17ROCPRIM_400000_NS6detail17trampoline_kernelINS0_14default_configENS1_21merge_config_selectorINS0_5tupleIJddEEENS0_10empty_typeEEEZNS1_10merge_implIS3_NS0_12zip_iteratorINS5_IJN6thrust23THRUST_200600_302600_NS6detail15normal_iteratorINSC_10device_ptrIKdEEEESI_EEEEESK_NSA_INS5_IJNSC_16discard_iteratorINSC_11use_defaultEEESN_EEEEEPS7_SQ_SQ_NSC_11hip_rocprim7__merge17predicate_wrapperIddNSC_4lessIdEEEEEE10hipError_tPvRmT0_T1_T2_T3_T4_T5_mmT6_P12ihipStream_tbEUlT_E0_NS1_11comp_targetILNS1_3genE8ELNS1_11target_archE1030ELNS1_3gpuE2ELNS1_3repE0EEENS1_30default_config_static_selectorELNS0_4arch9wavefront6targetE0EEEvS11_.has_dyn_sized_stack, 0
	.set _ZN7rocprim17ROCPRIM_400000_NS6detail17trampoline_kernelINS0_14default_configENS1_21merge_config_selectorINS0_5tupleIJddEEENS0_10empty_typeEEEZNS1_10merge_implIS3_NS0_12zip_iteratorINS5_IJN6thrust23THRUST_200600_302600_NS6detail15normal_iteratorINSC_10device_ptrIKdEEEESI_EEEEESK_NSA_INS5_IJNSC_16discard_iteratorINSC_11use_defaultEEESN_EEEEEPS7_SQ_SQ_NSC_11hip_rocprim7__merge17predicate_wrapperIddNSC_4lessIdEEEEEE10hipError_tPvRmT0_T1_T2_T3_T4_T5_mmT6_P12ihipStream_tbEUlT_E0_NS1_11comp_targetILNS1_3genE8ELNS1_11target_archE1030ELNS1_3gpuE2ELNS1_3repE0EEENS1_30default_config_static_selectorELNS0_4arch9wavefront6targetE0EEEvS11_.has_recursion, 0
	.set _ZN7rocprim17ROCPRIM_400000_NS6detail17trampoline_kernelINS0_14default_configENS1_21merge_config_selectorINS0_5tupleIJddEEENS0_10empty_typeEEEZNS1_10merge_implIS3_NS0_12zip_iteratorINS5_IJN6thrust23THRUST_200600_302600_NS6detail15normal_iteratorINSC_10device_ptrIKdEEEESI_EEEEESK_NSA_INS5_IJNSC_16discard_iteratorINSC_11use_defaultEEESN_EEEEEPS7_SQ_SQ_NSC_11hip_rocprim7__merge17predicate_wrapperIddNSC_4lessIdEEEEEE10hipError_tPvRmT0_T1_T2_T3_T4_T5_mmT6_P12ihipStream_tbEUlT_E0_NS1_11comp_targetILNS1_3genE8ELNS1_11target_archE1030ELNS1_3gpuE2ELNS1_3repE0EEENS1_30default_config_static_selectorELNS0_4arch9wavefront6targetE0EEEvS11_.has_indirect_call, 0
	.section	.AMDGPU.csdata,"",@progbits
; Kernel info:
; codeLenInByte = 3200
; TotalNumSgprs: 26
; NumVgprs: 55
; ScratchSize: 0
; MemoryBound: 0
; FloatMode: 240
; IeeeMode: 1
; LDSByteSize: 33792 bytes/workgroup (compile time only)
; SGPRBlocks: 0
; VGPRBlocks: 18
; NumSGPRsForWavesPerEU: 26
; NumVGPRsForWavesPerEU: 145
; Occupancy: 6
; WaveLimiterHint : 1
; COMPUTE_PGM_RSRC2:SCRATCH_EN: 0
; COMPUTE_PGM_RSRC2:USER_SGPR: 6
; COMPUTE_PGM_RSRC2:TRAP_HANDLER: 0
; COMPUTE_PGM_RSRC2:TGID_X_EN: 1
; COMPUTE_PGM_RSRC2:TGID_Y_EN: 0
; COMPUTE_PGM_RSRC2:TGID_Z_EN: 0
; COMPUTE_PGM_RSRC2:TIDIG_COMP_CNT: 0
	.section	.text._ZN7rocprim17ROCPRIM_400000_NS6detail17trampoline_kernelINS0_14default_configENS1_21merge_config_selectorINS0_5tupleIJffEEENS0_10empty_typeEEEZNS1_10merge_implIS3_NS0_12zip_iteratorINS5_IJN6thrust23THRUST_200600_302600_NS6detail15normal_iteratorINSC_10device_ptrIKfEEEESI_EEEEESK_NSA_INS5_IJNSC_16discard_iteratorINSC_11use_defaultEEESN_EEEEEPS7_SQ_SQ_NSC_11hip_rocprim7__merge17predicate_wrapperIffNSC_4lessIfEEEEEE10hipError_tPvRmT0_T1_T2_T3_T4_T5_mmT6_P12ihipStream_tbEUlT_E_NS1_11comp_targetILNS1_3genE0ELNS1_11target_archE4294967295ELNS1_3gpuE0ELNS1_3repE0EEENS1_30default_config_static_selectorELNS0_4arch9wavefront6targetE0EEEvS11_,"axG",@progbits,_ZN7rocprim17ROCPRIM_400000_NS6detail17trampoline_kernelINS0_14default_configENS1_21merge_config_selectorINS0_5tupleIJffEEENS0_10empty_typeEEEZNS1_10merge_implIS3_NS0_12zip_iteratorINS5_IJN6thrust23THRUST_200600_302600_NS6detail15normal_iteratorINSC_10device_ptrIKfEEEESI_EEEEESK_NSA_INS5_IJNSC_16discard_iteratorINSC_11use_defaultEEESN_EEEEEPS7_SQ_SQ_NSC_11hip_rocprim7__merge17predicate_wrapperIffNSC_4lessIfEEEEEE10hipError_tPvRmT0_T1_T2_T3_T4_T5_mmT6_P12ihipStream_tbEUlT_E_NS1_11comp_targetILNS1_3genE0ELNS1_11target_archE4294967295ELNS1_3gpuE0ELNS1_3repE0EEENS1_30default_config_static_selectorELNS0_4arch9wavefront6targetE0EEEvS11_,comdat
	.protected	_ZN7rocprim17ROCPRIM_400000_NS6detail17trampoline_kernelINS0_14default_configENS1_21merge_config_selectorINS0_5tupleIJffEEENS0_10empty_typeEEEZNS1_10merge_implIS3_NS0_12zip_iteratorINS5_IJN6thrust23THRUST_200600_302600_NS6detail15normal_iteratorINSC_10device_ptrIKfEEEESI_EEEEESK_NSA_INS5_IJNSC_16discard_iteratorINSC_11use_defaultEEESN_EEEEEPS7_SQ_SQ_NSC_11hip_rocprim7__merge17predicate_wrapperIffNSC_4lessIfEEEEEE10hipError_tPvRmT0_T1_T2_T3_T4_T5_mmT6_P12ihipStream_tbEUlT_E_NS1_11comp_targetILNS1_3genE0ELNS1_11target_archE4294967295ELNS1_3gpuE0ELNS1_3repE0EEENS1_30default_config_static_selectorELNS0_4arch9wavefront6targetE0EEEvS11_ ; -- Begin function _ZN7rocprim17ROCPRIM_400000_NS6detail17trampoline_kernelINS0_14default_configENS1_21merge_config_selectorINS0_5tupleIJffEEENS0_10empty_typeEEEZNS1_10merge_implIS3_NS0_12zip_iteratorINS5_IJN6thrust23THRUST_200600_302600_NS6detail15normal_iteratorINSC_10device_ptrIKfEEEESI_EEEEESK_NSA_INS5_IJNSC_16discard_iteratorINSC_11use_defaultEEESN_EEEEEPS7_SQ_SQ_NSC_11hip_rocprim7__merge17predicate_wrapperIffNSC_4lessIfEEEEEE10hipError_tPvRmT0_T1_T2_T3_T4_T5_mmT6_P12ihipStream_tbEUlT_E_NS1_11comp_targetILNS1_3genE0ELNS1_11target_archE4294967295ELNS1_3gpuE0ELNS1_3repE0EEENS1_30default_config_static_selectorELNS0_4arch9wavefront6targetE0EEEvS11_
	.globl	_ZN7rocprim17ROCPRIM_400000_NS6detail17trampoline_kernelINS0_14default_configENS1_21merge_config_selectorINS0_5tupleIJffEEENS0_10empty_typeEEEZNS1_10merge_implIS3_NS0_12zip_iteratorINS5_IJN6thrust23THRUST_200600_302600_NS6detail15normal_iteratorINSC_10device_ptrIKfEEEESI_EEEEESK_NSA_INS5_IJNSC_16discard_iteratorINSC_11use_defaultEEESN_EEEEEPS7_SQ_SQ_NSC_11hip_rocprim7__merge17predicate_wrapperIffNSC_4lessIfEEEEEE10hipError_tPvRmT0_T1_T2_T3_T4_T5_mmT6_P12ihipStream_tbEUlT_E_NS1_11comp_targetILNS1_3genE0ELNS1_11target_archE4294967295ELNS1_3gpuE0ELNS1_3repE0EEENS1_30default_config_static_selectorELNS0_4arch9wavefront6targetE0EEEvS11_
	.p2align	8
	.type	_ZN7rocprim17ROCPRIM_400000_NS6detail17trampoline_kernelINS0_14default_configENS1_21merge_config_selectorINS0_5tupleIJffEEENS0_10empty_typeEEEZNS1_10merge_implIS3_NS0_12zip_iteratorINS5_IJN6thrust23THRUST_200600_302600_NS6detail15normal_iteratorINSC_10device_ptrIKfEEEESI_EEEEESK_NSA_INS5_IJNSC_16discard_iteratorINSC_11use_defaultEEESN_EEEEEPS7_SQ_SQ_NSC_11hip_rocprim7__merge17predicate_wrapperIffNSC_4lessIfEEEEEE10hipError_tPvRmT0_T1_T2_T3_T4_T5_mmT6_P12ihipStream_tbEUlT_E_NS1_11comp_targetILNS1_3genE0ELNS1_11target_archE4294967295ELNS1_3gpuE0ELNS1_3repE0EEENS1_30default_config_static_selectorELNS0_4arch9wavefront6targetE0EEEvS11_,@function
_ZN7rocprim17ROCPRIM_400000_NS6detail17trampoline_kernelINS0_14default_configENS1_21merge_config_selectorINS0_5tupleIJffEEENS0_10empty_typeEEEZNS1_10merge_implIS3_NS0_12zip_iteratorINS5_IJN6thrust23THRUST_200600_302600_NS6detail15normal_iteratorINSC_10device_ptrIKfEEEESI_EEEEESK_NSA_INS5_IJNSC_16discard_iteratorINSC_11use_defaultEEESN_EEEEEPS7_SQ_SQ_NSC_11hip_rocprim7__merge17predicate_wrapperIffNSC_4lessIfEEEEEE10hipError_tPvRmT0_T1_T2_T3_T4_T5_mmT6_P12ihipStream_tbEUlT_E_NS1_11comp_targetILNS1_3genE0ELNS1_11target_archE4294967295ELNS1_3gpuE0ELNS1_3repE0EEENS1_30default_config_static_selectorELNS0_4arch9wavefront6targetE0EEEvS11_: ; @_ZN7rocprim17ROCPRIM_400000_NS6detail17trampoline_kernelINS0_14default_configENS1_21merge_config_selectorINS0_5tupleIJffEEENS0_10empty_typeEEEZNS1_10merge_implIS3_NS0_12zip_iteratorINS5_IJN6thrust23THRUST_200600_302600_NS6detail15normal_iteratorINSC_10device_ptrIKfEEEESI_EEEEESK_NSA_INS5_IJNSC_16discard_iteratorINSC_11use_defaultEEESN_EEEEEPS7_SQ_SQ_NSC_11hip_rocprim7__merge17predicate_wrapperIffNSC_4lessIfEEEEEE10hipError_tPvRmT0_T1_T2_T3_T4_T5_mmT6_P12ihipStream_tbEUlT_E_NS1_11comp_targetILNS1_3genE0ELNS1_11target_archE4294967295ELNS1_3gpuE0ELNS1_3repE0EEENS1_30default_config_static_selectorELNS0_4arch9wavefront6targetE0EEEvS11_
; %bb.0:
	.section	.rodata,"a",@progbits
	.p2align	6, 0x0
	.amdhsa_kernel _ZN7rocprim17ROCPRIM_400000_NS6detail17trampoline_kernelINS0_14default_configENS1_21merge_config_selectorINS0_5tupleIJffEEENS0_10empty_typeEEEZNS1_10merge_implIS3_NS0_12zip_iteratorINS5_IJN6thrust23THRUST_200600_302600_NS6detail15normal_iteratorINSC_10device_ptrIKfEEEESI_EEEEESK_NSA_INS5_IJNSC_16discard_iteratorINSC_11use_defaultEEESN_EEEEEPS7_SQ_SQ_NSC_11hip_rocprim7__merge17predicate_wrapperIffNSC_4lessIfEEEEEE10hipError_tPvRmT0_T1_T2_T3_T4_T5_mmT6_P12ihipStream_tbEUlT_E_NS1_11comp_targetILNS1_3genE0ELNS1_11target_archE4294967295ELNS1_3gpuE0ELNS1_3repE0EEENS1_30default_config_static_selectorELNS0_4arch9wavefront6targetE0EEEvS11_
		.amdhsa_group_segment_fixed_size 0
		.amdhsa_private_segment_fixed_size 0
		.amdhsa_kernarg_size 64
		.amdhsa_user_sgpr_count 6
		.amdhsa_user_sgpr_private_segment_buffer 1
		.amdhsa_user_sgpr_dispatch_ptr 0
		.amdhsa_user_sgpr_queue_ptr 0
		.amdhsa_user_sgpr_kernarg_segment_ptr 1
		.amdhsa_user_sgpr_dispatch_id 0
		.amdhsa_user_sgpr_flat_scratch_init 0
		.amdhsa_user_sgpr_private_segment_size 0
		.amdhsa_wavefront_size32 1
		.amdhsa_uses_dynamic_stack 0
		.amdhsa_system_sgpr_private_segment_wavefront_offset 0
		.amdhsa_system_sgpr_workgroup_id_x 1
		.amdhsa_system_sgpr_workgroup_id_y 0
		.amdhsa_system_sgpr_workgroup_id_z 0
		.amdhsa_system_sgpr_workgroup_info 0
		.amdhsa_system_vgpr_workitem_id 0
		.amdhsa_next_free_vgpr 1
		.amdhsa_next_free_sgpr 1
		.amdhsa_reserve_vcc 0
		.amdhsa_reserve_flat_scratch 0
		.amdhsa_float_round_mode_32 0
		.amdhsa_float_round_mode_16_64 0
		.amdhsa_float_denorm_mode_32 3
		.amdhsa_float_denorm_mode_16_64 3
		.amdhsa_dx10_clamp 1
		.amdhsa_ieee_mode 1
		.amdhsa_fp16_overflow 0
		.amdhsa_workgroup_processor_mode 1
		.amdhsa_memory_ordered 1
		.amdhsa_forward_progress 1
		.amdhsa_shared_vgpr_count 0
		.amdhsa_exception_fp_ieee_invalid_op 0
		.amdhsa_exception_fp_denorm_src 0
		.amdhsa_exception_fp_ieee_div_zero 0
		.amdhsa_exception_fp_ieee_overflow 0
		.amdhsa_exception_fp_ieee_underflow 0
		.amdhsa_exception_fp_ieee_inexact 0
		.amdhsa_exception_int_div_zero 0
	.end_amdhsa_kernel
	.section	.text._ZN7rocprim17ROCPRIM_400000_NS6detail17trampoline_kernelINS0_14default_configENS1_21merge_config_selectorINS0_5tupleIJffEEENS0_10empty_typeEEEZNS1_10merge_implIS3_NS0_12zip_iteratorINS5_IJN6thrust23THRUST_200600_302600_NS6detail15normal_iteratorINSC_10device_ptrIKfEEEESI_EEEEESK_NSA_INS5_IJNSC_16discard_iteratorINSC_11use_defaultEEESN_EEEEEPS7_SQ_SQ_NSC_11hip_rocprim7__merge17predicate_wrapperIffNSC_4lessIfEEEEEE10hipError_tPvRmT0_T1_T2_T3_T4_T5_mmT6_P12ihipStream_tbEUlT_E_NS1_11comp_targetILNS1_3genE0ELNS1_11target_archE4294967295ELNS1_3gpuE0ELNS1_3repE0EEENS1_30default_config_static_selectorELNS0_4arch9wavefront6targetE0EEEvS11_,"axG",@progbits,_ZN7rocprim17ROCPRIM_400000_NS6detail17trampoline_kernelINS0_14default_configENS1_21merge_config_selectorINS0_5tupleIJffEEENS0_10empty_typeEEEZNS1_10merge_implIS3_NS0_12zip_iteratorINS5_IJN6thrust23THRUST_200600_302600_NS6detail15normal_iteratorINSC_10device_ptrIKfEEEESI_EEEEESK_NSA_INS5_IJNSC_16discard_iteratorINSC_11use_defaultEEESN_EEEEEPS7_SQ_SQ_NSC_11hip_rocprim7__merge17predicate_wrapperIffNSC_4lessIfEEEEEE10hipError_tPvRmT0_T1_T2_T3_T4_T5_mmT6_P12ihipStream_tbEUlT_E_NS1_11comp_targetILNS1_3genE0ELNS1_11target_archE4294967295ELNS1_3gpuE0ELNS1_3repE0EEENS1_30default_config_static_selectorELNS0_4arch9wavefront6targetE0EEEvS11_,comdat
.Lfunc_end497:
	.size	_ZN7rocprim17ROCPRIM_400000_NS6detail17trampoline_kernelINS0_14default_configENS1_21merge_config_selectorINS0_5tupleIJffEEENS0_10empty_typeEEEZNS1_10merge_implIS3_NS0_12zip_iteratorINS5_IJN6thrust23THRUST_200600_302600_NS6detail15normal_iteratorINSC_10device_ptrIKfEEEESI_EEEEESK_NSA_INS5_IJNSC_16discard_iteratorINSC_11use_defaultEEESN_EEEEEPS7_SQ_SQ_NSC_11hip_rocprim7__merge17predicate_wrapperIffNSC_4lessIfEEEEEE10hipError_tPvRmT0_T1_T2_T3_T4_T5_mmT6_P12ihipStream_tbEUlT_E_NS1_11comp_targetILNS1_3genE0ELNS1_11target_archE4294967295ELNS1_3gpuE0ELNS1_3repE0EEENS1_30default_config_static_selectorELNS0_4arch9wavefront6targetE0EEEvS11_, .Lfunc_end497-_ZN7rocprim17ROCPRIM_400000_NS6detail17trampoline_kernelINS0_14default_configENS1_21merge_config_selectorINS0_5tupleIJffEEENS0_10empty_typeEEEZNS1_10merge_implIS3_NS0_12zip_iteratorINS5_IJN6thrust23THRUST_200600_302600_NS6detail15normal_iteratorINSC_10device_ptrIKfEEEESI_EEEEESK_NSA_INS5_IJNSC_16discard_iteratorINSC_11use_defaultEEESN_EEEEEPS7_SQ_SQ_NSC_11hip_rocprim7__merge17predicate_wrapperIffNSC_4lessIfEEEEEE10hipError_tPvRmT0_T1_T2_T3_T4_T5_mmT6_P12ihipStream_tbEUlT_E_NS1_11comp_targetILNS1_3genE0ELNS1_11target_archE4294967295ELNS1_3gpuE0ELNS1_3repE0EEENS1_30default_config_static_selectorELNS0_4arch9wavefront6targetE0EEEvS11_
                                        ; -- End function
	.set _ZN7rocprim17ROCPRIM_400000_NS6detail17trampoline_kernelINS0_14default_configENS1_21merge_config_selectorINS0_5tupleIJffEEENS0_10empty_typeEEEZNS1_10merge_implIS3_NS0_12zip_iteratorINS5_IJN6thrust23THRUST_200600_302600_NS6detail15normal_iteratorINSC_10device_ptrIKfEEEESI_EEEEESK_NSA_INS5_IJNSC_16discard_iteratorINSC_11use_defaultEEESN_EEEEEPS7_SQ_SQ_NSC_11hip_rocprim7__merge17predicate_wrapperIffNSC_4lessIfEEEEEE10hipError_tPvRmT0_T1_T2_T3_T4_T5_mmT6_P12ihipStream_tbEUlT_E_NS1_11comp_targetILNS1_3genE0ELNS1_11target_archE4294967295ELNS1_3gpuE0ELNS1_3repE0EEENS1_30default_config_static_selectorELNS0_4arch9wavefront6targetE0EEEvS11_.num_vgpr, 0
	.set _ZN7rocprim17ROCPRIM_400000_NS6detail17trampoline_kernelINS0_14default_configENS1_21merge_config_selectorINS0_5tupleIJffEEENS0_10empty_typeEEEZNS1_10merge_implIS3_NS0_12zip_iteratorINS5_IJN6thrust23THRUST_200600_302600_NS6detail15normal_iteratorINSC_10device_ptrIKfEEEESI_EEEEESK_NSA_INS5_IJNSC_16discard_iteratorINSC_11use_defaultEEESN_EEEEEPS7_SQ_SQ_NSC_11hip_rocprim7__merge17predicate_wrapperIffNSC_4lessIfEEEEEE10hipError_tPvRmT0_T1_T2_T3_T4_T5_mmT6_P12ihipStream_tbEUlT_E_NS1_11comp_targetILNS1_3genE0ELNS1_11target_archE4294967295ELNS1_3gpuE0ELNS1_3repE0EEENS1_30default_config_static_selectorELNS0_4arch9wavefront6targetE0EEEvS11_.num_agpr, 0
	.set _ZN7rocprim17ROCPRIM_400000_NS6detail17trampoline_kernelINS0_14default_configENS1_21merge_config_selectorINS0_5tupleIJffEEENS0_10empty_typeEEEZNS1_10merge_implIS3_NS0_12zip_iteratorINS5_IJN6thrust23THRUST_200600_302600_NS6detail15normal_iteratorINSC_10device_ptrIKfEEEESI_EEEEESK_NSA_INS5_IJNSC_16discard_iteratorINSC_11use_defaultEEESN_EEEEEPS7_SQ_SQ_NSC_11hip_rocprim7__merge17predicate_wrapperIffNSC_4lessIfEEEEEE10hipError_tPvRmT0_T1_T2_T3_T4_T5_mmT6_P12ihipStream_tbEUlT_E_NS1_11comp_targetILNS1_3genE0ELNS1_11target_archE4294967295ELNS1_3gpuE0ELNS1_3repE0EEENS1_30default_config_static_selectorELNS0_4arch9wavefront6targetE0EEEvS11_.numbered_sgpr, 0
	.set _ZN7rocprim17ROCPRIM_400000_NS6detail17trampoline_kernelINS0_14default_configENS1_21merge_config_selectorINS0_5tupleIJffEEENS0_10empty_typeEEEZNS1_10merge_implIS3_NS0_12zip_iteratorINS5_IJN6thrust23THRUST_200600_302600_NS6detail15normal_iteratorINSC_10device_ptrIKfEEEESI_EEEEESK_NSA_INS5_IJNSC_16discard_iteratorINSC_11use_defaultEEESN_EEEEEPS7_SQ_SQ_NSC_11hip_rocprim7__merge17predicate_wrapperIffNSC_4lessIfEEEEEE10hipError_tPvRmT0_T1_T2_T3_T4_T5_mmT6_P12ihipStream_tbEUlT_E_NS1_11comp_targetILNS1_3genE0ELNS1_11target_archE4294967295ELNS1_3gpuE0ELNS1_3repE0EEENS1_30default_config_static_selectorELNS0_4arch9wavefront6targetE0EEEvS11_.num_named_barrier, 0
	.set _ZN7rocprim17ROCPRIM_400000_NS6detail17trampoline_kernelINS0_14default_configENS1_21merge_config_selectorINS0_5tupleIJffEEENS0_10empty_typeEEEZNS1_10merge_implIS3_NS0_12zip_iteratorINS5_IJN6thrust23THRUST_200600_302600_NS6detail15normal_iteratorINSC_10device_ptrIKfEEEESI_EEEEESK_NSA_INS5_IJNSC_16discard_iteratorINSC_11use_defaultEEESN_EEEEEPS7_SQ_SQ_NSC_11hip_rocprim7__merge17predicate_wrapperIffNSC_4lessIfEEEEEE10hipError_tPvRmT0_T1_T2_T3_T4_T5_mmT6_P12ihipStream_tbEUlT_E_NS1_11comp_targetILNS1_3genE0ELNS1_11target_archE4294967295ELNS1_3gpuE0ELNS1_3repE0EEENS1_30default_config_static_selectorELNS0_4arch9wavefront6targetE0EEEvS11_.private_seg_size, 0
	.set _ZN7rocprim17ROCPRIM_400000_NS6detail17trampoline_kernelINS0_14default_configENS1_21merge_config_selectorINS0_5tupleIJffEEENS0_10empty_typeEEEZNS1_10merge_implIS3_NS0_12zip_iteratorINS5_IJN6thrust23THRUST_200600_302600_NS6detail15normal_iteratorINSC_10device_ptrIKfEEEESI_EEEEESK_NSA_INS5_IJNSC_16discard_iteratorINSC_11use_defaultEEESN_EEEEEPS7_SQ_SQ_NSC_11hip_rocprim7__merge17predicate_wrapperIffNSC_4lessIfEEEEEE10hipError_tPvRmT0_T1_T2_T3_T4_T5_mmT6_P12ihipStream_tbEUlT_E_NS1_11comp_targetILNS1_3genE0ELNS1_11target_archE4294967295ELNS1_3gpuE0ELNS1_3repE0EEENS1_30default_config_static_selectorELNS0_4arch9wavefront6targetE0EEEvS11_.uses_vcc, 0
	.set _ZN7rocprim17ROCPRIM_400000_NS6detail17trampoline_kernelINS0_14default_configENS1_21merge_config_selectorINS0_5tupleIJffEEENS0_10empty_typeEEEZNS1_10merge_implIS3_NS0_12zip_iteratorINS5_IJN6thrust23THRUST_200600_302600_NS6detail15normal_iteratorINSC_10device_ptrIKfEEEESI_EEEEESK_NSA_INS5_IJNSC_16discard_iteratorINSC_11use_defaultEEESN_EEEEEPS7_SQ_SQ_NSC_11hip_rocprim7__merge17predicate_wrapperIffNSC_4lessIfEEEEEE10hipError_tPvRmT0_T1_T2_T3_T4_T5_mmT6_P12ihipStream_tbEUlT_E_NS1_11comp_targetILNS1_3genE0ELNS1_11target_archE4294967295ELNS1_3gpuE0ELNS1_3repE0EEENS1_30default_config_static_selectorELNS0_4arch9wavefront6targetE0EEEvS11_.uses_flat_scratch, 0
	.set _ZN7rocprim17ROCPRIM_400000_NS6detail17trampoline_kernelINS0_14default_configENS1_21merge_config_selectorINS0_5tupleIJffEEENS0_10empty_typeEEEZNS1_10merge_implIS3_NS0_12zip_iteratorINS5_IJN6thrust23THRUST_200600_302600_NS6detail15normal_iteratorINSC_10device_ptrIKfEEEESI_EEEEESK_NSA_INS5_IJNSC_16discard_iteratorINSC_11use_defaultEEESN_EEEEEPS7_SQ_SQ_NSC_11hip_rocprim7__merge17predicate_wrapperIffNSC_4lessIfEEEEEE10hipError_tPvRmT0_T1_T2_T3_T4_T5_mmT6_P12ihipStream_tbEUlT_E_NS1_11comp_targetILNS1_3genE0ELNS1_11target_archE4294967295ELNS1_3gpuE0ELNS1_3repE0EEENS1_30default_config_static_selectorELNS0_4arch9wavefront6targetE0EEEvS11_.has_dyn_sized_stack, 0
	.set _ZN7rocprim17ROCPRIM_400000_NS6detail17trampoline_kernelINS0_14default_configENS1_21merge_config_selectorINS0_5tupleIJffEEENS0_10empty_typeEEEZNS1_10merge_implIS3_NS0_12zip_iteratorINS5_IJN6thrust23THRUST_200600_302600_NS6detail15normal_iteratorINSC_10device_ptrIKfEEEESI_EEEEESK_NSA_INS5_IJNSC_16discard_iteratorINSC_11use_defaultEEESN_EEEEEPS7_SQ_SQ_NSC_11hip_rocprim7__merge17predicate_wrapperIffNSC_4lessIfEEEEEE10hipError_tPvRmT0_T1_T2_T3_T4_T5_mmT6_P12ihipStream_tbEUlT_E_NS1_11comp_targetILNS1_3genE0ELNS1_11target_archE4294967295ELNS1_3gpuE0ELNS1_3repE0EEENS1_30default_config_static_selectorELNS0_4arch9wavefront6targetE0EEEvS11_.has_recursion, 0
	.set _ZN7rocprim17ROCPRIM_400000_NS6detail17trampoline_kernelINS0_14default_configENS1_21merge_config_selectorINS0_5tupleIJffEEENS0_10empty_typeEEEZNS1_10merge_implIS3_NS0_12zip_iteratorINS5_IJN6thrust23THRUST_200600_302600_NS6detail15normal_iteratorINSC_10device_ptrIKfEEEESI_EEEEESK_NSA_INS5_IJNSC_16discard_iteratorINSC_11use_defaultEEESN_EEEEEPS7_SQ_SQ_NSC_11hip_rocprim7__merge17predicate_wrapperIffNSC_4lessIfEEEEEE10hipError_tPvRmT0_T1_T2_T3_T4_T5_mmT6_P12ihipStream_tbEUlT_E_NS1_11comp_targetILNS1_3genE0ELNS1_11target_archE4294967295ELNS1_3gpuE0ELNS1_3repE0EEENS1_30default_config_static_selectorELNS0_4arch9wavefront6targetE0EEEvS11_.has_indirect_call, 0
	.section	.AMDGPU.csdata,"",@progbits
; Kernel info:
; codeLenInByte = 0
; TotalNumSgprs: 0
; NumVgprs: 0
; ScratchSize: 0
; MemoryBound: 0
; FloatMode: 240
; IeeeMode: 1
; LDSByteSize: 0 bytes/workgroup (compile time only)
; SGPRBlocks: 0
; VGPRBlocks: 0
; NumSGPRsForWavesPerEU: 1
; NumVGPRsForWavesPerEU: 1
; Occupancy: 16
; WaveLimiterHint : 0
; COMPUTE_PGM_RSRC2:SCRATCH_EN: 0
; COMPUTE_PGM_RSRC2:USER_SGPR: 6
; COMPUTE_PGM_RSRC2:TRAP_HANDLER: 0
; COMPUTE_PGM_RSRC2:TGID_X_EN: 1
; COMPUTE_PGM_RSRC2:TGID_Y_EN: 0
; COMPUTE_PGM_RSRC2:TGID_Z_EN: 0
; COMPUTE_PGM_RSRC2:TIDIG_COMP_CNT: 0
	.section	.text._ZN7rocprim17ROCPRIM_400000_NS6detail17trampoline_kernelINS0_14default_configENS1_21merge_config_selectorINS0_5tupleIJffEEENS0_10empty_typeEEEZNS1_10merge_implIS3_NS0_12zip_iteratorINS5_IJN6thrust23THRUST_200600_302600_NS6detail15normal_iteratorINSC_10device_ptrIKfEEEESI_EEEEESK_NSA_INS5_IJNSC_16discard_iteratorINSC_11use_defaultEEESN_EEEEEPS7_SQ_SQ_NSC_11hip_rocprim7__merge17predicate_wrapperIffNSC_4lessIfEEEEEE10hipError_tPvRmT0_T1_T2_T3_T4_T5_mmT6_P12ihipStream_tbEUlT_E_NS1_11comp_targetILNS1_3genE5ELNS1_11target_archE942ELNS1_3gpuE9ELNS1_3repE0EEENS1_30default_config_static_selectorELNS0_4arch9wavefront6targetE0EEEvS11_,"axG",@progbits,_ZN7rocprim17ROCPRIM_400000_NS6detail17trampoline_kernelINS0_14default_configENS1_21merge_config_selectorINS0_5tupleIJffEEENS0_10empty_typeEEEZNS1_10merge_implIS3_NS0_12zip_iteratorINS5_IJN6thrust23THRUST_200600_302600_NS6detail15normal_iteratorINSC_10device_ptrIKfEEEESI_EEEEESK_NSA_INS5_IJNSC_16discard_iteratorINSC_11use_defaultEEESN_EEEEEPS7_SQ_SQ_NSC_11hip_rocprim7__merge17predicate_wrapperIffNSC_4lessIfEEEEEE10hipError_tPvRmT0_T1_T2_T3_T4_T5_mmT6_P12ihipStream_tbEUlT_E_NS1_11comp_targetILNS1_3genE5ELNS1_11target_archE942ELNS1_3gpuE9ELNS1_3repE0EEENS1_30default_config_static_selectorELNS0_4arch9wavefront6targetE0EEEvS11_,comdat
	.protected	_ZN7rocprim17ROCPRIM_400000_NS6detail17trampoline_kernelINS0_14default_configENS1_21merge_config_selectorINS0_5tupleIJffEEENS0_10empty_typeEEEZNS1_10merge_implIS3_NS0_12zip_iteratorINS5_IJN6thrust23THRUST_200600_302600_NS6detail15normal_iteratorINSC_10device_ptrIKfEEEESI_EEEEESK_NSA_INS5_IJNSC_16discard_iteratorINSC_11use_defaultEEESN_EEEEEPS7_SQ_SQ_NSC_11hip_rocprim7__merge17predicate_wrapperIffNSC_4lessIfEEEEEE10hipError_tPvRmT0_T1_T2_T3_T4_T5_mmT6_P12ihipStream_tbEUlT_E_NS1_11comp_targetILNS1_3genE5ELNS1_11target_archE942ELNS1_3gpuE9ELNS1_3repE0EEENS1_30default_config_static_selectorELNS0_4arch9wavefront6targetE0EEEvS11_ ; -- Begin function _ZN7rocprim17ROCPRIM_400000_NS6detail17trampoline_kernelINS0_14default_configENS1_21merge_config_selectorINS0_5tupleIJffEEENS0_10empty_typeEEEZNS1_10merge_implIS3_NS0_12zip_iteratorINS5_IJN6thrust23THRUST_200600_302600_NS6detail15normal_iteratorINSC_10device_ptrIKfEEEESI_EEEEESK_NSA_INS5_IJNSC_16discard_iteratorINSC_11use_defaultEEESN_EEEEEPS7_SQ_SQ_NSC_11hip_rocprim7__merge17predicate_wrapperIffNSC_4lessIfEEEEEE10hipError_tPvRmT0_T1_T2_T3_T4_T5_mmT6_P12ihipStream_tbEUlT_E_NS1_11comp_targetILNS1_3genE5ELNS1_11target_archE942ELNS1_3gpuE9ELNS1_3repE0EEENS1_30default_config_static_selectorELNS0_4arch9wavefront6targetE0EEEvS11_
	.globl	_ZN7rocprim17ROCPRIM_400000_NS6detail17trampoline_kernelINS0_14default_configENS1_21merge_config_selectorINS0_5tupleIJffEEENS0_10empty_typeEEEZNS1_10merge_implIS3_NS0_12zip_iteratorINS5_IJN6thrust23THRUST_200600_302600_NS6detail15normal_iteratorINSC_10device_ptrIKfEEEESI_EEEEESK_NSA_INS5_IJNSC_16discard_iteratorINSC_11use_defaultEEESN_EEEEEPS7_SQ_SQ_NSC_11hip_rocprim7__merge17predicate_wrapperIffNSC_4lessIfEEEEEE10hipError_tPvRmT0_T1_T2_T3_T4_T5_mmT6_P12ihipStream_tbEUlT_E_NS1_11comp_targetILNS1_3genE5ELNS1_11target_archE942ELNS1_3gpuE9ELNS1_3repE0EEENS1_30default_config_static_selectorELNS0_4arch9wavefront6targetE0EEEvS11_
	.p2align	8
	.type	_ZN7rocprim17ROCPRIM_400000_NS6detail17trampoline_kernelINS0_14default_configENS1_21merge_config_selectorINS0_5tupleIJffEEENS0_10empty_typeEEEZNS1_10merge_implIS3_NS0_12zip_iteratorINS5_IJN6thrust23THRUST_200600_302600_NS6detail15normal_iteratorINSC_10device_ptrIKfEEEESI_EEEEESK_NSA_INS5_IJNSC_16discard_iteratorINSC_11use_defaultEEESN_EEEEEPS7_SQ_SQ_NSC_11hip_rocprim7__merge17predicate_wrapperIffNSC_4lessIfEEEEEE10hipError_tPvRmT0_T1_T2_T3_T4_T5_mmT6_P12ihipStream_tbEUlT_E_NS1_11comp_targetILNS1_3genE5ELNS1_11target_archE942ELNS1_3gpuE9ELNS1_3repE0EEENS1_30default_config_static_selectorELNS0_4arch9wavefront6targetE0EEEvS11_,@function
_ZN7rocprim17ROCPRIM_400000_NS6detail17trampoline_kernelINS0_14default_configENS1_21merge_config_selectorINS0_5tupleIJffEEENS0_10empty_typeEEEZNS1_10merge_implIS3_NS0_12zip_iteratorINS5_IJN6thrust23THRUST_200600_302600_NS6detail15normal_iteratorINSC_10device_ptrIKfEEEESI_EEEEESK_NSA_INS5_IJNSC_16discard_iteratorINSC_11use_defaultEEESN_EEEEEPS7_SQ_SQ_NSC_11hip_rocprim7__merge17predicate_wrapperIffNSC_4lessIfEEEEEE10hipError_tPvRmT0_T1_T2_T3_T4_T5_mmT6_P12ihipStream_tbEUlT_E_NS1_11comp_targetILNS1_3genE5ELNS1_11target_archE942ELNS1_3gpuE9ELNS1_3repE0EEENS1_30default_config_static_selectorELNS0_4arch9wavefront6targetE0EEEvS11_: ; @_ZN7rocprim17ROCPRIM_400000_NS6detail17trampoline_kernelINS0_14default_configENS1_21merge_config_selectorINS0_5tupleIJffEEENS0_10empty_typeEEEZNS1_10merge_implIS3_NS0_12zip_iteratorINS5_IJN6thrust23THRUST_200600_302600_NS6detail15normal_iteratorINSC_10device_ptrIKfEEEESI_EEEEESK_NSA_INS5_IJNSC_16discard_iteratorINSC_11use_defaultEEESN_EEEEEPS7_SQ_SQ_NSC_11hip_rocprim7__merge17predicate_wrapperIffNSC_4lessIfEEEEEE10hipError_tPvRmT0_T1_T2_T3_T4_T5_mmT6_P12ihipStream_tbEUlT_E_NS1_11comp_targetILNS1_3genE5ELNS1_11target_archE942ELNS1_3gpuE9ELNS1_3repE0EEENS1_30default_config_static_selectorELNS0_4arch9wavefront6targetE0EEEvS11_
; %bb.0:
	.section	.rodata,"a",@progbits
	.p2align	6, 0x0
	.amdhsa_kernel _ZN7rocprim17ROCPRIM_400000_NS6detail17trampoline_kernelINS0_14default_configENS1_21merge_config_selectorINS0_5tupleIJffEEENS0_10empty_typeEEEZNS1_10merge_implIS3_NS0_12zip_iteratorINS5_IJN6thrust23THRUST_200600_302600_NS6detail15normal_iteratorINSC_10device_ptrIKfEEEESI_EEEEESK_NSA_INS5_IJNSC_16discard_iteratorINSC_11use_defaultEEESN_EEEEEPS7_SQ_SQ_NSC_11hip_rocprim7__merge17predicate_wrapperIffNSC_4lessIfEEEEEE10hipError_tPvRmT0_T1_T2_T3_T4_T5_mmT6_P12ihipStream_tbEUlT_E_NS1_11comp_targetILNS1_3genE5ELNS1_11target_archE942ELNS1_3gpuE9ELNS1_3repE0EEENS1_30default_config_static_selectorELNS0_4arch9wavefront6targetE0EEEvS11_
		.amdhsa_group_segment_fixed_size 0
		.amdhsa_private_segment_fixed_size 0
		.amdhsa_kernarg_size 64
		.amdhsa_user_sgpr_count 6
		.amdhsa_user_sgpr_private_segment_buffer 1
		.amdhsa_user_sgpr_dispatch_ptr 0
		.amdhsa_user_sgpr_queue_ptr 0
		.amdhsa_user_sgpr_kernarg_segment_ptr 1
		.amdhsa_user_sgpr_dispatch_id 0
		.amdhsa_user_sgpr_flat_scratch_init 0
		.amdhsa_user_sgpr_private_segment_size 0
		.amdhsa_wavefront_size32 1
		.amdhsa_uses_dynamic_stack 0
		.amdhsa_system_sgpr_private_segment_wavefront_offset 0
		.amdhsa_system_sgpr_workgroup_id_x 1
		.amdhsa_system_sgpr_workgroup_id_y 0
		.amdhsa_system_sgpr_workgroup_id_z 0
		.amdhsa_system_sgpr_workgroup_info 0
		.amdhsa_system_vgpr_workitem_id 0
		.amdhsa_next_free_vgpr 1
		.amdhsa_next_free_sgpr 1
		.amdhsa_reserve_vcc 0
		.amdhsa_reserve_flat_scratch 0
		.amdhsa_float_round_mode_32 0
		.amdhsa_float_round_mode_16_64 0
		.amdhsa_float_denorm_mode_32 3
		.amdhsa_float_denorm_mode_16_64 3
		.amdhsa_dx10_clamp 1
		.amdhsa_ieee_mode 1
		.amdhsa_fp16_overflow 0
		.amdhsa_workgroup_processor_mode 1
		.amdhsa_memory_ordered 1
		.amdhsa_forward_progress 1
		.amdhsa_shared_vgpr_count 0
		.amdhsa_exception_fp_ieee_invalid_op 0
		.amdhsa_exception_fp_denorm_src 0
		.amdhsa_exception_fp_ieee_div_zero 0
		.amdhsa_exception_fp_ieee_overflow 0
		.amdhsa_exception_fp_ieee_underflow 0
		.amdhsa_exception_fp_ieee_inexact 0
		.amdhsa_exception_int_div_zero 0
	.end_amdhsa_kernel
	.section	.text._ZN7rocprim17ROCPRIM_400000_NS6detail17trampoline_kernelINS0_14default_configENS1_21merge_config_selectorINS0_5tupleIJffEEENS0_10empty_typeEEEZNS1_10merge_implIS3_NS0_12zip_iteratorINS5_IJN6thrust23THRUST_200600_302600_NS6detail15normal_iteratorINSC_10device_ptrIKfEEEESI_EEEEESK_NSA_INS5_IJNSC_16discard_iteratorINSC_11use_defaultEEESN_EEEEEPS7_SQ_SQ_NSC_11hip_rocprim7__merge17predicate_wrapperIffNSC_4lessIfEEEEEE10hipError_tPvRmT0_T1_T2_T3_T4_T5_mmT6_P12ihipStream_tbEUlT_E_NS1_11comp_targetILNS1_3genE5ELNS1_11target_archE942ELNS1_3gpuE9ELNS1_3repE0EEENS1_30default_config_static_selectorELNS0_4arch9wavefront6targetE0EEEvS11_,"axG",@progbits,_ZN7rocprim17ROCPRIM_400000_NS6detail17trampoline_kernelINS0_14default_configENS1_21merge_config_selectorINS0_5tupleIJffEEENS0_10empty_typeEEEZNS1_10merge_implIS3_NS0_12zip_iteratorINS5_IJN6thrust23THRUST_200600_302600_NS6detail15normal_iteratorINSC_10device_ptrIKfEEEESI_EEEEESK_NSA_INS5_IJNSC_16discard_iteratorINSC_11use_defaultEEESN_EEEEEPS7_SQ_SQ_NSC_11hip_rocprim7__merge17predicate_wrapperIffNSC_4lessIfEEEEEE10hipError_tPvRmT0_T1_T2_T3_T4_T5_mmT6_P12ihipStream_tbEUlT_E_NS1_11comp_targetILNS1_3genE5ELNS1_11target_archE942ELNS1_3gpuE9ELNS1_3repE0EEENS1_30default_config_static_selectorELNS0_4arch9wavefront6targetE0EEEvS11_,comdat
.Lfunc_end498:
	.size	_ZN7rocprim17ROCPRIM_400000_NS6detail17trampoline_kernelINS0_14default_configENS1_21merge_config_selectorINS0_5tupleIJffEEENS0_10empty_typeEEEZNS1_10merge_implIS3_NS0_12zip_iteratorINS5_IJN6thrust23THRUST_200600_302600_NS6detail15normal_iteratorINSC_10device_ptrIKfEEEESI_EEEEESK_NSA_INS5_IJNSC_16discard_iteratorINSC_11use_defaultEEESN_EEEEEPS7_SQ_SQ_NSC_11hip_rocprim7__merge17predicate_wrapperIffNSC_4lessIfEEEEEE10hipError_tPvRmT0_T1_T2_T3_T4_T5_mmT6_P12ihipStream_tbEUlT_E_NS1_11comp_targetILNS1_3genE5ELNS1_11target_archE942ELNS1_3gpuE9ELNS1_3repE0EEENS1_30default_config_static_selectorELNS0_4arch9wavefront6targetE0EEEvS11_, .Lfunc_end498-_ZN7rocprim17ROCPRIM_400000_NS6detail17trampoline_kernelINS0_14default_configENS1_21merge_config_selectorINS0_5tupleIJffEEENS0_10empty_typeEEEZNS1_10merge_implIS3_NS0_12zip_iteratorINS5_IJN6thrust23THRUST_200600_302600_NS6detail15normal_iteratorINSC_10device_ptrIKfEEEESI_EEEEESK_NSA_INS5_IJNSC_16discard_iteratorINSC_11use_defaultEEESN_EEEEEPS7_SQ_SQ_NSC_11hip_rocprim7__merge17predicate_wrapperIffNSC_4lessIfEEEEEE10hipError_tPvRmT0_T1_T2_T3_T4_T5_mmT6_P12ihipStream_tbEUlT_E_NS1_11comp_targetILNS1_3genE5ELNS1_11target_archE942ELNS1_3gpuE9ELNS1_3repE0EEENS1_30default_config_static_selectorELNS0_4arch9wavefront6targetE0EEEvS11_
                                        ; -- End function
	.set _ZN7rocprim17ROCPRIM_400000_NS6detail17trampoline_kernelINS0_14default_configENS1_21merge_config_selectorINS0_5tupleIJffEEENS0_10empty_typeEEEZNS1_10merge_implIS3_NS0_12zip_iteratorINS5_IJN6thrust23THRUST_200600_302600_NS6detail15normal_iteratorINSC_10device_ptrIKfEEEESI_EEEEESK_NSA_INS5_IJNSC_16discard_iteratorINSC_11use_defaultEEESN_EEEEEPS7_SQ_SQ_NSC_11hip_rocprim7__merge17predicate_wrapperIffNSC_4lessIfEEEEEE10hipError_tPvRmT0_T1_T2_T3_T4_T5_mmT6_P12ihipStream_tbEUlT_E_NS1_11comp_targetILNS1_3genE5ELNS1_11target_archE942ELNS1_3gpuE9ELNS1_3repE0EEENS1_30default_config_static_selectorELNS0_4arch9wavefront6targetE0EEEvS11_.num_vgpr, 0
	.set _ZN7rocprim17ROCPRIM_400000_NS6detail17trampoline_kernelINS0_14default_configENS1_21merge_config_selectorINS0_5tupleIJffEEENS0_10empty_typeEEEZNS1_10merge_implIS3_NS0_12zip_iteratorINS5_IJN6thrust23THRUST_200600_302600_NS6detail15normal_iteratorINSC_10device_ptrIKfEEEESI_EEEEESK_NSA_INS5_IJNSC_16discard_iteratorINSC_11use_defaultEEESN_EEEEEPS7_SQ_SQ_NSC_11hip_rocprim7__merge17predicate_wrapperIffNSC_4lessIfEEEEEE10hipError_tPvRmT0_T1_T2_T3_T4_T5_mmT6_P12ihipStream_tbEUlT_E_NS1_11comp_targetILNS1_3genE5ELNS1_11target_archE942ELNS1_3gpuE9ELNS1_3repE0EEENS1_30default_config_static_selectorELNS0_4arch9wavefront6targetE0EEEvS11_.num_agpr, 0
	.set _ZN7rocprim17ROCPRIM_400000_NS6detail17trampoline_kernelINS0_14default_configENS1_21merge_config_selectorINS0_5tupleIJffEEENS0_10empty_typeEEEZNS1_10merge_implIS3_NS0_12zip_iteratorINS5_IJN6thrust23THRUST_200600_302600_NS6detail15normal_iteratorINSC_10device_ptrIKfEEEESI_EEEEESK_NSA_INS5_IJNSC_16discard_iteratorINSC_11use_defaultEEESN_EEEEEPS7_SQ_SQ_NSC_11hip_rocprim7__merge17predicate_wrapperIffNSC_4lessIfEEEEEE10hipError_tPvRmT0_T1_T2_T3_T4_T5_mmT6_P12ihipStream_tbEUlT_E_NS1_11comp_targetILNS1_3genE5ELNS1_11target_archE942ELNS1_3gpuE9ELNS1_3repE0EEENS1_30default_config_static_selectorELNS0_4arch9wavefront6targetE0EEEvS11_.numbered_sgpr, 0
	.set _ZN7rocprim17ROCPRIM_400000_NS6detail17trampoline_kernelINS0_14default_configENS1_21merge_config_selectorINS0_5tupleIJffEEENS0_10empty_typeEEEZNS1_10merge_implIS3_NS0_12zip_iteratorINS5_IJN6thrust23THRUST_200600_302600_NS6detail15normal_iteratorINSC_10device_ptrIKfEEEESI_EEEEESK_NSA_INS5_IJNSC_16discard_iteratorINSC_11use_defaultEEESN_EEEEEPS7_SQ_SQ_NSC_11hip_rocprim7__merge17predicate_wrapperIffNSC_4lessIfEEEEEE10hipError_tPvRmT0_T1_T2_T3_T4_T5_mmT6_P12ihipStream_tbEUlT_E_NS1_11comp_targetILNS1_3genE5ELNS1_11target_archE942ELNS1_3gpuE9ELNS1_3repE0EEENS1_30default_config_static_selectorELNS0_4arch9wavefront6targetE0EEEvS11_.num_named_barrier, 0
	.set _ZN7rocprim17ROCPRIM_400000_NS6detail17trampoline_kernelINS0_14default_configENS1_21merge_config_selectorINS0_5tupleIJffEEENS0_10empty_typeEEEZNS1_10merge_implIS3_NS0_12zip_iteratorINS5_IJN6thrust23THRUST_200600_302600_NS6detail15normal_iteratorINSC_10device_ptrIKfEEEESI_EEEEESK_NSA_INS5_IJNSC_16discard_iteratorINSC_11use_defaultEEESN_EEEEEPS7_SQ_SQ_NSC_11hip_rocprim7__merge17predicate_wrapperIffNSC_4lessIfEEEEEE10hipError_tPvRmT0_T1_T2_T3_T4_T5_mmT6_P12ihipStream_tbEUlT_E_NS1_11comp_targetILNS1_3genE5ELNS1_11target_archE942ELNS1_3gpuE9ELNS1_3repE0EEENS1_30default_config_static_selectorELNS0_4arch9wavefront6targetE0EEEvS11_.private_seg_size, 0
	.set _ZN7rocprim17ROCPRIM_400000_NS6detail17trampoline_kernelINS0_14default_configENS1_21merge_config_selectorINS0_5tupleIJffEEENS0_10empty_typeEEEZNS1_10merge_implIS3_NS0_12zip_iteratorINS5_IJN6thrust23THRUST_200600_302600_NS6detail15normal_iteratorINSC_10device_ptrIKfEEEESI_EEEEESK_NSA_INS5_IJNSC_16discard_iteratorINSC_11use_defaultEEESN_EEEEEPS7_SQ_SQ_NSC_11hip_rocprim7__merge17predicate_wrapperIffNSC_4lessIfEEEEEE10hipError_tPvRmT0_T1_T2_T3_T4_T5_mmT6_P12ihipStream_tbEUlT_E_NS1_11comp_targetILNS1_3genE5ELNS1_11target_archE942ELNS1_3gpuE9ELNS1_3repE0EEENS1_30default_config_static_selectorELNS0_4arch9wavefront6targetE0EEEvS11_.uses_vcc, 0
	.set _ZN7rocprim17ROCPRIM_400000_NS6detail17trampoline_kernelINS0_14default_configENS1_21merge_config_selectorINS0_5tupleIJffEEENS0_10empty_typeEEEZNS1_10merge_implIS3_NS0_12zip_iteratorINS5_IJN6thrust23THRUST_200600_302600_NS6detail15normal_iteratorINSC_10device_ptrIKfEEEESI_EEEEESK_NSA_INS5_IJNSC_16discard_iteratorINSC_11use_defaultEEESN_EEEEEPS7_SQ_SQ_NSC_11hip_rocprim7__merge17predicate_wrapperIffNSC_4lessIfEEEEEE10hipError_tPvRmT0_T1_T2_T3_T4_T5_mmT6_P12ihipStream_tbEUlT_E_NS1_11comp_targetILNS1_3genE5ELNS1_11target_archE942ELNS1_3gpuE9ELNS1_3repE0EEENS1_30default_config_static_selectorELNS0_4arch9wavefront6targetE0EEEvS11_.uses_flat_scratch, 0
	.set _ZN7rocprim17ROCPRIM_400000_NS6detail17trampoline_kernelINS0_14default_configENS1_21merge_config_selectorINS0_5tupleIJffEEENS0_10empty_typeEEEZNS1_10merge_implIS3_NS0_12zip_iteratorINS5_IJN6thrust23THRUST_200600_302600_NS6detail15normal_iteratorINSC_10device_ptrIKfEEEESI_EEEEESK_NSA_INS5_IJNSC_16discard_iteratorINSC_11use_defaultEEESN_EEEEEPS7_SQ_SQ_NSC_11hip_rocprim7__merge17predicate_wrapperIffNSC_4lessIfEEEEEE10hipError_tPvRmT0_T1_T2_T3_T4_T5_mmT6_P12ihipStream_tbEUlT_E_NS1_11comp_targetILNS1_3genE5ELNS1_11target_archE942ELNS1_3gpuE9ELNS1_3repE0EEENS1_30default_config_static_selectorELNS0_4arch9wavefront6targetE0EEEvS11_.has_dyn_sized_stack, 0
	.set _ZN7rocprim17ROCPRIM_400000_NS6detail17trampoline_kernelINS0_14default_configENS1_21merge_config_selectorINS0_5tupleIJffEEENS0_10empty_typeEEEZNS1_10merge_implIS3_NS0_12zip_iteratorINS5_IJN6thrust23THRUST_200600_302600_NS6detail15normal_iteratorINSC_10device_ptrIKfEEEESI_EEEEESK_NSA_INS5_IJNSC_16discard_iteratorINSC_11use_defaultEEESN_EEEEEPS7_SQ_SQ_NSC_11hip_rocprim7__merge17predicate_wrapperIffNSC_4lessIfEEEEEE10hipError_tPvRmT0_T1_T2_T3_T4_T5_mmT6_P12ihipStream_tbEUlT_E_NS1_11comp_targetILNS1_3genE5ELNS1_11target_archE942ELNS1_3gpuE9ELNS1_3repE0EEENS1_30default_config_static_selectorELNS0_4arch9wavefront6targetE0EEEvS11_.has_recursion, 0
	.set _ZN7rocprim17ROCPRIM_400000_NS6detail17trampoline_kernelINS0_14default_configENS1_21merge_config_selectorINS0_5tupleIJffEEENS0_10empty_typeEEEZNS1_10merge_implIS3_NS0_12zip_iteratorINS5_IJN6thrust23THRUST_200600_302600_NS6detail15normal_iteratorINSC_10device_ptrIKfEEEESI_EEEEESK_NSA_INS5_IJNSC_16discard_iteratorINSC_11use_defaultEEESN_EEEEEPS7_SQ_SQ_NSC_11hip_rocprim7__merge17predicate_wrapperIffNSC_4lessIfEEEEEE10hipError_tPvRmT0_T1_T2_T3_T4_T5_mmT6_P12ihipStream_tbEUlT_E_NS1_11comp_targetILNS1_3genE5ELNS1_11target_archE942ELNS1_3gpuE9ELNS1_3repE0EEENS1_30default_config_static_selectorELNS0_4arch9wavefront6targetE0EEEvS11_.has_indirect_call, 0
	.section	.AMDGPU.csdata,"",@progbits
; Kernel info:
; codeLenInByte = 0
; TotalNumSgprs: 0
; NumVgprs: 0
; ScratchSize: 0
; MemoryBound: 0
; FloatMode: 240
; IeeeMode: 1
; LDSByteSize: 0 bytes/workgroup (compile time only)
; SGPRBlocks: 0
; VGPRBlocks: 0
; NumSGPRsForWavesPerEU: 1
; NumVGPRsForWavesPerEU: 1
; Occupancy: 16
; WaveLimiterHint : 0
; COMPUTE_PGM_RSRC2:SCRATCH_EN: 0
; COMPUTE_PGM_RSRC2:USER_SGPR: 6
; COMPUTE_PGM_RSRC2:TRAP_HANDLER: 0
; COMPUTE_PGM_RSRC2:TGID_X_EN: 1
; COMPUTE_PGM_RSRC2:TGID_Y_EN: 0
; COMPUTE_PGM_RSRC2:TGID_Z_EN: 0
; COMPUTE_PGM_RSRC2:TIDIG_COMP_CNT: 0
	.section	.text._ZN7rocprim17ROCPRIM_400000_NS6detail17trampoline_kernelINS0_14default_configENS1_21merge_config_selectorINS0_5tupleIJffEEENS0_10empty_typeEEEZNS1_10merge_implIS3_NS0_12zip_iteratorINS5_IJN6thrust23THRUST_200600_302600_NS6detail15normal_iteratorINSC_10device_ptrIKfEEEESI_EEEEESK_NSA_INS5_IJNSC_16discard_iteratorINSC_11use_defaultEEESN_EEEEEPS7_SQ_SQ_NSC_11hip_rocprim7__merge17predicate_wrapperIffNSC_4lessIfEEEEEE10hipError_tPvRmT0_T1_T2_T3_T4_T5_mmT6_P12ihipStream_tbEUlT_E_NS1_11comp_targetILNS1_3genE4ELNS1_11target_archE910ELNS1_3gpuE8ELNS1_3repE0EEENS1_30default_config_static_selectorELNS0_4arch9wavefront6targetE0EEEvS11_,"axG",@progbits,_ZN7rocprim17ROCPRIM_400000_NS6detail17trampoline_kernelINS0_14default_configENS1_21merge_config_selectorINS0_5tupleIJffEEENS0_10empty_typeEEEZNS1_10merge_implIS3_NS0_12zip_iteratorINS5_IJN6thrust23THRUST_200600_302600_NS6detail15normal_iteratorINSC_10device_ptrIKfEEEESI_EEEEESK_NSA_INS5_IJNSC_16discard_iteratorINSC_11use_defaultEEESN_EEEEEPS7_SQ_SQ_NSC_11hip_rocprim7__merge17predicate_wrapperIffNSC_4lessIfEEEEEE10hipError_tPvRmT0_T1_T2_T3_T4_T5_mmT6_P12ihipStream_tbEUlT_E_NS1_11comp_targetILNS1_3genE4ELNS1_11target_archE910ELNS1_3gpuE8ELNS1_3repE0EEENS1_30default_config_static_selectorELNS0_4arch9wavefront6targetE0EEEvS11_,comdat
	.protected	_ZN7rocprim17ROCPRIM_400000_NS6detail17trampoline_kernelINS0_14default_configENS1_21merge_config_selectorINS0_5tupleIJffEEENS0_10empty_typeEEEZNS1_10merge_implIS3_NS0_12zip_iteratorINS5_IJN6thrust23THRUST_200600_302600_NS6detail15normal_iteratorINSC_10device_ptrIKfEEEESI_EEEEESK_NSA_INS5_IJNSC_16discard_iteratorINSC_11use_defaultEEESN_EEEEEPS7_SQ_SQ_NSC_11hip_rocprim7__merge17predicate_wrapperIffNSC_4lessIfEEEEEE10hipError_tPvRmT0_T1_T2_T3_T4_T5_mmT6_P12ihipStream_tbEUlT_E_NS1_11comp_targetILNS1_3genE4ELNS1_11target_archE910ELNS1_3gpuE8ELNS1_3repE0EEENS1_30default_config_static_selectorELNS0_4arch9wavefront6targetE0EEEvS11_ ; -- Begin function _ZN7rocprim17ROCPRIM_400000_NS6detail17trampoline_kernelINS0_14default_configENS1_21merge_config_selectorINS0_5tupleIJffEEENS0_10empty_typeEEEZNS1_10merge_implIS3_NS0_12zip_iteratorINS5_IJN6thrust23THRUST_200600_302600_NS6detail15normal_iteratorINSC_10device_ptrIKfEEEESI_EEEEESK_NSA_INS5_IJNSC_16discard_iteratorINSC_11use_defaultEEESN_EEEEEPS7_SQ_SQ_NSC_11hip_rocprim7__merge17predicate_wrapperIffNSC_4lessIfEEEEEE10hipError_tPvRmT0_T1_T2_T3_T4_T5_mmT6_P12ihipStream_tbEUlT_E_NS1_11comp_targetILNS1_3genE4ELNS1_11target_archE910ELNS1_3gpuE8ELNS1_3repE0EEENS1_30default_config_static_selectorELNS0_4arch9wavefront6targetE0EEEvS11_
	.globl	_ZN7rocprim17ROCPRIM_400000_NS6detail17trampoline_kernelINS0_14default_configENS1_21merge_config_selectorINS0_5tupleIJffEEENS0_10empty_typeEEEZNS1_10merge_implIS3_NS0_12zip_iteratorINS5_IJN6thrust23THRUST_200600_302600_NS6detail15normal_iteratorINSC_10device_ptrIKfEEEESI_EEEEESK_NSA_INS5_IJNSC_16discard_iteratorINSC_11use_defaultEEESN_EEEEEPS7_SQ_SQ_NSC_11hip_rocprim7__merge17predicate_wrapperIffNSC_4lessIfEEEEEE10hipError_tPvRmT0_T1_T2_T3_T4_T5_mmT6_P12ihipStream_tbEUlT_E_NS1_11comp_targetILNS1_3genE4ELNS1_11target_archE910ELNS1_3gpuE8ELNS1_3repE0EEENS1_30default_config_static_selectorELNS0_4arch9wavefront6targetE0EEEvS11_
	.p2align	8
	.type	_ZN7rocprim17ROCPRIM_400000_NS6detail17trampoline_kernelINS0_14default_configENS1_21merge_config_selectorINS0_5tupleIJffEEENS0_10empty_typeEEEZNS1_10merge_implIS3_NS0_12zip_iteratorINS5_IJN6thrust23THRUST_200600_302600_NS6detail15normal_iteratorINSC_10device_ptrIKfEEEESI_EEEEESK_NSA_INS5_IJNSC_16discard_iteratorINSC_11use_defaultEEESN_EEEEEPS7_SQ_SQ_NSC_11hip_rocprim7__merge17predicate_wrapperIffNSC_4lessIfEEEEEE10hipError_tPvRmT0_T1_T2_T3_T4_T5_mmT6_P12ihipStream_tbEUlT_E_NS1_11comp_targetILNS1_3genE4ELNS1_11target_archE910ELNS1_3gpuE8ELNS1_3repE0EEENS1_30default_config_static_selectorELNS0_4arch9wavefront6targetE0EEEvS11_,@function
_ZN7rocprim17ROCPRIM_400000_NS6detail17trampoline_kernelINS0_14default_configENS1_21merge_config_selectorINS0_5tupleIJffEEENS0_10empty_typeEEEZNS1_10merge_implIS3_NS0_12zip_iteratorINS5_IJN6thrust23THRUST_200600_302600_NS6detail15normal_iteratorINSC_10device_ptrIKfEEEESI_EEEEESK_NSA_INS5_IJNSC_16discard_iteratorINSC_11use_defaultEEESN_EEEEEPS7_SQ_SQ_NSC_11hip_rocprim7__merge17predicate_wrapperIffNSC_4lessIfEEEEEE10hipError_tPvRmT0_T1_T2_T3_T4_T5_mmT6_P12ihipStream_tbEUlT_E_NS1_11comp_targetILNS1_3genE4ELNS1_11target_archE910ELNS1_3gpuE8ELNS1_3repE0EEENS1_30default_config_static_selectorELNS0_4arch9wavefront6targetE0EEEvS11_: ; @_ZN7rocprim17ROCPRIM_400000_NS6detail17trampoline_kernelINS0_14default_configENS1_21merge_config_selectorINS0_5tupleIJffEEENS0_10empty_typeEEEZNS1_10merge_implIS3_NS0_12zip_iteratorINS5_IJN6thrust23THRUST_200600_302600_NS6detail15normal_iteratorINSC_10device_ptrIKfEEEESI_EEEEESK_NSA_INS5_IJNSC_16discard_iteratorINSC_11use_defaultEEESN_EEEEEPS7_SQ_SQ_NSC_11hip_rocprim7__merge17predicate_wrapperIffNSC_4lessIfEEEEEE10hipError_tPvRmT0_T1_T2_T3_T4_T5_mmT6_P12ihipStream_tbEUlT_E_NS1_11comp_targetILNS1_3genE4ELNS1_11target_archE910ELNS1_3gpuE8ELNS1_3repE0EEENS1_30default_config_static_selectorELNS0_4arch9wavefront6targetE0EEEvS11_
; %bb.0:
	.section	.rodata,"a",@progbits
	.p2align	6, 0x0
	.amdhsa_kernel _ZN7rocprim17ROCPRIM_400000_NS6detail17trampoline_kernelINS0_14default_configENS1_21merge_config_selectorINS0_5tupleIJffEEENS0_10empty_typeEEEZNS1_10merge_implIS3_NS0_12zip_iteratorINS5_IJN6thrust23THRUST_200600_302600_NS6detail15normal_iteratorINSC_10device_ptrIKfEEEESI_EEEEESK_NSA_INS5_IJNSC_16discard_iteratorINSC_11use_defaultEEESN_EEEEEPS7_SQ_SQ_NSC_11hip_rocprim7__merge17predicate_wrapperIffNSC_4lessIfEEEEEE10hipError_tPvRmT0_T1_T2_T3_T4_T5_mmT6_P12ihipStream_tbEUlT_E_NS1_11comp_targetILNS1_3genE4ELNS1_11target_archE910ELNS1_3gpuE8ELNS1_3repE0EEENS1_30default_config_static_selectorELNS0_4arch9wavefront6targetE0EEEvS11_
		.amdhsa_group_segment_fixed_size 0
		.amdhsa_private_segment_fixed_size 0
		.amdhsa_kernarg_size 64
		.amdhsa_user_sgpr_count 6
		.amdhsa_user_sgpr_private_segment_buffer 1
		.amdhsa_user_sgpr_dispatch_ptr 0
		.amdhsa_user_sgpr_queue_ptr 0
		.amdhsa_user_sgpr_kernarg_segment_ptr 1
		.amdhsa_user_sgpr_dispatch_id 0
		.amdhsa_user_sgpr_flat_scratch_init 0
		.amdhsa_user_sgpr_private_segment_size 0
		.amdhsa_wavefront_size32 1
		.amdhsa_uses_dynamic_stack 0
		.amdhsa_system_sgpr_private_segment_wavefront_offset 0
		.amdhsa_system_sgpr_workgroup_id_x 1
		.amdhsa_system_sgpr_workgroup_id_y 0
		.amdhsa_system_sgpr_workgroup_id_z 0
		.amdhsa_system_sgpr_workgroup_info 0
		.amdhsa_system_vgpr_workitem_id 0
		.amdhsa_next_free_vgpr 1
		.amdhsa_next_free_sgpr 1
		.amdhsa_reserve_vcc 0
		.amdhsa_reserve_flat_scratch 0
		.amdhsa_float_round_mode_32 0
		.amdhsa_float_round_mode_16_64 0
		.amdhsa_float_denorm_mode_32 3
		.amdhsa_float_denorm_mode_16_64 3
		.amdhsa_dx10_clamp 1
		.amdhsa_ieee_mode 1
		.amdhsa_fp16_overflow 0
		.amdhsa_workgroup_processor_mode 1
		.amdhsa_memory_ordered 1
		.amdhsa_forward_progress 1
		.amdhsa_shared_vgpr_count 0
		.amdhsa_exception_fp_ieee_invalid_op 0
		.amdhsa_exception_fp_denorm_src 0
		.amdhsa_exception_fp_ieee_div_zero 0
		.amdhsa_exception_fp_ieee_overflow 0
		.amdhsa_exception_fp_ieee_underflow 0
		.amdhsa_exception_fp_ieee_inexact 0
		.amdhsa_exception_int_div_zero 0
	.end_amdhsa_kernel
	.section	.text._ZN7rocprim17ROCPRIM_400000_NS6detail17trampoline_kernelINS0_14default_configENS1_21merge_config_selectorINS0_5tupleIJffEEENS0_10empty_typeEEEZNS1_10merge_implIS3_NS0_12zip_iteratorINS5_IJN6thrust23THRUST_200600_302600_NS6detail15normal_iteratorINSC_10device_ptrIKfEEEESI_EEEEESK_NSA_INS5_IJNSC_16discard_iteratorINSC_11use_defaultEEESN_EEEEEPS7_SQ_SQ_NSC_11hip_rocprim7__merge17predicate_wrapperIffNSC_4lessIfEEEEEE10hipError_tPvRmT0_T1_T2_T3_T4_T5_mmT6_P12ihipStream_tbEUlT_E_NS1_11comp_targetILNS1_3genE4ELNS1_11target_archE910ELNS1_3gpuE8ELNS1_3repE0EEENS1_30default_config_static_selectorELNS0_4arch9wavefront6targetE0EEEvS11_,"axG",@progbits,_ZN7rocprim17ROCPRIM_400000_NS6detail17trampoline_kernelINS0_14default_configENS1_21merge_config_selectorINS0_5tupleIJffEEENS0_10empty_typeEEEZNS1_10merge_implIS3_NS0_12zip_iteratorINS5_IJN6thrust23THRUST_200600_302600_NS6detail15normal_iteratorINSC_10device_ptrIKfEEEESI_EEEEESK_NSA_INS5_IJNSC_16discard_iteratorINSC_11use_defaultEEESN_EEEEEPS7_SQ_SQ_NSC_11hip_rocprim7__merge17predicate_wrapperIffNSC_4lessIfEEEEEE10hipError_tPvRmT0_T1_T2_T3_T4_T5_mmT6_P12ihipStream_tbEUlT_E_NS1_11comp_targetILNS1_3genE4ELNS1_11target_archE910ELNS1_3gpuE8ELNS1_3repE0EEENS1_30default_config_static_selectorELNS0_4arch9wavefront6targetE0EEEvS11_,comdat
.Lfunc_end499:
	.size	_ZN7rocprim17ROCPRIM_400000_NS6detail17trampoline_kernelINS0_14default_configENS1_21merge_config_selectorINS0_5tupleIJffEEENS0_10empty_typeEEEZNS1_10merge_implIS3_NS0_12zip_iteratorINS5_IJN6thrust23THRUST_200600_302600_NS6detail15normal_iteratorINSC_10device_ptrIKfEEEESI_EEEEESK_NSA_INS5_IJNSC_16discard_iteratorINSC_11use_defaultEEESN_EEEEEPS7_SQ_SQ_NSC_11hip_rocprim7__merge17predicate_wrapperIffNSC_4lessIfEEEEEE10hipError_tPvRmT0_T1_T2_T3_T4_T5_mmT6_P12ihipStream_tbEUlT_E_NS1_11comp_targetILNS1_3genE4ELNS1_11target_archE910ELNS1_3gpuE8ELNS1_3repE0EEENS1_30default_config_static_selectorELNS0_4arch9wavefront6targetE0EEEvS11_, .Lfunc_end499-_ZN7rocprim17ROCPRIM_400000_NS6detail17trampoline_kernelINS0_14default_configENS1_21merge_config_selectorINS0_5tupleIJffEEENS0_10empty_typeEEEZNS1_10merge_implIS3_NS0_12zip_iteratorINS5_IJN6thrust23THRUST_200600_302600_NS6detail15normal_iteratorINSC_10device_ptrIKfEEEESI_EEEEESK_NSA_INS5_IJNSC_16discard_iteratorINSC_11use_defaultEEESN_EEEEEPS7_SQ_SQ_NSC_11hip_rocprim7__merge17predicate_wrapperIffNSC_4lessIfEEEEEE10hipError_tPvRmT0_T1_T2_T3_T4_T5_mmT6_P12ihipStream_tbEUlT_E_NS1_11comp_targetILNS1_3genE4ELNS1_11target_archE910ELNS1_3gpuE8ELNS1_3repE0EEENS1_30default_config_static_selectorELNS0_4arch9wavefront6targetE0EEEvS11_
                                        ; -- End function
	.set _ZN7rocprim17ROCPRIM_400000_NS6detail17trampoline_kernelINS0_14default_configENS1_21merge_config_selectorINS0_5tupleIJffEEENS0_10empty_typeEEEZNS1_10merge_implIS3_NS0_12zip_iteratorINS5_IJN6thrust23THRUST_200600_302600_NS6detail15normal_iteratorINSC_10device_ptrIKfEEEESI_EEEEESK_NSA_INS5_IJNSC_16discard_iteratorINSC_11use_defaultEEESN_EEEEEPS7_SQ_SQ_NSC_11hip_rocprim7__merge17predicate_wrapperIffNSC_4lessIfEEEEEE10hipError_tPvRmT0_T1_T2_T3_T4_T5_mmT6_P12ihipStream_tbEUlT_E_NS1_11comp_targetILNS1_3genE4ELNS1_11target_archE910ELNS1_3gpuE8ELNS1_3repE0EEENS1_30default_config_static_selectorELNS0_4arch9wavefront6targetE0EEEvS11_.num_vgpr, 0
	.set _ZN7rocprim17ROCPRIM_400000_NS6detail17trampoline_kernelINS0_14default_configENS1_21merge_config_selectorINS0_5tupleIJffEEENS0_10empty_typeEEEZNS1_10merge_implIS3_NS0_12zip_iteratorINS5_IJN6thrust23THRUST_200600_302600_NS6detail15normal_iteratorINSC_10device_ptrIKfEEEESI_EEEEESK_NSA_INS5_IJNSC_16discard_iteratorINSC_11use_defaultEEESN_EEEEEPS7_SQ_SQ_NSC_11hip_rocprim7__merge17predicate_wrapperIffNSC_4lessIfEEEEEE10hipError_tPvRmT0_T1_T2_T3_T4_T5_mmT6_P12ihipStream_tbEUlT_E_NS1_11comp_targetILNS1_3genE4ELNS1_11target_archE910ELNS1_3gpuE8ELNS1_3repE0EEENS1_30default_config_static_selectorELNS0_4arch9wavefront6targetE0EEEvS11_.num_agpr, 0
	.set _ZN7rocprim17ROCPRIM_400000_NS6detail17trampoline_kernelINS0_14default_configENS1_21merge_config_selectorINS0_5tupleIJffEEENS0_10empty_typeEEEZNS1_10merge_implIS3_NS0_12zip_iteratorINS5_IJN6thrust23THRUST_200600_302600_NS6detail15normal_iteratorINSC_10device_ptrIKfEEEESI_EEEEESK_NSA_INS5_IJNSC_16discard_iteratorINSC_11use_defaultEEESN_EEEEEPS7_SQ_SQ_NSC_11hip_rocprim7__merge17predicate_wrapperIffNSC_4lessIfEEEEEE10hipError_tPvRmT0_T1_T2_T3_T4_T5_mmT6_P12ihipStream_tbEUlT_E_NS1_11comp_targetILNS1_3genE4ELNS1_11target_archE910ELNS1_3gpuE8ELNS1_3repE0EEENS1_30default_config_static_selectorELNS0_4arch9wavefront6targetE0EEEvS11_.numbered_sgpr, 0
	.set _ZN7rocprim17ROCPRIM_400000_NS6detail17trampoline_kernelINS0_14default_configENS1_21merge_config_selectorINS0_5tupleIJffEEENS0_10empty_typeEEEZNS1_10merge_implIS3_NS0_12zip_iteratorINS5_IJN6thrust23THRUST_200600_302600_NS6detail15normal_iteratorINSC_10device_ptrIKfEEEESI_EEEEESK_NSA_INS5_IJNSC_16discard_iteratorINSC_11use_defaultEEESN_EEEEEPS7_SQ_SQ_NSC_11hip_rocprim7__merge17predicate_wrapperIffNSC_4lessIfEEEEEE10hipError_tPvRmT0_T1_T2_T3_T4_T5_mmT6_P12ihipStream_tbEUlT_E_NS1_11comp_targetILNS1_3genE4ELNS1_11target_archE910ELNS1_3gpuE8ELNS1_3repE0EEENS1_30default_config_static_selectorELNS0_4arch9wavefront6targetE0EEEvS11_.num_named_barrier, 0
	.set _ZN7rocprim17ROCPRIM_400000_NS6detail17trampoline_kernelINS0_14default_configENS1_21merge_config_selectorINS0_5tupleIJffEEENS0_10empty_typeEEEZNS1_10merge_implIS3_NS0_12zip_iteratorINS5_IJN6thrust23THRUST_200600_302600_NS6detail15normal_iteratorINSC_10device_ptrIKfEEEESI_EEEEESK_NSA_INS5_IJNSC_16discard_iteratorINSC_11use_defaultEEESN_EEEEEPS7_SQ_SQ_NSC_11hip_rocprim7__merge17predicate_wrapperIffNSC_4lessIfEEEEEE10hipError_tPvRmT0_T1_T2_T3_T4_T5_mmT6_P12ihipStream_tbEUlT_E_NS1_11comp_targetILNS1_3genE4ELNS1_11target_archE910ELNS1_3gpuE8ELNS1_3repE0EEENS1_30default_config_static_selectorELNS0_4arch9wavefront6targetE0EEEvS11_.private_seg_size, 0
	.set _ZN7rocprim17ROCPRIM_400000_NS6detail17trampoline_kernelINS0_14default_configENS1_21merge_config_selectorINS0_5tupleIJffEEENS0_10empty_typeEEEZNS1_10merge_implIS3_NS0_12zip_iteratorINS5_IJN6thrust23THRUST_200600_302600_NS6detail15normal_iteratorINSC_10device_ptrIKfEEEESI_EEEEESK_NSA_INS5_IJNSC_16discard_iteratorINSC_11use_defaultEEESN_EEEEEPS7_SQ_SQ_NSC_11hip_rocprim7__merge17predicate_wrapperIffNSC_4lessIfEEEEEE10hipError_tPvRmT0_T1_T2_T3_T4_T5_mmT6_P12ihipStream_tbEUlT_E_NS1_11comp_targetILNS1_3genE4ELNS1_11target_archE910ELNS1_3gpuE8ELNS1_3repE0EEENS1_30default_config_static_selectorELNS0_4arch9wavefront6targetE0EEEvS11_.uses_vcc, 0
	.set _ZN7rocprim17ROCPRIM_400000_NS6detail17trampoline_kernelINS0_14default_configENS1_21merge_config_selectorINS0_5tupleIJffEEENS0_10empty_typeEEEZNS1_10merge_implIS3_NS0_12zip_iteratorINS5_IJN6thrust23THRUST_200600_302600_NS6detail15normal_iteratorINSC_10device_ptrIKfEEEESI_EEEEESK_NSA_INS5_IJNSC_16discard_iteratorINSC_11use_defaultEEESN_EEEEEPS7_SQ_SQ_NSC_11hip_rocprim7__merge17predicate_wrapperIffNSC_4lessIfEEEEEE10hipError_tPvRmT0_T1_T2_T3_T4_T5_mmT6_P12ihipStream_tbEUlT_E_NS1_11comp_targetILNS1_3genE4ELNS1_11target_archE910ELNS1_3gpuE8ELNS1_3repE0EEENS1_30default_config_static_selectorELNS0_4arch9wavefront6targetE0EEEvS11_.uses_flat_scratch, 0
	.set _ZN7rocprim17ROCPRIM_400000_NS6detail17trampoline_kernelINS0_14default_configENS1_21merge_config_selectorINS0_5tupleIJffEEENS0_10empty_typeEEEZNS1_10merge_implIS3_NS0_12zip_iteratorINS5_IJN6thrust23THRUST_200600_302600_NS6detail15normal_iteratorINSC_10device_ptrIKfEEEESI_EEEEESK_NSA_INS5_IJNSC_16discard_iteratorINSC_11use_defaultEEESN_EEEEEPS7_SQ_SQ_NSC_11hip_rocprim7__merge17predicate_wrapperIffNSC_4lessIfEEEEEE10hipError_tPvRmT0_T1_T2_T3_T4_T5_mmT6_P12ihipStream_tbEUlT_E_NS1_11comp_targetILNS1_3genE4ELNS1_11target_archE910ELNS1_3gpuE8ELNS1_3repE0EEENS1_30default_config_static_selectorELNS0_4arch9wavefront6targetE0EEEvS11_.has_dyn_sized_stack, 0
	.set _ZN7rocprim17ROCPRIM_400000_NS6detail17trampoline_kernelINS0_14default_configENS1_21merge_config_selectorINS0_5tupleIJffEEENS0_10empty_typeEEEZNS1_10merge_implIS3_NS0_12zip_iteratorINS5_IJN6thrust23THRUST_200600_302600_NS6detail15normal_iteratorINSC_10device_ptrIKfEEEESI_EEEEESK_NSA_INS5_IJNSC_16discard_iteratorINSC_11use_defaultEEESN_EEEEEPS7_SQ_SQ_NSC_11hip_rocprim7__merge17predicate_wrapperIffNSC_4lessIfEEEEEE10hipError_tPvRmT0_T1_T2_T3_T4_T5_mmT6_P12ihipStream_tbEUlT_E_NS1_11comp_targetILNS1_3genE4ELNS1_11target_archE910ELNS1_3gpuE8ELNS1_3repE0EEENS1_30default_config_static_selectorELNS0_4arch9wavefront6targetE0EEEvS11_.has_recursion, 0
	.set _ZN7rocprim17ROCPRIM_400000_NS6detail17trampoline_kernelINS0_14default_configENS1_21merge_config_selectorINS0_5tupleIJffEEENS0_10empty_typeEEEZNS1_10merge_implIS3_NS0_12zip_iteratorINS5_IJN6thrust23THRUST_200600_302600_NS6detail15normal_iteratorINSC_10device_ptrIKfEEEESI_EEEEESK_NSA_INS5_IJNSC_16discard_iteratorINSC_11use_defaultEEESN_EEEEEPS7_SQ_SQ_NSC_11hip_rocprim7__merge17predicate_wrapperIffNSC_4lessIfEEEEEE10hipError_tPvRmT0_T1_T2_T3_T4_T5_mmT6_P12ihipStream_tbEUlT_E_NS1_11comp_targetILNS1_3genE4ELNS1_11target_archE910ELNS1_3gpuE8ELNS1_3repE0EEENS1_30default_config_static_selectorELNS0_4arch9wavefront6targetE0EEEvS11_.has_indirect_call, 0
	.section	.AMDGPU.csdata,"",@progbits
; Kernel info:
; codeLenInByte = 0
; TotalNumSgprs: 0
; NumVgprs: 0
; ScratchSize: 0
; MemoryBound: 0
; FloatMode: 240
; IeeeMode: 1
; LDSByteSize: 0 bytes/workgroup (compile time only)
; SGPRBlocks: 0
; VGPRBlocks: 0
; NumSGPRsForWavesPerEU: 1
; NumVGPRsForWavesPerEU: 1
; Occupancy: 16
; WaveLimiterHint : 0
; COMPUTE_PGM_RSRC2:SCRATCH_EN: 0
; COMPUTE_PGM_RSRC2:USER_SGPR: 6
; COMPUTE_PGM_RSRC2:TRAP_HANDLER: 0
; COMPUTE_PGM_RSRC2:TGID_X_EN: 1
; COMPUTE_PGM_RSRC2:TGID_Y_EN: 0
; COMPUTE_PGM_RSRC2:TGID_Z_EN: 0
; COMPUTE_PGM_RSRC2:TIDIG_COMP_CNT: 0
	.section	.text._ZN7rocprim17ROCPRIM_400000_NS6detail17trampoline_kernelINS0_14default_configENS1_21merge_config_selectorINS0_5tupleIJffEEENS0_10empty_typeEEEZNS1_10merge_implIS3_NS0_12zip_iteratorINS5_IJN6thrust23THRUST_200600_302600_NS6detail15normal_iteratorINSC_10device_ptrIKfEEEESI_EEEEESK_NSA_INS5_IJNSC_16discard_iteratorINSC_11use_defaultEEESN_EEEEEPS7_SQ_SQ_NSC_11hip_rocprim7__merge17predicate_wrapperIffNSC_4lessIfEEEEEE10hipError_tPvRmT0_T1_T2_T3_T4_T5_mmT6_P12ihipStream_tbEUlT_E_NS1_11comp_targetILNS1_3genE3ELNS1_11target_archE908ELNS1_3gpuE7ELNS1_3repE0EEENS1_30default_config_static_selectorELNS0_4arch9wavefront6targetE0EEEvS11_,"axG",@progbits,_ZN7rocprim17ROCPRIM_400000_NS6detail17trampoline_kernelINS0_14default_configENS1_21merge_config_selectorINS0_5tupleIJffEEENS0_10empty_typeEEEZNS1_10merge_implIS3_NS0_12zip_iteratorINS5_IJN6thrust23THRUST_200600_302600_NS6detail15normal_iteratorINSC_10device_ptrIKfEEEESI_EEEEESK_NSA_INS5_IJNSC_16discard_iteratorINSC_11use_defaultEEESN_EEEEEPS7_SQ_SQ_NSC_11hip_rocprim7__merge17predicate_wrapperIffNSC_4lessIfEEEEEE10hipError_tPvRmT0_T1_T2_T3_T4_T5_mmT6_P12ihipStream_tbEUlT_E_NS1_11comp_targetILNS1_3genE3ELNS1_11target_archE908ELNS1_3gpuE7ELNS1_3repE0EEENS1_30default_config_static_selectorELNS0_4arch9wavefront6targetE0EEEvS11_,comdat
	.protected	_ZN7rocprim17ROCPRIM_400000_NS6detail17trampoline_kernelINS0_14default_configENS1_21merge_config_selectorINS0_5tupleIJffEEENS0_10empty_typeEEEZNS1_10merge_implIS3_NS0_12zip_iteratorINS5_IJN6thrust23THRUST_200600_302600_NS6detail15normal_iteratorINSC_10device_ptrIKfEEEESI_EEEEESK_NSA_INS5_IJNSC_16discard_iteratorINSC_11use_defaultEEESN_EEEEEPS7_SQ_SQ_NSC_11hip_rocprim7__merge17predicate_wrapperIffNSC_4lessIfEEEEEE10hipError_tPvRmT0_T1_T2_T3_T4_T5_mmT6_P12ihipStream_tbEUlT_E_NS1_11comp_targetILNS1_3genE3ELNS1_11target_archE908ELNS1_3gpuE7ELNS1_3repE0EEENS1_30default_config_static_selectorELNS0_4arch9wavefront6targetE0EEEvS11_ ; -- Begin function _ZN7rocprim17ROCPRIM_400000_NS6detail17trampoline_kernelINS0_14default_configENS1_21merge_config_selectorINS0_5tupleIJffEEENS0_10empty_typeEEEZNS1_10merge_implIS3_NS0_12zip_iteratorINS5_IJN6thrust23THRUST_200600_302600_NS6detail15normal_iteratorINSC_10device_ptrIKfEEEESI_EEEEESK_NSA_INS5_IJNSC_16discard_iteratorINSC_11use_defaultEEESN_EEEEEPS7_SQ_SQ_NSC_11hip_rocprim7__merge17predicate_wrapperIffNSC_4lessIfEEEEEE10hipError_tPvRmT0_T1_T2_T3_T4_T5_mmT6_P12ihipStream_tbEUlT_E_NS1_11comp_targetILNS1_3genE3ELNS1_11target_archE908ELNS1_3gpuE7ELNS1_3repE0EEENS1_30default_config_static_selectorELNS0_4arch9wavefront6targetE0EEEvS11_
	.globl	_ZN7rocprim17ROCPRIM_400000_NS6detail17trampoline_kernelINS0_14default_configENS1_21merge_config_selectorINS0_5tupleIJffEEENS0_10empty_typeEEEZNS1_10merge_implIS3_NS0_12zip_iteratorINS5_IJN6thrust23THRUST_200600_302600_NS6detail15normal_iteratorINSC_10device_ptrIKfEEEESI_EEEEESK_NSA_INS5_IJNSC_16discard_iteratorINSC_11use_defaultEEESN_EEEEEPS7_SQ_SQ_NSC_11hip_rocprim7__merge17predicate_wrapperIffNSC_4lessIfEEEEEE10hipError_tPvRmT0_T1_T2_T3_T4_T5_mmT6_P12ihipStream_tbEUlT_E_NS1_11comp_targetILNS1_3genE3ELNS1_11target_archE908ELNS1_3gpuE7ELNS1_3repE0EEENS1_30default_config_static_selectorELNS0_4arch9wavefront6targetE0EEEvS11_
	.p2align	8
	.type	_ZN7rocprim17ROCPRIM_400000_NS6detail17trampoline_kernelINS0_14default_configENS1_21merge_config_selectorINS0_5tupleIJffEEENS0_10empty_typeEEEZNS1_10merge_implIS3_NS0_12zip_iteratorINS5_IJN6thrust23THRUST_200600_302600_NS6detail15normal_iteratorINSC_10device_ptrIKfEEEESI_EEEEESK_NSA_INS5_IJNSC_16discard_iteratorINSC_11use_defaultEEESN_EEEEEPS7_SQ_SQ_NSC_11hip_rocprim7__merge17predicate_wrapperIffNSC_4lessIfEEEEEE10hipError_tPvRmT0_T1_T2_T3_T4_T5_mmT6_P12ihipStream_tbEUlT_E_NS1_11comp_targetILNS1_3genE3ELNS1_11target_archE908ELNS1_3gpuE7ELNS1_3repE0EEENS1_30default_config_static_selectorELNS0_4arch9wavefront6targetE0EEEvS11_,@function
_ZN7rocprim17ROCPRIM_400000_NS6detail17trampoline_kernelINS0_14default_configENS1_21merge_config_selectorINS0_5tupleIJffEEENS0_10empty_typeEEEZNS1_10merge_implIS3_NS0_12zip_iteratorINS5_IJN6thrust23THRUST_200600_302600_NS6detail15normal_iteratorINSC_10device_ptrIKfEEEESI_EEEEESK_NSA_INS5_IJNSC_16discard_iteratorINSC_11use_defaultEEESN_EEEEEPS7_SQ_SQ_NSC_11hip_rocprim7__merge17predicate_wrapperIffNSC_4lessIfEEEEEE10hipError_tPvRmT0_T1_T2_T3_T4_T5_mmT6_P12ihipStream_tbEUlT_E_NS1_11comp_targetILNS1_3genE3ELNS1_11target_archE908ELNS1_3gpuE7ELNS1_3repE0EEENS1_30default_config_static_selectorELNS0_4arch9wavefront6targetE0EEEvS11_: ; @_ZN7rocprim17ROCPRIM_400000_NS6detail17trampoline_kernelINS0_14default_configENS1_21merge_config_selectorINS0_5tupleIJffEEENS0_10empty_typeEEEZNS1_10merge_implIS3_NS0_12zip_iteratorINS5_IJN6thrust23THRUST_200600_302600_NS6detail15normal_iteratorINSC_10device_ptrIKfEEEESI_EEEEESK_NSA_INS5_IJNSC_16discard_iteratorINSC_11use_defaultEEESN_EEEEEPS7_SQ_SQ_NSC_11hip_rocprim7__merge17predicate_wrapperIffNSC_4lessIfEEEEEE10hipError_tPvRmT0_T1_T2_T3_T4_T5_mmT6_P12ihipStream_tbEUlT_E_NS1_11comp_targetILNS1_3genE3ELNS1_11target_archE908ELNS1_3gpuE7ELNS1_3repE0EEENS1_30default_config_static_selectorELNS0_4arch9wavefront6targetE0EEEvS11_
; %bb.0:
	.section	.rodata,"a",@progbits
	.p2align	6, 0x0
	.amdhsa_kernel _ZN7rocprim17ROCPRIM_400000_NS6detail17trampoline_kernelINS0_14default_configENS1_21merge_config_selectorINS0_5tupleIJffEEENS0_10empty_typeEEEZNS1_10merge_implIS3_NS0_12zip_iteratorINS5_IJN6thrust23THRUST_200600_302600_NS6detail15normal_iteratorINSC_10device_ptrIKfEEEESI_EEEEESK_NSA_INS5_IJNSC_16discard_iteratorINSC_11use_defaultEEESN_EEEEEPS7_SQ_SQ_NSC_11hip_rocprim7__merge17predicate_wrapperIffNSC_4lessIfEEEEEE10hipError_tPvRmT0_T1_T2_T3_T4_T5_mmT6_P12ihipStream_tbEUlT_E_NS1_11comp_targetILNS1_3genE3ELNS1_11target_archE908ELNS1_3gpuE7ELNS1_3repE0EEENS1_30default_config_static_selectorELNS0_4arch9wavefront6targetE0EEEvS11_
		.amdhsa_group_segment_fixed_size 0
		.amdhsa_private_segment_fixed_size 0
		.amdhsa_kernarg_size 64
		.amdhsa_user_sgpr_count 6
		.amdhsa_user_sgpr_private_segment_buffer 1
		.amdhsa_user_sgpr_dispatch_ptr 0
		.amdhsa_user_sgpr_queue_ptr 0
		.amdhsa_user_sgpr_kernarg_segment_ptr 1
		.amdhsa_user_sgpr_dispatch_id 0
		.amdhsa_user_sgpr_flat_scratch_init 0
		.amdhsa_user_sgpr_private_segment_size 0
		.amdhsa_wavefront_size32 1
		.amdhsa_uses_dynamic_stack 0
		.amdhsa_system_sgpr_private_segment_wavefront_offset 0
		.amdhsa_system_sgpr_workgroup_id_x 1
		.amdhsa_system_sgpr_workgroup_id_y 0
		.amdhsa_system_sgpr_workgroup_id_z 0
		.amdhsa_system_sgpr_workgroup_info 0
		.amdhsa_system_vgpr_workitem_id 0
		.amdhsa_next_free_vgpr 1
		.amdhsa_next_free_sgpr 1
		.amdhsa_reserve_vcc 0
		.amdhsa_reserve_flat_scratch 0
		.amdhsa_float_round_mode_32 0
		.amdhsa_float_round_mode_16_64 0
		.amdhsa_float_denorm_mode_32 3
		.amdhsa_float_denorm_mode_16_64 3
		.amdhsa_dx10_clamp 1
		.amdhsa_ieee_mode 1
		.amdhsa_fp16_overflow 0
		.amdhsa_workgroup_processor_mode 1
		.amdhsa_memory_ordered 1
		.amdhsa_forward_progress 1
		.amdhsa_shared_vgpr_count 0
		.amdhsa_exception_fp_ieee_invalid_op 0
		.amdhsa_exception_fp_denorm_src 0
		.amdhsa_exception_fp_ieee_div_zero 0
		.amdhsa_exception_fp_ieee_overflow 0
		.amdhsa_exception_fp_ieee_underflow 0
		.amdhsa_exception_fp_ieee_inexact 0
		.amdhsa_exception_int_div_zero 0
	.end_amdhsa_kernel
	.section	.text._ZN7rocprim17ROCPRIM_400000_NS6detail17trampoline_kernelINS0_14default_configENS1_21merge_config_selectorINS0_5tupleIJffEEENS0_10empty_typeEEEZNS1_10merge_implIS3_NS0_12zip_iteratorINS5_IJN6thrust23THRUST_200600_302600_NS6detail15normal_iteratorINSC_10device_ptrIKfEEEESI_EEEEESK_NSA_INS5_IJNSC_16discard_iteratorINSC_11use_defaultEEESN_EEEEEPS7_SQ_SQ_NSC_11hip_rocprim7__merge17predicate_wrapperIffNSC_4lessIfEEEEEE10hipError_tPvRmT0_T1_T2_T3_T4_T5_mmT6_P12ihipStream_tbEUlT_E_NS1_11comp_targetILNS1_3genE3ELNS1_11target_archE908ELNS1_3gpuE7ELNS1_3repE0EEENS1_30default_config_static_selectorELNS0_4arch9wavefront6targetE0EEEvS11_,"axG",@progbits,_ZN7rocprim17ROCPRIM_400000_NS6detail17trampoline_kernelINS0_14default_configENS1_21merge_config_selectorINS0_5tupleIJffEEENS0_10empty_typeEEEZNS1_10merge_implIS3_NS0_12zip_iteratorINS5_IJN6thrust23THRUST_200600_302600_NS6detail15normal_iteratorINSC_10device_ptrIKfEEEESI_EEEEESK_NSA_INS5_IJNSC_16discard_iteratorINSC_11use_defaultEEESN_EEEEEPS7_SQ_SQ_NSC_11hip_rocprim7__merge17predicate_wrapperIffNSC_4lessIfEEEEEE10hipError_tPvRmT0_T1_T2_T3_T4_T5_mmT6_P12ihipStream_tbEUlT_E_NS1_11comp_targetILNS1_3genE3ELNS1_11target_archE908ELNS1_3gpuE7ELNS1_3repE0EEENS1_30default_config_static_selectorELNS0_4arch9wavefront6targetE0EEEvS11_,comdat
.Lfunc_end500:
	.size	_ZN7rocprim17ROCPRIM_400000_NS6detail17trampoline_kernelINS0_14default_configENS1_21merge_config_selectorINS0_5tupleIJffEEENS0_10empty_typeEEEZNS1_10merge_implIS3_NS0_12zip_iteratorINS5_IJN6thrust23THRUST_200600_302600_NS6detail15normal_iteratorINSC_10device_ptrIKfEEEESI_EEEEESK_NSA_INS5_IJNSC_16discard_iteratorINSC_11use_defaultEEESN_EEEEEPS7_SQ_SQ_NSC_11hip_rocprim7__merge17predicate_wrapperIffNSC_4lessIfEEEEEE10hipError_tPvRmT0_T1_T2_T3_T4_T5_mmT6_P12ihipStream_tbEUlT_E_NS1_11comp_targetILNS1_3genE3ELNS1_11target_archE908ELNS1_3gpuE7ELNS1_3repE0EEENS1_30default_config_static_selectorELNS0_4arch9wavefront6targetE0EEEvS11_, .Lfunc_end500-_ZN7rocprim17ROCPRIM_400000_NS6detail17trampoline_kernelINS0_14default_configENS1_21merge_config_selectorINS0_5tupleIJffEEENS0_10empty_typeEEEZNS1_10merge_implIS3_NS0_12zip_iteratorINS5_IJN6thrust23THRUST_200600_302600_NS6detail15normal_iteratorINSC_10device_ptrIKfEEEESI_EEEEESK_NSA_INS5_IJNSC_16discard_iteratorINSC_11use_defaultEEESN_EEEEEPS7_SQ_SQ_NSC_11hip_rocprim7__merge17predicate_wrapperIffNSC_4lessIfEEEEEE10hipError_tPvRmT0_T1_T2_T3_T4_T5_mmT6_P12ihipStream_tbEUlT_E_NS1_11comp_targetILNS1_3genE3ELNS1_11target_archE908ELNS1_3gpuE7ELNS1_3repE0EEENS1_30default_config_static_selectorELNS0_4arch9wavefront6targetE0EEEvS11_
                                        ; -- End function
	.set _ZN7rocprim17ROCPRIM_400000_NS6detail17trampoline_kernelINS0_14default_configENS1_21merge_config_selectorINS0_5tupleIJffEEENS0_10empty_typeEEEZNS1_10merge_implIS3_NS0_12zip_iteratorINS5_IJN6thrust23THRUST_200600_302600_NS6detail15normal_iteratorINSC_10device_ptrIKfEEEESI_EEEEESK_NSA_INS5_IJNSC_16discard_iteratorINSC_11use_defaultEEESN_EEEEEPS7_SQ_SQ_NSC_11hip_rocprim7__merge17predicate_wrapperIffNSC_4lessIfEEEEEE10hipError_tPvRmT0_T1_T2_T3_T4_T5_mmT6_P12ihipStream_tbEUlT_E_NS1_11comp_targetILNS1_3genE3ELNS1_11target_archE908ELNS1_3gpuE7ELNS1_3repE0EEENS1_30default_config_static_selectorELNS0_4arch9wavefront6targetE0EEEvS11_.num_vgpr, 0
	.set _ZN7rocprim17ROCPRIM_400000_NS6detail17trampoline_kernelINS0_14default_configENS1_21merge_config_selectorINS0_5tupleIJffEEENS0_10empty_typeEEEZNS1_10merge_implIS3_NS0_12zip_iteratorINS5_IJN6thrust23THRUST_200600_302600_NS6detail15normal_iteratorINSC_10device_ptrIKfEEEESI_EEEEESK_NSA_INS5_IJNSC_16discard_iteratorINSC_11use_defaultEEESN_EEEEEPS7_SQ_SQ_NSC_11hip_rocprim7__merge17predicate_wrapperIffNSC_4lessIfEEEEEE10hipError_tPvRmT0_T1_T2_T3_T4_T5_mmT6_P12ihipStream_tbEUlT_E_NS1_11comp_targetILNS1_3genE3ELNS1_11target_archE908ELNS1_3gpuE7ELNS1_3repE0EEENS1_30default_config_static_selectorELNS0_4arch9wavefront6targetE0EEEvS11_.num_agpr, 0
	.set _ZN7rocprim17ROCPRIM_400000_NS6detail17trampoline_kernelINS0_14default_configENS1_21merge_config_selectorINS0_5tupleIJffEEENS0_10empty_typeEEEZNS1_10merge_implIS3_NS0_12zip_iteratorINS5_IJN6thrust23THRUST_200600_302600_NS6detail15normal_iteratorINSC_10device_ptrIKfEEEESI_EEEEESK_NSA_INS5_IJNSC_16discard_iteratorINSC_11use_defaultEEESN_EEEEEPS7_SQ_SQ_NSC_11hip_rocprim7__merge17predicate_wrapperIffNSC_4lessIfEEEEEE10hipError_tPvRmT0_T1_T2_T3_T4_T5_mmT6_P12ihipStream_tbEUlT_E_NS1_11comp_targetILNS1_3genE3ELNS1_11target_archE908ELNS1_3gpuE7ELNS1_3repE0EEENS1_30default_config_static_selectorELNS0_4arch9wavefront6targetE0EEEvS11_.numbered_sgpr, 0
	.set _ZN7rocprim17ROCPRIM_400000_NS6detail17trampoline_kernelINS0_14default_configENS1_21merge_config_selectorINS0_5tupleIJffEEENS0_10empty_typeEEEZNS1_10merge_implIS3_NS0_12zip_iteratorINS5_IJN6thrust23THRUST_200600_302600_NS6detail15normal_iteratorINSC_10device_ptrIKfEEEESI_EEEEESK_NSA_INS5_IJNSC_16discard_iteratorINSC_11use_defaultEEESN_EEEEEPS7_SQ_SQ_NSC_11hip_rocprim7__merge17predicate_wrapperIffNSC_4lessIfEEEEEE10hipError_tPvRmT0_T1_T2_T3_T4_T5_mmT6_P12ihipStream_tbEUlT_E_NS1_11comp_targetILNS1_3genE3ELNS1_11target_archE908ELNS1_3gpuE7ELNS1_3repE0EEENS1_30default_config_static_selectorELNS0_4arch9wavefront6targetE0EEEvS11_.num_named_barrier, 0
	.set _ZN7rocprim17ROCPRIM_400000_NS6detail17trampoline_kernelINS0_14default_configENS1_21merge_config_selectorINS0_5tupleIJffEEENS0_10empty_typeEEEZNS1_10merge_implIS3_NS0_12zip_iteratorINS5_IJN6thrust23THRUST_200600_302600_NS6detail15normal_iteratorINSC_10device_ptrIKfEEEESI_EEEEESK_NSA_INS5_IJNSC_16discard_iteratorINSC_11use_defaultEEESN_EEEEEPS7_SQ_SQ_NSC_11hip_rocprim7__merge17predicate_wrapperIffNSC_4lessIfEEEEEE10hipError_tPvRmT0_T1_T2_T3_T4_T5_mmT6_P12ihipStream_tbEUlT_E_NS1_11comp_targetILNS1_3genE3ELNS1_11target_archE908ELNS1_3gpuE7ELNS1_3repE0EEENS1_30default_config_static_selectorELNS0_4arch9wavefront6targetE0EEEvS11_.private_seg_size, 0
	.set _ZN7rocprim17ROCPRIM_400000_NS6detail17trampoline_kernelINS0_14default_configENS1_21merge_config_selectorINS0_5tupleIJffEEENS0_10empty_typeEEEZNS1_10merge_implIS3_NS0_12zip_iteratorINS5_IJN6thrust23THRUST_200600_302600_NS6detail15normal_iteratorINSC_10device_ptrIKfEEEESI_EEEEESK_NSA_INS5_IJNSC_16discard_iteratorINSC_11use_defaultEEESN_EEEEEPS7_SQ_SQ_NSC_11hip_rocprim7__merge17predicate_wrapperIffNSC_4lessIfEEEEEE10hipError_tPvRmT0_T1_T2_T3_T4_T5_mmT6_P12ihipStream_tbEUlT_E_NS1_11comp_targetILNS1_3genE3ELNS1_11target_archE908ELNS1_3gpuE7ELNS1_3repE0EEENS1_30default_config_static_selectorELNS0_4arch9wavefront6targetE0EEEvS11_.uses_vcc, 0
	.set _ZN7rocprim17ROCPRIM_400000_NS6detail17trampoline_kernelINS0_14default_configENS1_21merge_config_selectorINS0_5tupleIJffEEENS0_10empty_typeEEEZNS1_10merge_implIS3_NS0_12zip_iteratorINS5_IJN6thrust23THRUST_200600_302600_NS6detail15normal_iteratorINSC_10device_ptrIKfEEEESI_EEEEESK_NSA_INS5_IJNSC_16discard_iteratorINSC_11use_defaultEEESN_EEEEEPS7_SQ_SQ_NSC_11hip_rocprim7__merge17predicate_wrapperIffNSC_4lessIfEEEEEE10hipError_tPvRmT0_T1_T2_T3_T4_T5_mmT6_P12ihipStream_tbEUlT_E_NS1_11comp_targetILNS1_3genE3ELNS1_11target_archE908ELNS1_3gpuE7ELNS1_3repE0EEENS1_30default_config_static_selectorELNS0_4arch9wavefront6targetE0EEEvS11_.uses_flat_scratch, 0
	.set _ZN7rocprim17ROCPRIM_400000_NS6detail17trampoline_kernelINS0_14default_configENS1_21merge_config_selectorINS0_5tupleIJffEEENS0_10empty_typeEEEZNS1_10merge_implIS3_NS0_12zip_iteratorINS5_IJN6thrust23THRUST_200600_302600_NS6detail15normal_iteratorINSC_10device_ptrIKfEEEESI_EEEEESK_NSA_INS5_IJNSC_16discard_iteratorINSC_11use_defaultEEESN_EEEEEPS7_SQ_SQ_NSC_11hip_rocprim7__merge17predicate_wrapperIffNSC_4lessIfEEEEEE10hipError_tPvRmT0_T1_T2_T3_T4_T5_mmT6_P12ihipStream_tbEUlT_E_NS1_11comp_targetILNS1_3genE3ELNS1_11target_archE908ELNS1_3gpuE7ELNS1_3repE0EEENS1_30default_config_static_selectorELNS0_4arch9wavefront6targetE0EEEvS11_.has_dyn_sized_stack, 0
	.set _ZN7rocprim17ROCPRIM_400000_NS6detail17trampoline_kernelINS0_14default_configENS1_21merge_config_selectorINS0_5tupleIJffEEENS0_10empty_typeEEEZNS1_10merge_implIS3_NS0_12zip_iteratorINS5_IJN6thrust23THRUST_200600_302600_NS6detail15normal_iteratorINSC_10device_ptrIKfEEEESI_EEEEESK_NSA_INS5_IJNSC_16discard_iteratorINSC_11use_defaultEEESN_EEEEEPS7_SQ_SQ_NSC_11hip_rocprim7__merge17predicate_wrapperIffNSC_4lessIfEEEEEE10hipError_tPvRmT0_T1_T2_T3_T4_T5_mmT6_P12ihipStream_tbEUlT_E_NS1_11comp_targetILNS1_3genE3ELNS1_11target_archE908ELNS1_3gpuE7ELNS1_3repE0EEENS1_30default_config_static_selectorELNS0_4arch9wavefront6targetE0EEEvS11_.has_recursion, 0
	.set _ZN7rocprim17ROCPRIM_400000_NS6detail17trampoline_kernelINS0_14default_configENS1_21merge_config_selectorINS0_5tupleIJffEEENS0_10empty_typeEEEZNS1_10merge_implIS3_NS0_12zip_iteratorINS5_IJN6thrust23THRUST_200600_302600_NS6detail15normal_iteratorINSC_10device_ptrIKfEEEESI_EEEEESK_NSA_INS5_IJNSC_16discard_iteratorINSC_11use_defaultEEESN_EEEEEPS7_SQ_SQ_NSC_11hip_rocprim7__merge17predicate_wrapperIffNSC_4lessIfEEEEEE10hipError_tPvRmT0_T1_T2_T3_T4_T5_mmT6_P12ihipStream_tbEUlT_E_NS1_11comp_targetILNS1_3genE3ELNS1_11target_archE908ELNS1_3gpuE7ELNS1_3repE0EEENS1_30default_config_static_selectorELNS0_4arch9wavefront6targetE0EEEvS11_.has_indirect_call, 0
	.section	.AMDGPU.csdata,"",@progbits
; Kernel info:
; codeLenInByte = 0
; TotalNumSgprs: 0
; NumVgprs: 0
; ScratchSize: 0
; MemoryBound: 0
; FloatMode: 240
; IeeeMode: 1
; LDSByteSize: 0 bytes/workgroup (compile time only)
; SGPRBlocks: 0
; VGPRBlocks: 0
; NumSGPRsForWavesPerEU: 1
; NumVGPRsForWavesPerEU: 1
; Occupancy: 16
; WaveLimiterHint : 0
; COMPUTE_PGM_RSRC2:SCRATCH_EN: 0
; COMPUTE_PGM_RSRC2:USER_SGPR: 6
; COMPUTE_PGM_RSRC2:TRAP_HANDLER: 0
; COMPUTE_PGM_RSRC2:TGID_X_EN: 1
; COMPUTE_PGM_RSRC2:TGID_Y_EN: 0
; COMPUTE_PGM_RSRC2:TGID_Z_EN: 0
; COMPUTE_PGM_RSRC2:TIDIG_COMP_CNT: 0
	.section	.text._ZN7rocprim17ROCPRIM_400000_NS6detail17trampoline_kernelINS0_14default_configENS1_21merge_config_selectorINS0_5tupleIJffEEENS0_10empty_typeEEEZNS1_10merge_implIS3_NS0_12zip_iteratorINS5_IJN6thrust23THRUST_200600_302600_NS6detail15normal_iteratorINSC_10device_ptrIKfEEEESI_EEEEESK_NSA_INS5_IJNSC_16discard_iteratorINSC_11use_defaultEEESN_EEEEEPS7_SQ_SQ_NSC_11hip_rocprim7__merge17predicate_wrapperIffNSC_4lessIfEEEEEE10hipError_tPvRmT0_T1_T2_T3_T4_T5_mmT6_P12ihipStream_tbEUlT_E_NS1_11comp_targetILNS1_3genE2ELNS1_11target_archE906ELNS1_3gpuE6ELNS1_3repE0EEENS1_30default_config_static_selectorELNS0_4arch9wavefront6targetE0EEEvS11_,"axG",@progbits,_ZN7rocprim17ROCPRIM_400000_NS6detail17trampoline_kernelINS0_14default_configENS1_21merge_config_selectorINS0_5tupleIJffEEENS0_10empty_typeEEEZNS1_10merge_implIS3_NS0_12zip_iteratorINS5_IJN6thrust23THRUST_200600_302600_NS6detail15normal_iteratorINSC_10device_ptrIKfEEEESI_EEEEESK_NSA_INS5_IJNSC_16discard_iteratorINSC_11use_defaultEEESN_EEEEEPS7_SQ_SQ_NSC_11hip_rocprim7__merge17predicate_wrapperIffNSC_4lessIfEEEEEE10hipError_tPvRmT0_T1_T2_T3_T4_T5_mmT6_P12ihipStream_tbEUlT_E_NS1_11comp_targetILNS1_3genE2ELNS1_11target_archE906ELNS1_3gpuE6ELNS1_3repE0EEENS1_30default_config_static_selectorELNS0_4arch9wavefront6targetE0EEEvS11_,comdat
	.protected	_ZN7rocprim17ROCPRIM_400000_NS6detail17trampoline_kernelINS0_14default_configENS1_21merge_config_selectorINS0_5tupleIJffEEENS0_10empty_typeEEEZNS1_10merge_implIS3_NS0_12zip_iteratorINS5_IJN6thrust23THRUST_200600_302600_NS6detail15normal_iteratorINSC_10device_ptrIKfEEEESI_EEEEESK_NSA_INS5_IJNSC_16discard_iteratorINSC_11use_defaultEEESN_EEEEEPS7_SQ_SQ_NSC_11hip_rocprim7__merge17predicate_wrapperIffNSC_4lessIfEEEEEE10hipError_tPvRmT0_T1_T2_T3_T4_T5_mmT6_P12ihipStream_tbEUlT_E_NS1_11comp_targetILNS1_3genE2ELNS1_11target_archE906ELNS1_3gpuE6ELNS1_3repE0EEENS1_30default_config_static_selectorELNS0_4arch9wavefront6targetE0EEEvS11_ ; -- Begin function _ZN7rocprim17ROCPRIM_400000_NS6detail17trampoline_kernelINS0_14default_configENS1_21merge_config_selectorINS0_5tupleIJffEEENS0_10empty_typeEEEZNS1_10merge_implIS3_NS0_12zip_iteratorINS5_IJN6thrust23THRUST_200600_302600_NS6detail15normal_iteratorINSC_10device_ptrIKfEEEESI_EEEEESK_NSA_INS5_IJNSC_16discard_iteratorINSC_11use_defaultEEESN_EEEEEPS7_SQ_SQ_NSC_11hip_rocprim7__merge17predicate_wrapperIffNSC_4lessIfEEEEEE10hipError_tPvRmT0_T1_T2_T3_T4_T5_mmT6_P12ihipStream_tbEUlT_E_NS1_11comp_targetILNS1_3genE2ELNS1_11target_archE906ELNS1_3gpuE6ELNS1_3repE0EEENS1_30default_config_static_selectorELNS0_4arch9wavefront6targetE0EEEvS11_
	.globl	_ZN7rocprim17ROCPRIM_400000_NS6detail17trampoline_kernelINS0_14default_configENS1_21merge_config_selectorINS0_5tupleIJffEEENS0_10empty_typeEEEZNS1_10merge_implIS3_NS0_12zip_iteratorINS5_IJN6thrust23THRUST_200600_302600_NS6detail15normal_iteratorINSC_10device_ptrIKfEEEESI_EEEEESK_NSA_INS5_IJNSC_16discard_iteratorINSC_11use_defaultEEESN_EEEEEPS7_SQ_SQ_NSC_11hip_rocprim7__merge17predicate_wrapperIffNSC_4lessIfEEEEEE10hipError_tPvRmT0_T1_T2_T3_T4_T5_mmT6_P12ihipStream_tbEUlT_E_NS1_11comp_targetILNS1_3genE2ELNS1_11target_archE906ELNS1_3gpuE6ELNS1_3repE0EEENS1_30default_config_static_selectorELNS0_4arch9wavefront6targetE0EEEvS11_
	.p2align	8
	.type	_ZN7rocprim17ROCPRIM_400000_NS6detail17trampoline_kernelINS0_14default_configENS1_21merge_config_selectorINS0_5tupleIJffEEENS0_10empty_typeEEEZNS1_10merge_implIS3_NS0_12zip_iteratorINS5_IJN6thrust23THRUST_200600_302600_NS6detail15normal_iteratorINSC_10device_ptrIKfEEEESI_EEEEESK_NSA_INS5_IJNSC_16discard_iteratorINSC_11use_defaultEEESN_EEEEEPS7_SQ_SQ_NSC_11hip_rocprim7__merge17predicate_wrapperIffNSC_4lessIfEEEEEE10hipError_tPvRmT0_T1_T2_T3_T4_T5_mmT6_P12ihipStream_tbEUlT_E_NS1_11comp_targetILNS1_3genE2ELNS1_11target_archE906ELNS1_3gpuE6ELNS1_3repE0EEENS1_30default_config_static_selectorELNS0_4arch9wavefront6targetE0EEEvS11_,@function
_ZN7rocprim17ROCPRIM_400000_NS6detail17trampoline_kernelINS0_14default_configENS1_21merge_config_selectorINS0_5tupleIJffEEENS0_10empty_typeEEEZNS1_10merge_implIS3_NS0_12zip_iteratorINS5_IJN6thrust23THRUST_200600_302600_NS6detail15normal_iteratorINSC_10device_ptrIKfEEEESI_EEEEESK_NSA_INS5_IJNSC_16discard_iteratorINSC_11use_defaultEEESN_EEEEEPS7_SQ_SQ_NSC_11hip_rocprim7__merge17predicate_wrapperIffNSC_4lessIfEEEEEE10hipError_tPvRmT0_T1_T2_T3_T4_T5_mmT6_P12ihipStream_tbEUlT_E_NS1_11comp_targetILNS1_3genE2ELNS1_11target_archE906ELNS1_3gpuE6ELNS1_3repE0EEENS1_30default_config_static_selectorELNS0_4arch9wavefront6targetE0EEEvS11_: ; @_ZN7rocprim17ROCPRIM_400000_NS6detail17trampoline_kernelINS0_14default_configENS1_21merge_config_selectorINS0_5tupleIJffEEENS0_10empty_typeEEEZNS1_10merge_implIS3_NS0_12zip_iteratorINS5_IJN6thrust23THRUST_200600_302600_NS6detail15normal_iteratorINSC_10device_ptrIKfEEEESI_EEEEESK_NSA_INS5_IJNSC_16discard_iteratorINSC_11use_defaultEEESN_EEEEEPS7_SQ_SQ_NSC_11hip_rocprim7__merge17predicate_wrapperIffNSC_4lessIfEEEEEE10hipError_tPvRmT0_T1_T2_T3_T4_T5_mmT6_P12ihipStream_tbEUlT_E_NS1_11comp_targetILNS1_3genE2ELNS1_11target_archE906ELNS1_3gpuE6ELNS1_3repE0EEENS1_30default_config_static_selectorELNS0_4arch9wavefront6targetE0EEEvS11_
; %bb.0:
	.section	.rodata,"a",@progbits
	.p2align	6, 0x0
	.amdhsa_kernel _ZN7rocprim17ROCPRIM_400000_NS6detail17trampoline_kernelINS0_14default_configENS1_21merge_config_selectorINS0_5tupleIJffEEENS0_10empty_typeEEEZNS1_10merge_implIS3_NS0_12zip_iteratorINS5_IJN6thrust23THRUST_200600_302600_NS6detail15normal_iteratorINSC_10device_ptrIKfEEEESI_EEEEESK_NSA_INS5_IJNSC_16discard_iteratorINSC_11use_defaultEEESN_EEEEEPS7_SQ_SQ_NSC_11hip_rocprim7__merge17predicate_wrapperIffNSC_4lessIfEEEEEE10hipError_tPvRmT0_T1_T2_T3_T4_T5_mmT6_P12ihipStream_tbEUlT_E_NS1_11comp_targetILNS1_3genE2ELNS1_11target_archE906ELNS1_3gpuE6ELNS1_3repE0EEENS1_30default_config_static_selectorELNS0_4arch9wavefront6targetE0EEEvS11_
		.amdhsa_group_segment_fixed_size 0
		.amdhsa_private_segment_fixed_size 0
		.amdhsa_kernarg_size 64
		.amdhsa_user_sgpr_count 6
		.amdhsa_user_sgpr_private_segment_buffer 1
		.amdhsa_user_sgpr_dispatch_ptr 0
		.amdhsa_user_sgpr_queue_ptr 0
		.amdhsa_user_sgpr_kernarg_segment_ptr 1
		.amdhsa_user_sgpr_dispatch_id 0
		.amdhsa_user_sgpr_flat_scratch_init 0
		.amdhsa_user_sgpr_private_segment_size 0
		.amdhsa_wavefront_size32 1
		.amdhsa_uses_dynamic_stack 0
		.amdhsa_system_sgpr_private_segment_wavefront_offset 0
		.amdhsa_system_sgpr_workgroup_id_x 1
		.amdhsa_system_sgpr_workgroup_id_y 0
		.amdhsa_system_sgpr_workgroup_id_z 0
		.amdhsa_system_sgpr_workgroup_info 0
		.amdhsa_system_vgpr_workitem_id 0
		.amdhsa_next_free_vgpr 1
		.amdhsa_next_free_sgpr 1
		.amdhsa_reserve_vcc 0
		.amdhsa_reserve_flat_scratch 0
		.amdhsa_float_round_mode_32 0
		.amdhsa_float_round_mode_16_64 0
		.amdhsa_float_denorm_mode_32 3
		.amdhsa_float_denorm_mode_16_64 3
		.amdhsa_dx10_clamp 1
		.amdhsa_ieee_mode 1
		.amdhsa_fp16_overflow 0
		.amdhsa_workgroup_processor_mode 1
		.amdhsa_memory_ordered 1
		.amdhsa_forward_progress 1
		.amdhsa_shared_vgpr_count 0
		.amdhsa_exception_fp_ieee_invalid_op 0
		.amdhsa_exception_fp_denorm_src 0
		.amdhsa_exception_fp_ieee_div_zero 0
		.amdhsa_exception_fp_ieee_overflow 0
		.amdhsa_exception_fp_ieee_underflow 0
		.amdhsa_exception_fp_ieee_inexact 0
		.amdhsa_exception_int_div_zero 0
	.end_amdhsa_kernel
	.section	.text._ZN7rocprim17ROCPRIM_400000_NS6detail17trampoline_kernelINS0_14default_configENS1_21merge_config_selectorINS0_5tupleIJffEEENS0_10empty_typeEEEZNS1_10merge_implIS3_NS0_12zip_iteratorINS5_IJN6thrust23THRUST_200600_302600_NS6detail15normal_iteratorINSC_10device_ptrIKfEEEESI_EEEEESK_NSA_INS5_IJNSC_16discard_iteratorINSC_11use_defaultEEESN_EEEEEPS7_SQ_SQ_NSC_11hip_rocprim7__merge17predicate_wrapperIffNSC_4lessIfEEEEEE10hipError_tPvRmT0_T1_T2_T3_T4_T5_mmT6_P12ihipStream_tbEUlT_E_NS1_11comp_targetILNS1_3genE2ELNS1_11target_archE906ELNS1_3gpuE6ELNS1_3repE0EEENS1_30default_config_static_selectorELNS0_4arch9wavefront6targetE0EEEvS11_,"axG",@progbits,_ZN7rocprim17ROCPRIM_400000_NS6detail17trampoline_kernelINS0_14default_configENS1_21merge_config_selectorINS0_5tupleIJffEEENS0_10empty_typeEEEZNS1_10merge_implIS3_NS0_12zip_iteratorINS5_IJN6thrust23THRUST_200600_302600_NS6detail15normal_iteratorINSC_10device_ptrIKfEEEESI_EEEEESK_NSA_INS5_IJNSC_16discard_iteratorINSC_11use_defaultEEESN_EEEEEPS7_SQ_SQ_NSC_11hip_rocprim7__merge17predicate_wrapperIffNSC_4lessIfEEEEEE10hipError_tPvRmT0_T1_T2_T3_T4_T5_mmT6_P12ihipStream_tbEUlT_E_NS1_11comp_targetILNS1_3genE2ELNS1_11target_archE906ELNS1_3gpuE6ELNS1_3repE0EEENS1_30default_config_static_selectorELNS0_4arch9wavefront6targetE0EEEvS11_,comdat
.Lfunc_end501:
	.size	_ZN7rocprim17ROCPRIM_400000_NS6detail17trampoline_kernelINS0_14default_configENS1_21merge_config_selectorINS0_5tupleIJffEEENS0_10empty_typeEEEZNS1_10merge_implIS3_NS0_12zip_iteratorINS5_IJN6thrust23THRUST_200600_302600_NS6detail15normal_iteratorINSC_10device_ptrIKfEEEESI_EEEEESK_NSA_INS5_IJNSC_16discard_iteratorINSC_11use_defaultEEESN_EEEEEPS7_SQ_SQ_NSC_11hip_rocprim7__merge17predicate_wrapperIffNSC_4lessIfEEEEEE10hipError_tPvRmT0_T1_T2_T3_T4_T5_mmT6_P12ihipStream_tbEUlT_E_NS1_11comp_targetILNS1_3genE2ELNS1_11target_archE906ELNS1_3gpuE6ELNS1_3repE0EEENS1_30default_config_static_selectorELNS0_4arch9wavefront6targetE0EEEvS11_, .Lfunc_end501-_ZN7rocprim17ROCPRIM_400000_NS6detail17trampoline_kernelINS0_14default_configENS1_21merge_config_selectorINS0_5tupleIJffEEENS0_10empty_typeEEEZNS1_10merge_implIS3_NS0_12zip_iteratorINS5_IJN6thrust23THRUST_200600_302600_NS6detail15normal_iteratorINSC_10device_ptrIKfEEEESI_EEEEESK_NSA_INS5_IJNSC_16discard_iteratorINSC_11use_defaultEEESN_EEEEEPS7_SQ_SQ_NSC_11hip_rocprim7__merge17predicate_wrapperIffNSC_4lessIfEEEEEE10hipError_tPvRmT0_T1_T2_T3_T4_T5_mmT6_P12ihipStream_tbEUlT_E_NS1_11comp_targetILNS1_3genE2ELNS1_11target_archE906ELNS1_3gpuE6ELNS1_3repE0EEENS1_30default_config_static_selectorELNS0_4arch9wavefront6targetE0EEEvS11_
                                        ; -- End function
	.set _ZN7rocprim17ROCPRIM_400000_NS6detail17trampoline_kernelINS0_14default_configENS1_21merge_config_selectorINS0_5tupleIJffEEENS0_10empty_typeEEEZNS1_10merge_implIS3_NS0_12zip_iteratorINS5_IJN6thrust23THRUST_200600_302600_NS6detail15normal_iteratorINSC_10device_ptrIKfEEEESI_EEEEESK_NSA_INS5_IJNSC_16discard_iteratorINSC_11use_defaultEEESN_EEEEEPS7_SQ_SQ_NSC_11hip_rocprim7__merge17predicate_wrapperIffNSC_4lessIfEEEEEE10hipError_tPvRmT0_T1_T2_T3_T4_T5_mmT6_P12ihipStream_tbEUlT_E_NS1_11comp_targetILNS1_3genE2ELNS1_11target_archE906ELNS1_3gpuE6ELNS1_3repE0EEENS1_30default_config_static_selectorELNS0_4arch9wavefront6targetE0EEEvS11_.num_vgpr, 0
	.set _ZN7rocprim17ROCPRIM_400000_NS6detail17trampoline_kernelINS0_14default_configENS1_21merge_config_selectorINS0_5tupleIJffEEENS0_10empty_typeEEEZNS1_10merge_implIS3_NS0_12zip_iteratorINS5_IJN6thrust23THRUST_200600_302600_NS6detail15normal_iteratorINSC_10device_ptrIKfEEEESI_EEEEESK_NSA_INS5_IJNSC_16discard_iteratorINSC_11use_defaultEEESN_EEEEEPS7_SQ_SQ_NSC_11hip_rocprim7__merge17predicate_wrapperIffNSC_4lessIfEEEEEE10hipError_tPvRmT0_T1_T2_T3_T4_T5_mmT6_P12ihipStream_tbEUlT_E_NS1_11comp_targetILNS1_3genE2ELNS1_11target_archE906ELNS1_3gpuE6ELNS1_3repE0EEENS1_30default_config_static_selectorELNS0_4arch9wavefront6targetE0EEEvS11_.num_agpr, 0
	.set _ZN7rocprim17ROCPRIM_400000_NS6detail17trampoline_kernelINS0_14default_configENS1_21merge_config_selectorINS0_5tupleIJffEEENS0_10empty_typeEEEZNS1_10merge_implIS3_NS0_12zip_iteratorINS5_IJN6thrust23THRUST_200600_302600_NS6detail15normal_iteratorINSC_10device_ptrIKfEEEESI_EEEEESK_NSA_INS5_IJNSC_16discard_iteratorINSC_11use_defaultEEESN_EEEEEPS7_SQ_SQ_NSC_11hip_rocprim7__merge17predicate_wrapperIffNSC_4lessIfEEEEEE10hipError_tPvRmT0_T1_T2_T3_T4_T5_mmT6_P12ihipStream_tbEUlT_E_NS1_11comp_targetILNS1_3genE2ELNS1_11target_archE906ELNS1_3gpuE6ELNS1_3repE0EEENS1_30default_config_static_selectorELNS0_4arch9wavefront6targetE0EEEvS11_.numbered_sgpr, 0
	.set _ZN7rocprim17ROCPRIM_400000_NS6detail17trampoline_kernelINS0_14default_configENS1_21merge_config_selectorINS0_5tupleIJffEEENS0_10empty_typeEEEZNS1_10merge_implIS3_NS0_12zip_iteratorINS5_IJN6thrust23THRUST_200600_302600_NS6detail15normal_iteratorINSC_10device_ptrIKfEEEESI_EEEEESK_NSA_INS5_IJNSC_16discard_iteratorINSC_11use_defaultEEESN_EEEEEPS7_SQ_SQ_NSC_11hip_rocprim7__merge17predicate_wrapperIffNSC_4lessIfEEEEEE10hipError_tPvRmT0_T1_T2_T3_T4_T5_mmT6_P12ihipStream_tbEUlT_E_NS1_11comp_targetILNS1_3genE2ELNS1_11target_archE906ELNS1_3gpuE6ELNS1_3repE0EEENS1_30default_config_static_selectorELNS0_4arch9wavefront6targetE0EEEvS11_.num_named_barrier, 0
	.set _ZN7rocprim17ROCPRIM_400000_NS6detail17trampoline_kernelINS0_14default_configENS1_21merge_config_selectorINS0_5tupleIJffEEENS0_10empty_typeEEEZNS1_10merge_implIS3_NS0_12zip_iteratorINS5_IJN6thrust23THRUST_200600_302600_NS6detail15normal_iteratorINSC_10device_ptrIKfEEEESI_EEEEESK_NSA_INS5_IJNSC_16discard_iteratorINSC_11use_defaultEEESN_EEEEEPS7_SQ_SQ_NSC_11hip_rocprim7__merge17predicate_wrapperIffNSC_4lessIfEEEEEE10hipError_tPvRmT0_T1_T2_T3_T4_T5_mmT6_P12ihipStream_tbEUlT_E_NS1_11comp_targetILNS1_3genE2ELNS1_11target_archE906ELNS1_3gpuE6ELNS1_3repE0EEENS1_30default_config_static_selectorELNS0_4arch9wavefront6targetE0EEEvS11_.private_seg_size, 0
	.set _ZN7rocprim17ROCPRIM_400000_NS6detail17trampoline_kernelINS0_14default_configENS1_21merge_config_selectorINS0_5tupleIJffEEENS0_10empty_typeEEEZNS1_10merge_implIS3_NS0_12zip_iteratorINS5_IJN6thrust23THRUST_200600_302600_NS6detail15normal_iteratorINSC_10device_ptrIKfEEEESI_EEEEESK_NSA_INS5_IJNSC_16discard_iteratorINSC_11use_defaultEEESN_EEEEEPS7_SQ_SQ_NSC_11hip_rocprim7__merge17predicate_wrapperIffNSC_4lessIfEEEEEE10hipError_tPvRmT0_T1_T2_T3_T4_T5_mmT6_P12ihipStream_tbEUlT_E_NS1_11comp_targetILNS1_3genE2ELNS1_11target_archE906ELNS1_3gpuE6ELNS1_3repE0EEENS1_30default_config_static_selectorELNS0_4arch9wavefront6targetE0EEEvS11_.uses_vcc, 0
	.set _ZN7rocprim17ROCPRIM_400000_NS6detail17trampoline_kernelINS0_14default_configENS1_21merge_config_selectorINS0_5tupleIJffEEENS0_10empty_typeEEEZNS1_10merge_implIS3_NS0_12zip_iteratorINS5_IJN6thrust23THRUST_200600_302600_NS6detail15normal_iteratorINSC_10device_ptrIKfEEEESI_EEEEESK_NSA_INS5_IJNSC_16discard_iteratorINSC_11use_defaultEEESN_EEEEEPS7_SQ_SQ_NSC_11hip_rocprim7__merge17predicate_wrapperIffNSC_4lessIfEEEEEE10hipError_tPvRmT0_T1_T2_T3_T4_T5_mmT6_P12ihipStream_tbEUlT_E_NS1_11comp_targetILNS1_3genE2ELNS1_11target_archE906ELNS1_3gpuE6ELNS1_3repE0EEENS1_30default_config_static_selectorELNS0_4arch9wavefront6targetE0EEEvS11_.uses_flat_scratch, 0
	.set _ZN7rocprim17ROCPRIM_400000_NS6detail17trampoline_kernelINS0_14default_configENS1_21merge_config_selectorINS0_5tupleIJffEEENS0_10empty_typeEEEZNS1_10merge_implIS3_NS0_12zip_iteratorINS5_IJN6thrust23THRUST_200600_302600_NS6detail15normal_iteratorINSC_10device_ptrIKfEEEESI_EEEEESK_NSA_INS5_IJNSC_16discard_iteratorINSC_11use_defaultEEESN_EEEEEPS7_SQ_SQ_NSC_11hip_rocprim7__merge17predicate_wrapperIffNSC_4lessIfEEEEEE10hipError_tPvRmT0_T1_T2_T3_T4_T5_mmT6_P12ihipStream_tbEUlT_E_NS1_11comp_targetILNS1_3genE2ELNS1_11target_archE906ELNS1_3gpuE6ELNS1_3repE0EEENS1_30default_config_static_selectorELNS0_4arch9wavefront6targetE0EEEvS11_.has_dyn_sized_stack, 0
	.set _ZN7rocprim17ROCPRIM_400000_NS6detail17trampoline_kernelINS0_14default_configENS1_21merge_config_selectorINS0_5tupleIJffEEENS0_10empty_typeEEEZNS1_10merge_implIS3_NS0_12zip_iteratorINS5_IJN6thrust23THRUST_200600_302600_NS6detail15normal_iteratorINSC_10device_ptrIKfEEEESI_EEEEESK_NSA_INS5_IJNSC_16discard_iteratorINSC_11use_defaultEEESN_EEEEEPS7_SQ_SQ_NSC_11hip_rocprim7__merge17predicate_wrapperIffNSC_4lessIfEEEEEE10hipError_tPvRmT0_T1_T2_T3_T4_T5_mmT6_P12ihipStream_tbEUlT_E_NS1_11comp_targetILNS1_3genE2ELNS1_11target_archE906ELNS1_3gpuE6ELNS1_3repE0EEENS1_30default_config_static_selectorELNS0_4arch9wavefront6targetE0EEEvS11_.has_recursion, 0
	.set _ZN7rocprim17ROCPRIM_400000_NS6detail17trampoline_kernelINS0_14default_configENS1_21merge_config_selectorINS0_5tupleIJffEEENS0_10empty_typeEEEZNS1_10merge_implIS3_NS0_12zip_iteratorINS5_IJN6thrust23THRUST_200600_302600_NS6detail15normal_iteratorINSC_10device_ptrIKfEEEESI_EEEEESK_NSA_INS5_IJNSC_16discard_iteratorINSC_11use_defaultEEESN_EEEEEPS7_SQ_SQ_NSC_11hip_rocprim7__merge17predicate_wrapperIffNSC_4lessIfEEEEEE10hipError_tPvRmT0_T1_T2_T3_T4_T5_mmT6_P12ihipStream_tbEUlT_E_NS1_11comp_targetILNS1_3genE2ELNS1_11target_archE906ELNS1_3gpuE6ELNS1_3repE0EEENS1_30default_config_static_selectorELNS0_4arch9wavefront6targetE0EEEvS11_.has_indirect_call, 0
	.section	.AMDGPU.csdata,"",@progbits
; Kernel info:
; codeLenInByte = 0
; TotalNumSgprs: 0
; NumVgprs: 0
; ScratchSize: 0
; MemoryBound: 0
; FloatMode: 240
; IeeeMode: 1
; LDSByteSize: 0 bytes/workgroup (compile time only)
; SGPRBlocks: 0
; VGPRBlocks: 0
; NumSGPRsForWavesPerEU: 1
; NumVGPRsForWavesPerEU: 1
; Occupancy: 16
; WaveLimiterHint : 0
; COMPUTE_PGM_RSRC2:SCRATCH_EN: 0
; COMPUTE_PGM_RSRC2:USER_SGPR: 6
; COMPUTE_PGM_RSRC2:TRAP_HANDLER: 0
; COMPUTE_PGM_RSRC2:TGID_X_EN: 1
; COMPUTE_PGM_RSRC2:TGID_Y_EN: 0
; COMPUTE_PGM_RSRC2:TGID_Z_EN: 0
; COMPUTE_PGM_RSRC2:TIDIG_COMP_CNT: 0
	.section	.text._ZN7rocprim17ROCPRIM_400000_NS6detail17trampoline_kernelINS0_14default_configENS1_21merge_config_selectorINS0_5tupleIJffEEENS0_10empty_typeEEEZNS1_10merge_implIS3_NS0_12zip_iteratorINS5_IJN6thrust23THRUST_200600_302600_NS6detail15normal_iteratorINSC_10device_ptrIKfEEEESI_EEEEESK_NSA_INS5_IJNSC_16discard_iteratorINSC_11use_defaultEEESN_EEEEEPS7_SQ_SQ_NSC_11hip_rocprim7__merge17predicate_wrapperIffNSC_4lessIfEEEEEE10hipError_tPvRmT0_T1_T2_T3_T4_T5_mmT6_P12ihipStream_tbEUlT_E_NS1_11comp_targetILNS1_3genE10ELNS1_11target_archE1201ELNS1_3gpuE5ELNS1_3repE0EEENS1_30default_config_static_selectorELNS0_4arch9wavefront6targetE0EEEvS11_,"axG",@progbits,_ZN7rocprim17ROCPRIM_400000_NS6detail17trampoline_kernelINS0_14default_configENS1_21merge_config_selectorINS0_5tupleIJffEEENS0_10empty_typeEEEZNS1_10merge_implIS3_NS0_12zip_iteratorINS5_IJN6thrust23THRUST_200600_302600_NS6detail15normal_iteratorINSC_10device_ptrIKfEEEESI_EEEEESK_NSA_INS5_IJNSC_16discard_iteratorINSC_11use_defaultEEESN_EEEEEPS7_SQ_SQ_NSC_11hip_rocprim7__merge17predicate_wrapperIffNSC_4lessIfEEEEEE10hipError_tPvRmT0_T1_T2_T3_T4_T5_mmT6_P12ihipStream_tbEUlT_E_NS1_11comp_targetILNS1_3genE10ELNS1_11target_archE1201ELNS1_3gpuE5ELNS1_3repE0EEENS1_30default_config_static_selectorELNS0_4arch9wavefront6targetE0EEEvS11_,comdat
	.protected	_ZN7rocprim17ROCPRIM_400000_NS6detail17trampoline_kernelINS0_14default_configENS1_21merge_config_selectorINS0_5tupleIJffEEENS0_10empty_typeEEEZNS1_10merge_implIS3_NS0_12zip_iteratorINS5_IJN6thrust23THRUST_200600_302600_NS6detail15normal_iteratorINSC_10device_ptrIKfEEEESI_EEEEESK_NSA_INS5_IJNSC_16discard_iteratorINSC_11use_defaultEEESN_EEEEEPS7_SQ_SQ_NSC_11hip_rocprim7__merge17predicate_wrapperIffNSC_4lessIfEEEEEE10hipError_tPvRmT0_T1_T2_T3_T4_T5_mmT6_P12ihipStream_tbEUlT_E_NS1_11comp_targetILNS1_3genE10ELNS1_11target_archE1201ELNS1_3gpuE5ELNS1_3repE0EEENS1_30default_config_static_selectorELNS0_4arch9wavefront6targetE0EEEvS11_ ; -- Begin function _ZN7rocprim17ROCPRIM_400000_NS6detail17trampoline_kernelINS0_14default_configENS1_21merge_config_selectorINS0_5tupleIJffEEENS0_10empty_typeEEEZNS1_10merge_implIS3_NS0_12zip_iteratorINS5_IJN6thrust23THRUST_200600_302600_NS6detail15normal_iteratorINSC_10device_ptrIKfEEEESI_EEEEESK_NSA_INS5_IJNSC_16discard_iteratorINSC_11use_defaultEEESN_EEEEEPS7_SQ_SQ_NSC_11hip_rocprim7__merge17predicate_wrapperIffNSC_4lessIfEEEEEE10hipError_tPvRmT0_T1_T2_T3_T4_T5_mmT6_P12ihipStream_tbEUlT_E_NS1_11comp_targetILNS1_3genE10ELNS1_11target_archE1201ELNS1_3gpuE5ELNS1_3repE0EEENS1_30default_config_static_selectorELNS0_4arch9wavefront6targetE0EEEvS11_
	.globl	_ZN7rocprim17ROCPRIM_400000_NS6detail17trampoline_kernelINS0_14default_configENS1_21merge_config_selectorINS0_5tupleIJffEEENS0_10empty_typeEEEZNS1_10merge_implIS3_NS0_12zip_iteratorINS5_IJN6thrust23THRUST_200600_302600_NS6detail15normal_iteratorINSC_10device_ptrIKfEEEESI_EEEEESK_NSA_INS5_IJNSC_16discard_iteratorINSC_11use_defaultEEESN_EEEEEPS7_SQ_SQ_NSC_11hip_rocprim7__merge17predicate_wrapperIffNSC_4lessIfEEEEEE10hipError_tPvRmT0_T1_T2_T3_T4_T5_mmT6_P12ihipStream_tbEUlT_E_NS1_11comp_targetILNS1_3genE10ELNS1_11target_archE1201ELNS1_3gpuE5ELNS1_3repE0EEENS1_30default_config_static_selectorELNS0_4arch9wavefront6targetE0EEEvS11_
	.p2align	8
	.type	_ZN7rocprim17ROCPRIM_400000_NS6detail17trampoline_kernelINS0_14default_configENS1_21merge_config_selectorINS0_5tupleIJffEEENS0_10empty_typeEEEZNS1_10merge_implIS3_NS0_12zip_iteratorINS5_IJN6thrust23THRUST_200600_302600_NS6detail15normal_iteratorINSC_10device_ptrIKfEEEESI_EEEEESK_NSA_INS5_IJNSC_16discard_iteratorINSC_11use_defaultEEESN_EEEEEPS7_SQ_SQ_NSC_11hip_rocprim7__merge17predicate_wrapperIffNSC_4lessIfEEEEEE10hipError_tPvRmT0_T1_T2_T3_T4_T5_mmT6_P12ihipStream_tbEUlT_E_NS1_11comp_targetILNS1_3genE10ELNS1_11target_archE1201ELNS1_3gpuE5ELNS1_3repE0EEENS1_30default_config_static_selectorELNS0_4arch9wavefront6targetE0EEEvS11_,@function
_ZN7rocprim17ROCPRIM_400000_NS6detail17trampoline_kernelINS0_14default_configENS1_21merge_config_selectorINS0_5tupleIJffEEENS0_10empty_typeEEEZNS1_10merge_implIS3_NS0_12zip_iteratorINS5_IJN6thrust23THRUST_200600_302600_NS6detail15normal_iteratorINSC_10device_ptrIKfEEEESI_EEEEESK_NSA_INS5_IJNSC_16discard_iteratorINSC_11use_defaultEEESN_EEEEEPS7_SQ_SQ_NSC_11hip_rocprim7__merge17predicate_wrapperIffNSC_4lessIfEEEEEE10hipError_tPvRmT0_T1_T2_T3_T4_T5_mmT6_P12ihipStream_tbEUlT_E_NS1_11comp_targetILNS1_3genE10ELNS1_11target_archE1201ELNS1_3gpuE5ELNS1_3repE0EEENS1_30default_config_static_selectorELNS0_4arch9wavefront6targetE0EEEvS11_: ; @_ZN7rocprim17ROCPRIM_400000_NS6detail17trampoline_kernelINS0_14default_configENS1_21merge_config_selectorINS0_5tupleIJffEEENS0_10empty_typeEEEZNS1_10merge_implIS3_NS0_12zip_iteratorINS5_IJN6thrust23THRUST_200600_302600_NS6detail15normal_iteratorINSC_10device_ptrIKfEEEESI_EEEEESK_NSA_INS5_IJNSC_16discard_iteratorINSC_11use_defaultEEESN_EEEEEPS7_SQ_SQ_NSC_11hip_rocprim7__merge17predicate_wrapperIffNSC_4lessIfEEEEEE10hipError_tPvRmT0_T1_T2_T3_T4_T5_mmT6_P12ihipStream_tbEUlT_E_NS1_11comp_targetILNS1_3genE10ELNS1_11target_archE1201ELNS1_3gpuE5ELNS1_3repE0EEENS1_30default_config_static_selectorELNS0_4arch9wavefront6targetE0EEEvS11_
; %bb.0:
	.section	.rodata,"a",@progbits
	.p2align	6, 0x0
	.amdhsa_kernel _ZN7rocprim17ROCPRIM_400000_NS6detail17trampoline_kernelINS0_14default_configENS1_21merge_config_selectorINS0_5tupleIJffEEENS0_10empty_typeEEEZNS1_10merge_implIS3_NS0_12zip_iteratorINS5_IJN6thrust23THRUST_200600_302600_NS6detail15normal_iteratorINSC_10device_ptrIKfEEEESI_EEEEESK_NSA_INS5_IJNSC_16discard_iteratorINSC_11use_defaultEEESN_EEEEEPS7_SQ_SQ_NSC_11hip_rocprim7__merge17predicate_wrapperIffNSC_4lessIfEEEEEE10hipError_tPvRmT0_T1_T2_T3_T4_T5_mmT6_P12ihipStream_tbEUlT_E_NS1_11comp_targetILNS1_3genE10ELNS1_11target_archE1201ELNS1_3gpuE5ELNS1_3repE0EEENS1_30default_config_static_selectorELNS0_4arch9wavefront6targetE0EEEvS11_
		.amdhsa_group_segment_fixed_size 0
		.amdhsa_private_segment_fixed_size 0
		.amdhsa_kernarg_size 64
		.amdhsa_user_sgpr_count 6
		.amdhsa_user_sgpr_private_segment_buffer 1
		.amdhsa_user_sgpr_dispatch_ptr 0
		.amdhsa_user_sgpr_queue_ptr 0
		.amdhsa_user_sgpr_kernarg_segment_ptr 1
		.amdhsa_user_sgpr_dispatch_id 0
		.amdhsa_user_sgpr_flat_scratch_init 0
		.amdhsa_user_sgpr_private_segment_size 0
		.amdhsa_wavefront_size32 1
		.amdhsa_uses_dynamic_stack 0
		.amdhsa_system_sgpr_private_segment_wavefront_offset 0
		.amdhsa_system_sgpr_workgroup_id_x 1
		.amdhsa_system_sgpr_workgroup_id_y 0
		.amdhsa_system_sgpr_workgroup_id_z 0
		.amdhsa_system_sgpr_workgroup_info 0
		.amdhsa_system_vgpr_workitem_id 0
		.amdhsa_next_free_vgpr 1
		.amdhsa_next_free_sgpr 1
		.amdhsa_reserve_vcc 0
		.amdhsa_reserve_flat_scratch 0
		.amdhsa_float_round_mode_32 0
		.amdhsa_float_round_mode_16_64 0
		.amdhsa_float_denorm_mode_32 3
		.amdhsa_float_denorm_mode_16_64 3
		.amdhsa_dx10_clamp 1
		.amdhsa_ieee_mode 1
		.amdhsa_fp16_overflow 0
		.amdhsa_workgroup_processor_mode 1
		.amdhsa_memory_ordered 1
		.amdhsa_forward_progress 1
		.amdhsa_shared_vgpr_count 0
		.amdhsa_exception_fp_ieee_invalid_op 0
		.amdhsa_exception_fp_denorm_src 0
		.amdhsa_exception_fp_ieee_div_zero 0
		.amdhsa_exception_fp_ieee_overflow 0
		.amdhsa_exception_fp_ieee_underflow 0
		.amdhsa_exception_fp_ieee_inexact 0
		.amdhsa_exception_int_div_zero 0
	.end_amdhsa_kernel
	.section	.text._ZN7rocprim17ROCPRIM_400000_NS6detail17trampoline_kernelINS0_14default_configENS1_21merge_config_selectorINS0_5tupleIJffEEENS0_10empty_typeEEEZNS1_10merge_implIS3_NS0_12zip_iteratorINS5_IJN6thrust23THRUST_200600_302600_NS6detail15normal_iteratorINSC_10device_ptrIKfEEEESI_EEEEESK_NSA_INS5_IJNSC_16discard_iteratorINSC_11use_defaultEEESN_EEEEEPS7_SQ_SQ_NSC_11hip_rocprim7__merge17predicate_wrapperIffNSC_4lessIfEEEEEE10hipError_tPvRmT0_T1_T2_T3_T4_T5_mmT6_P12ihipStream_tbEUlT_E_NS1_11comp_targetILNS1_3genE10ELNS1_11target_archE1201ELNS1_3gpuE5ELNS1_3repE0EEENS1_30default_config_static_selectorELNS0_4arch9wavefront6targetE0EEEvS11_,"axG",@progbits,_ZN7rocprim17ROCPRIM_400000_NS6detail17trampoline_kernelINS0_14default_configENS1_21merge_config_selectorINS0_5tupleIJffEEENS0_10empty_typeEEEZNS1_10merge_implIS3_NS0_12zip_iteratorINS5_IJN6thrust23THRUST_200600_302600_NS6detail15normal_iteratorINSC_10device_ptrIKfEEEESI_EEEEESK_NSA_INS5_IJNSC_16discard_iteratorINSC_11use_defaultEEESN_EEEEEPS7_SQ_SQ_NSC_11hip_rocprim7__merge17predicate_wrapperIffNSC_4lessIfEEEEEE10hipError_tPvRmT0_T1_T2_T3_T4_T5_mmT6_P12ihipStream_tbEUlT_E_NS1_11comp_targetILNS1_3genE10ELNS1_11target_archE1201ELNS1_3gpuE5ELNS1_3repE0EEENS1_30default_config_static_selectorELNS0_4arch9wavefront6targetE0EEEvS11_,comdat
.Lfunc_end502:
	.size	_ZN7rocprim17ROCPRIM_400000_NS6detail17trampoline_kernelINS0_14default_configENS1_21merge_config_selectorINS0_5tupleIJffEEENS0_10empty_typeEEEZNS1_10merge_implIS3_NS0_12zip_iteratorINS5_IJN6thrust23THRUST_200600_302600_NS6detail15normal_iteratorINSC_10device_ptrIKfEEEESI_EEEEESK_NSA_INS5_IJNSC_16discard_iteratorINSC_11use_defaultEEESN_EEEEEPS7_SQ_SQ_NSC_11hip_rocprim7__merge17predicate_wrapperIffNSC_4lessIfEEEEEE10hipError_tPvRmT0_T1_T2_T3_T4_T5_mmT6_P12ihipStream_tbEUlT_E_NS1_11comp_targetILNS1_3genE10ELNS1_11target_archE1201ELNS1_3gpuE5ELNS1_3repE0EEENS1_30default_config_static_selectorELNS0_4arch9wavefront6targetE0EEEvS11_, .Lfunc_end502-_ZN7rocprim17ROCPRIM_400000_NS6detail17trampoline_kernelINS0_14default_configENS1_21merge_config_selectorINS0_5tupleIJffEEENS0_10empty_typeEEEZNS1_10merge_implIS3_NS0_12zip_iteratorINS5_IJN6thrust23THRUST_200600_302600_NS6detail15normal_iteratorINSC_10device_ptrIKfEEEESI_EEEEESK_NSA_INS5_IJNSC_16discard_iteratorINSC_11use_defaultEEESN_EEEEEPS7_SQ_SQ_NSC_11hip_rocprim7__merge17predicate_wrapperIffNSC_4lessIfEEEEEE10hipError_tPvRmT0_T1_T2_T3_T4_T5_mmT6_P12ihipStream_tbEUlT_E_NS1_11comp_targetILNS1_3genE10ELNS1_11target_archE1201ELNS1_3gpuE5ELNS1_3repE0EEENS1_30default_config_static_selectorELNS0_4arch9wavefront6targetE0EEEvS11_
                                        ; -- End function
	.set _ZN7rocprim17ROCPRIM_400000_NS6detail17trampoline_kernelINS0_14default_configENS1_21merge_config_selectorINS0_5tupleIJffEEENS0_10empty_typeEEEZNS1_10merge_implIS3_NS0_12zip_iteratorINS5_IJN6thrust23THRUST_200600_302600_NS6detail15normal_iteratorINSC_10device_ptrIKfEEEESI_EEEEESK_NSA_INS5_IJNSC_16discard_iteratorINSC_11use_defaultEEESN_EEEEEPS7_SQ_SQ_NSC_11hip_rocprim7__merge17predicate_wrapperIffNSC_4lessIfEEEEEE10hipError_tPvRmT0_T1_T2_T3_T4_T5_mmT6_P12ihipStream_tbEUlT_E_NS1_11comp_targetILNS1_3genE10ELNS1_11target_archE1201ELNS1_3gpuE5ELNS1_3repE0EEENS1_30default_config_static_selectorELNS0_4arch9wavefront6targetE0EEEvS11_.num_vgpr, 0
	.set _ZN7rocprim17ROCPRIM_400000_NS6detail17trampoline_kernelINS0_14default_configENS1_21merge_config_selectorINS0_5tupleIJffEEENS0_10empty_typeEEEZNS1_10merge_implIS3_NS0_12zip_iteratorINS5_IJN6thrust23THRUST_200600_302600_NS6detail15normal_iteratorINSC_10device_ptrIKfEEEESI_EEEEESK_NSA_INS5_IJNSC_16discard_iteratorINSC_11use_defaultEEESN_EEEEEPS7_SQ_SQ_NSC_11hip_rocprim7__merge17predicate_wrapperIffNSC_4lessIfEEEEEE10hipError_tPvRmT0_T1_T2_T3_T4_T5_mmT6_P12ihipStream_tbEUlT_E_NS1_11comp_targetILNS1_3genE10ELNS1_11target_archE1201ELNS1_3gpuE5ELNS1_3repE0EEENS1_30default_config_static_selectorELNS0_4arch9wavefront6targetE0EEEvS11_.num_agpr, 0
	.set _ZN7rocprim17ROCPRIM_400000_NS6detail17trampoline_kernelINS0_14default_configENS1_21merge_config_selectorINS0_5tupleIJffEEENS0_10empty_typeEEEZNS1_10merge_implIS3_NS0_12zip_iteratorINS5_IJN6thrust23THRUST_200600_302600_NS6detail15normal_iteratorINSC_10device_ptrIKfEEEESI_EEEEESK_NSA_INS5_IJNSC_16discard_iteratorINSC_11use_defaultEEESN_EEEEEPS7_SQ_SQ_NSC_11hip_rocprim7__merge17predicate_wrapperIffNSC_4lessIfEEEEEE10hipError_tPvRmT0_T1_T2_T3_T4_T5_mmT6_P12ihipStream_tbEUlT_E_NS1_11comp_targetILNS1_3genE10ELNS1_11target_archE1201ELNS1_3gpuE5ELNS1_3repE0EEENS1_30default_config_static_selectorELNS0_4arch9wavefront6targetE0EEEvS11_.numbered_sgpr, 0
	.set _ZN7rocprim17ROCPRIM_400000_NS6detail17trampoline_kernelINS0_14default_configENS1_21merge_config_selectorINS0_5tupleIJffEEENS0_10empty_typeEEEZNS1_10merge_implIS3_NS0_12zip_iteratorINS5_IJN6thrust23THRUST_200600_302600_NS6detail15normal_iteratorINSC_10device_ptrIKfEEEESI_EEEEESK_NSA_INS5_IJNSC_16discard_iteratorINSC_11use_defaultEEESN_EEEEEPS7_SQ_SQ_NSC_11hip_rocprim7__merge17predicate_wrapperIffNSC_4lessIfEEEEEE10hipError_tPvRmT0_T1_T2_T3_T4_T5_mmT6_P12ihipStream_tbEUlT_E_NS1_11comp_targetILNS1_3genE10ELNS1_11target_archE1201ELNS1_3gpuE5ELNS1_3repE0EEENS1_30default_config_static_selectorELNS0_4arch9wavefront6targetE0EEEvS11_.num_named_barrier, 0
	.set _ZN7rocprim17ROCPRIM_400000_NS6detail17trampoline_kernelINS0_14default_configENS1_21merge_config_selectorINS0_5tupleIJffEEENS0_10empty_typeEEEZNS1_10merge_implIS3_NS0_12zip_iteratorINS5_IJN6thrust23THRUST_200600_302600_NS6detail15normal_iteratorINSC_10device_ptrIKfEEEESI_EEEEESK_NSA_INS5_IJNSC_16discard_iteratorINSC_11use_defaultEEESN_EEEEEPS7_SQ_SQ_NSC_11hip_rocprim7__merge17predicate_wrapperIffNSC_4lessIfEEEEEE10hipError_tPvRmT0_T1_T2_T3_T4_T5_mmT6_P12ihipStream_tbEUlT_E_NS1_11comp_targetILNS1_3genE10ELNS1_11target_archE1201ELNS1_3gpuE5ELNS1_3repE0EEENS1_30default_config_static_selectorELNS0_4arch9wavefront6targetE0EEEvS11_.private_seg_size, 0
	.set _ZN7rocprim17ROCPRIM_400000_NS6detail17trampoline_kernelINS0_14default_configENS1_21merge_config_selectorINS0_5tupleIJffEEENS0_10empty_typeEEEZNS1_10merge_implIS3_NS0_12zip_iteratorINS5_IJN6thrust23THRUST_200600_302600_NS6detail15normal_iteratorINSC_10device_ptrIKfEEEESI_EEEEESK_NSA_INS5_IJNSC_16discard_iteratorINSC_11use_defaultEEESN_EEEEEPS7_SQ_SQ_NSC_11hip_rocprim7__merge17predicate_wrapperIffNSC_4lessIfEEEEEE10hipError_tPvRmT0_T1_T2_T3_T4_T5_mmT6_P12ihipStream_tbEUlT_E_NS1_11comp_targetILNS1_3genE10ELNS1_11target_archE1201ELNS1_3gpuE5ELNS1_3repE0EEENS1_30default_config_static_selectorELNS0_4arch9wavefront6targetE0EEEvS11_.uses_vcc, 0
	.set _ZN7rocprim17ROCPRIM_400000_NS6detail17trampoline_kernelINS0_14default_configENS1_21merge_config_selectorINS0_5tupleIJffEEENS0_10empty_typeEEEZNS1_10merge_implIS3_NS0_12zip_iteratorINS5_IJN6thrust23THRUST_200600_302600_NS6detail15normal_iteratorINSC_10device_ptrIKfEEEESI_EEEEESK_NSA_INS5_IJNSC_16discard_iteratorINSC_11use_defaultEEESN_EEEEEPS7_SQ_SQ_NSC_11hip_rocprim7__merge17predicate_wrapperIffNSC_4lessIfEEEEEE10hipError_tPvRmT0_T1_T2_T3_T4_T5_mmT6_P12ihipStream_tbEUlT_E_NS1_11comp_targetILNS1_3genE10ELNS1_11target_archE1201ELNS1_3gpuE5ELNS1_3repE0EEENS1_30default_config_static_selectorELNS0_4arch9wavefront6targetE0EEEvS11_.uses_flat_scratch, 0
	.set _ZN7rocprim17ROCPRIM_400000_NS6detail17trampoline_kernelINS0_14default_configENS1_21merge_config_selectorINS0_5tupleIJffEEENS0_10empty_typeEEEZNS1_10merge_implIS3_NS0_12zip_iteratorINS5_IJN6thrust23THRUST_200600_302600_NS6detail15normal_iteratorINSC_10device_ptrIKfEEEESI_EEEEESK_NSA_INS5_IJNSC_16discard_iteratorINSC_11use_defaultEEESN_EEEEEPS7_SQ_SQ_NSC_11hip_rocprim7__merge17predicate_wrapperIffNSC_4lessIfEEEEEE10hipError_tPvRmT0_T1_T2_T3_T4_T5_mmT6_P12ihipStream_tbEUlT_E_NS1_11comp_targetILNS1_3genE10ELNS1_11target_archE1201ELNS1_3gpuE5ELNS1_3repE0EEENS1_30default_config_static_selectorELNS0_4arch9wavefront6targetE0EEEvS11_.has_dyn_sized_stack, 0
	.set _ZN7rocprim17ROCPRIM_400000_NS6detail17trampoline_kernelINS0_14default_configENS1_21merge_config_selectorINS0_5tupleIJffEEENS0_10empty_typeEEEZNS1_10merge_implIS3_NS0_12zip_iteratorINS5_IJN6thrust23THRUST_200600_302600_NS6detail15normal_iteratorINSC_10device_ptrIKfEEEESI_EEEEESK_NSA_INS5_IJNSC_16discard_iteratorINSC_11use_defaultEEESN_EEEEEPS7_SQ_SQ_NSC_11hip_rocprim7__merge17predicate_wrapperIffNSC_4lessIfEEEEEE10hipError_tPvRmT0_T1_T2_T3_T4_T5_mmT6_P12ihipStream_tbEUlT_E_NS1_11comp_targetILNS1_3genE10ELNS1_11target_archE1201ELNS1_3gpuE5ELNS1_3repE0EEENS1_30default_config_static_selectorELNS0_4arch9wavefront6targetE0EEEvS11_.has_recursion, 0
	.set _ZN7rocprim17ROCPRIM_400000_NS6detail17trampoline_kernelINS0_14default_configENS1_21merge_config_selectorINS0_5tupleIJffEEENS0_10empty_typeEEEZNS1_10merge_implIS3_NS0_12zip_iteratorINS5_IJN6thrust23THRUST_200600_302600_NS6detail15normal_iteratorINSC_10device_ptrIKfEEEESI_EEEEESK_NSA_INS5_IJNSC_16discard_iteratorINSC_11use_defaultEEESN_EEEEEPS7_SQ_SQ_NSC_11hip_rocprim7__merge17predicate_wrapperIffNSC_4lessIfEEEEEE10hipError_tPvRmT0_T1_T2_T3_T4_T5_mmT6_P12ihipStream_tbEUlT_E_NS1_11comp_targetILNS1_3genE10ELNS1_11target_archE1201ELNS1_3gpuE5ELNS1_3repE0EEENS1_30default_config_static_selectorELNS0_4arch9wavefront6targetE0EEEvS11_.has_indirect_call, 0
	.section	.AMDGPU.csdata,"",@progbits
; Kernel info:
; codeLenInByte = 0
; TotalNumSgprs: 0
; NumVgprs: 0
; ScratchSize: 0
; MemoryBound: 0
; FloatMode: 240
; IeeeMode: 1
; LDSByteSize: 0 bytes/workgroup (compile time only)
; SGPRBlocks: 0
; VGPRBlocks: 0
; NumSGPRsForWavesPerEU: 1
; NumVGPRsForWavesPerEU: 1
; Occupancy: 16
; WaveLimiterHint : 0
; COMPUTE_PGM_RSRC2:SCRATCH_EN: 0
; COMPUTE_PGM_RSRC2:USER_SGPR: 6
; COMPUTE_PGM_RSRC2:TRAP_HANDLER: 0
; COMPUTE_PGM_RSRC2:TGID_X_EN: 1
; COMPUTE_PGM_RSRC2:TGID_Y_EN: 0
; COMPUTE_PGM_RSRC2:TGID_Z_EN: 0
; COMPUTE_PGM_RSRC2:TIDIG_COMP_CNT: 0
	.section	.text._ZN7rocprim17ROCPRIM_400000_NS6detail17trampoline_kernelINS0_14default_configENS1_21merge_config_selectorINS0_5tupleIJffEEENS0_10empty_typeEEEZNS1_10merge_implIS3_NS0_12zip_iteratorINS5_IJN6thrust23THRUST_200600_302600_NS6detail15normal_iteratorINSC_10device_ptrIKfEEEESI_EEEEESK_NSA_INS5_IJNSC_16discard_iteratorINSC_11use_defaultEEESN_EEEEEPS7_SQ_SQ_NSC_11hip_rocprim7__merge17predicate_wrapperIffNSC_4lessIfEEEEEE10hipError_tPvRmT0_T1_T2_T3_T4_T5_mmT6_P12ihipStream_tbEUlT_E_NS1_11comp_targetILNS1_3genE10ELNS1_11target_archE1200ELNS1_3gpuE4ELNS1_3repE0EEENS1_30default_config_static_selectorELNS0_4arch9wavefront6targetE0EEEvS11_,"axG",@progbits,_ZN7rocprim17ROCPRIM_400000_NS6detail17trampoline_kernelINS0_14default_configENS1_21merge_config_selectorINS0_5tupleIJffEEENS0_10empty_typeEEEZNS1_10merge_implIS3_NS0_12zip_iteratorINS5_IJN6thrust23THRUST_200600_302600_NS6detail15normal_iteratorINSC_10device_ptrIKfEEEESI_EEEEESK_NSA_INS5_IJNSC_16discard_iteratorINSC_11use_defaultEEESN_EEEEEPS7_SQ_SQ_NSC_11hip_rocprim7__merge17predicate_wrapperIffNSC_4lessIfEEEEEE10hipError_tPvRmT0_T1_T2_T3_T4_T5_mmT6_P12ihipStream_tbEUlT_E_NS1_11comp_targetILNS1_3genE10ELNS1_11target_archE1200ELNS1_3gpuE4ELNS1_3repE0EEENS1_30default_config_static_selectorELNS0_4arch9wavefront6targetE0EEEvS11_,comdat
	.protected	_ZN7rocprim17ROCPRIM_400000_NS6detail17trampoline_kernelINS0_14default_configENS1_21merge_config_selectorINS0_5tupleIJffEEENS0_10empty_typeEEEZNS1_10merge_implIS3_NS0_12zip_iteratorINS5_IJN6thrust23THRUST_200600_302600_NS6detail15normal_iteratorINSC_10device_ptrIKfEEEESI_EEEEESK_NSA_INS5_IJNSC_16discard_iteratorINSC_11use_defaultEEESN_EEEEEPS7_SQ_SQ_NSC_11hip_rocprim7__merge17predicate_wrapperIffNSC_4lessIfEEEEEE10hipError_tPvRmT0_T1_T2_T3_T4_T5_mmT6_P12ihipStream_tbEUlT_E_NS1_11comp_targetILNS1_3genE10ELNS1_11target_archE1200ELNS1_3gpuE4ELNS1_3repE0EEENS1_30default_config_static_selectorELNS0_4arch9wavefront6targetE0EEEvS11_ ; -- Begin function _ZN7rocprim17ROCPRIM_400000_NS6detail17trampoline_kernelINS0_14default_configENS1_21merge_config_selectorINS0_5tupleIJffEEENS0_10empty_typeEEEZNS1_10merge_implIS3_NS0_12zip_iteratorINS5_IJN6thrust23THRUST_200600_302600_NS6detail15normal_iteratorINSC_10device_ptrIKfEEEESI_EEEEESK_NSA_INS5_IJNSC_16discard_iteratorINSC_11use_defaultEEESN_EEEEEPS7_SQ_SQ_NSC_11hip_rocprim7__merge17predicate_wrapperIffNSC_4lessIfEEEEEE10hipError_tPvRmT0_T1_T2_T3_T4_T5_mmT6_P12ihipStream_tbEUlT_E_NS1_11comp_targetILNS1_3genE10ELNS1_11target_archE1200ELNS1_3gpuE4ELNS1_3repE0EEENS1_30default_config_static_selectorELNS0_4arch9wavefront6targetE0EEEvS11_
	.globl	_ZN7rocprim17ROCPRIM_400000_NS6detail17trampoline_kernelINS0_14default_configENS1_21merge_config_selectorINS0_5tupleIJffEEENS0_10empty_typeEEEZNS1_10merge_implIS3_NS0_12zip_iteratorINS5_IJN6thrust23THRUST_200600_302600_NS6detail15normal_iteratorINSC_10device_ptrIKfEEEESI_EEEEESK_NSA_INS5_IJNSC_16discard_iteratorINSC_11use_defaultEEESN_EEEEEPS7_SQ_SQ_NSC_11hip_rocprim7__merge17predicate_wrapperIffNSC_4lessIfEEEEEE10hipError_tPvRmT0_T1_T2_T3_T4_T5_mmT6_P12ihipStream_tbEUlT_E_NS1_11comp_targetILNS1_3genE10ELNS1_11target_archE1200ELNS1_3gpuE4ELNS1_3repE0EEENS1_30default_config_static_selectorELNS0_4arch9wavefront6targetE0EEEvS11_
	.p2align	8
	.type	_ZN7rocprim17ROCPRIM_400000_NS6detail17trampoline_kernelINS0_14default_configENS1_21merge_config_selectorINS0_5tupleIJffEEENS0_10empty_typeEEEZNS1_10merge_implIS3_NS0_12zip_iteratorINS5_IJN6thrust23THRUST_200600_302600_NS6detail15normal_iteratorINSC_10device_ptrIKfEEEESI_EEEEESK_NSA_INS5_IJNSC_16discard_iteratorINSC_11use_defaultEEESN_EEEEEPS7_SQ_SQ_NSC_11hip_rocprim7__merge17predicate_wrapperIffNSC_4lessIfEEEEEE10hipError_tPvRmT0_T1_T2_T3_T4_T5_mmT6_P12ihipStream_tbEUlT_E_NS1_11comp_targetILNS1_3genE10ELNS1_11target_archE1200ELNS1_3gpuE4ELNS1_3repE0EEENS1_30default_config_static_selectorELNS0_4arch9wavefront6targetE0EEEvS11_,@function
_ZN7rocprim17ROCPRIM_400000_NS6detail17trampoline_kernelINS0_14default_configENS1_21merge_config_selectorINS0_5tupleIJffEEENS0_10empty_typeEEEZNS1_10merge_implIS3_NS0_12zip_iteratorINS5_IJN6thrust23THRUST_200600_302600_NS6detail15normal_iteratorINSC_10device_ptrIKfEEEESI_EEEEESK_NSA_INS5_IJNSC_16discard_iteratorINSC_11use_defaultEEESN_EEEEEPS7_SQ_SQ_NSC_11hip_rocprim7__merge17predicate_wrapperIffNSC_4lessIfEEEEEE10hipError_tPvRmT0_T1_T2_T3_T4_T5_mmT6_P12ihipStream_tbEUlT_E_NS1_11comp_targetILNS1_3genE10ELNS1_11target_archE1200ELNS1_3gpuE4ELNS1_3repE0EEENS1_30default_config_static_selectorELNS0_4arch9wavefront6targetE0EEEvS11_: ; @_ZN7rocprim17ROCPRIM_400000_NS6detail17trampoline_kernelINS0_14default_configENS1_21merge_config_selectorINS0_5tupleIJffEEENS0_10empty_typeEEEZNS1_10merge_implIS3_NS0_12zip_iteratorINS5_IJN6thrust23THRUST_200600_302600_NS6detail15normal_iteratorINSC_10device_ptrIKfEEEESI_EEEEESK_NSA_INS5_IJNSC_16discard_iteratorINSC_11use_defaultEEESN_EEEEEPS7_SQ_SQ_NSC_11hip_rocprim7__merge17predicate_wrapperIffNSC_4lessIfEEEEEE10hipError_tPvRmT0_T1_T2_T3_T4_T5_mmT6_P12ihipStream_tbEUlT_E_NS1_11comp_targetILNS1_3genE10ELNS1_11target_archE1200ELNS1_3gpuE4ELNS1_3repE0EEENS1_30default_config_static_selectorELNS0_4arch9wavefront6targetE0EEEvS11_
; %bb.0:
	.section	.rodata,"a",@progbits
	.p2align	6, 0x0
	.amdhsa_kernel _ZN7rocprim17ROCPRIM_400000_NS6detail17trampoline_kernelINS0_14default_configENS1_21merge_config_selectorINS0_5tupleIJffEEENS0_10empty_typeEEEZNS1_10merge_implIS3_NS0_12zip_iteratorINS5_IJN6thrust23THRUST_200600_302600_NS6detail15normal_iteratorINSC_10device_ptrIKfEEEESI_EEEEESK_NSA_INS5_IJNSC_16discard_iteratorINSC_11use_defaultEEESN_EEEEEPS7_SQ_SQ_NSC_11hip_rocprim7__merge17predicate_wrapperIffNSC_4lessIfEEEEEE10hipError_tPvRmT0_T1_T2_T3_T4_T5_mmT6_P12ihipStream_tbEUlT_E_NS1_11comp_targetILNS1_3genE10ELNS1_11target_archE1200ELNS1_3gpuE4ELNS1_3repE0EEENS1_30default_config_static_selectorELNS0_4arch9wavefront6targetE0EEEvS11_
		.amdhsa_group_segment_fixed_size 0
		.amdhsa_private_segment_fixed_size 0
		.amdhsa_kernarg_size 64
		.amdhsa_user_sgpr_count 6
		.amdhsa_user_sgpr_private_segment_buffer 1
		.amdhsa_user_sgpr_dispatch_ptr 0
		.amdhsa_user_sgpr_queue_ptr 0
		.amdhsa_user_sgpr_kernarg_segment_ptr 1
		.amdhsa_user_sgpr_dispatch_id 0
		.amdhsa_user_sgpr_flat_scratch_init 0
		.amdhsa_user_sgpr_private_segment_size 0
		.amdhsa_wavefront_size32 1
		.amdhsa_uses_dynamic_stack 0
		.amdhsa_system_sgpr_private_segment_wavefront_offset 0
		.amdhsa_system_sgpr_workgroup_id_x 1
		.amdhsa_system_sgpr_workgroup_id_y 0
		.amdhsa_system_sgpr_workgroup_id_z 0
		.amdhsa_system_sgpr_workgroup_info 0
		.amdhsa_system_vgpr_workitem_id 0
		.amdhsa_next_free_vgpr 1
		.amdhsa_next_free_sgpr 1
		.amdhsa_reserve_vcc 0
		.amdhsa_reserve_flat_scratch 0
		.amdhsa_float_round_mode_32 0
		.amdhsa_float_round_mode_16_64 0
		.amdhsa_float_denorm_mode_32 3
		.amdhsa_float_denorm_mode_16_64 3
		.amdhsa_dx10_clamp 1
		.amdhsa_ieee_mode 1
		.amdhsa_fp16_overflow 0
		.amdhsa_workgroup_processor_mode 1
		.amdhsa_memory_ordered 1
		.amdhsa_forward_progress 1
		.amdhsa_shared_vgpr_count 0
		.amdhsa_exception_fp_ieee_invalid_op 0
		.amdhsa_exception_fp_denorm_src 0
		.amdhsa_exception_fp_ieee_div_zero 0
		.amdhsa_exception_fp_ieee_overflow 0
		.amdhsa_exception_fp_ieee_underflow 0
		.amdhsa_exception_fp_ieee_inexact 0
		.amdhsa_exception_int_div_zero 0
	.end_amdhsa_kernel
	.section	.text._ZN7rocprim17ROCPRIM_400000_NS6detail17trampoline_kernelINS0_14default_configENS1_21merge_config_selectorINS0_5tupleIJffEEENS0_10empty_typeEEEZNS1_10merge_implIS3_NS0_12zip_iteratorINS5_IJN6thrust23THRUST_200600_302600_NS6detail15normal_iteratorINSC_10device_ptrIKfEEEESI_EEEEESK_NSA_INS5_IJNSC_16discard_iteratorINSC_11use_defaultEEESN_EEEEEPS7_SQ_SQ_NSC_11hip_rocprim7__merge17predicate_wrapperIffNSC_4lessIfEEEEEE10hipError_tPvRmT0_T1_T2_T3_T4_T5_mmT6_P12ihipStream_tbEUlT_E_NS1_11comp_targetILNS1_3genE10ELNS1_11target_archE1200ELNS1_3gpuE4ELNS1_3repE0EEENS1_30default_config_static_selectorELNS0_4arch9wavefront6targetE0EEEvS11_,"axG",@progbits,_ZN7rocprim17ROCPRIM_400000_NS6detail17trampoline_kernelINS0_14default_configENS1_21merge_config_selectorINS0_5tupleIJffEEENS0_10empty_typeEEEZNS1_10merge_implIS3_NS0_12zip_iteratorINS5_IJN6thrust23THRUST_200600_302600_NS6detail15normal_iteratorINSC_10device_ptrIKfEEEESI_EEEEESK_NSA_INS5_IJNSC_16discard_iteratorINSC_11use_defaultEEESN_EEEEEPS7_SQ_SQ_NSC_11hip_rocprim7__merge17predicate_wrapperIffNSC_4lessIfEEEEEE10hipError_tPvRmT0_T1_T2_T3_T4_T5_mmT6_P12ihipStream_tbEUlT_E_NS1_11comp_targetILNS1_3genE10ELNS1_11target_archE1200ELNS1_3gpuE4ELNS1_3repE0EEENS1_30default_config_static_selectorELNS0_4arch9wavefront6targetE0EEEvS11_,comdat
.Lfunc_end503:
	.size	_ZN7rocprim17ROCPRIM_400000_NS6detail17trampoline_kernelINS0_14default_configENS1_21merge_config_selectorINS0_5tupleIJffEEENS0_10empty_typeEEEZNS1_10merge_implIS3_NS0_12zip_iteratorINS5_IJN6thrust23THRUST_200600_302600_NS6detail15normal_iteratorINSC_10device_ptrIKfEEEESI_EEEEESK_NSA_INS5_IJNSC_16discard_iteratorINSC_11use_defaultEEESN_EEEEEPS7_SQ_SQ_NSC_11hip_rocprim7__merge17predicate_wrapperIffNSC_4lessIfEEEEEE10hipError_tPvRmT0_T1_T2_T3_T4_T5_mmT6_P12ihipStream_tbEUlT_E_NS1_11comp_targetILNS1_3genE10ELNS1_11target_archE1200ELNS1_3gpuE4ELNS1_3repE0EEENS1_30default_config_static_selectorELNS0_4arch9wavefront6targetE0EEEvS11_, .Lfunc_end503-_ZN7rocprim17ROCPRIM_400000_NS6detail17trampoline_kernelINS0_14default_configENS1_21merge_config_selectorINS0_5tupleIJffEEENS0_10empty_typeEEEZNS1_10merge_implIS3_NS0_12zip_iteratorINS5_IJN6thrust23THRUST_200600_302600_NS6detail15normal_iteratorINSC_10device_ptrIKfEEEESI_EEEEESK_NSA_INS5_IJNSC_16discard_iteratorINSC_11use_defaultEEESN_EEEEEPS7_SQ_SQ_NSC_11hip_rocprim7__merge17predicate_wrapperIffNSC_4lessIfEEEEEE10hipError_tPvRmT0_T1_T2_T3_T4_T5_mmT6_P12ihipStream_tbEUlT_E_NS1_11comp_targetILNS1_3genE10ELNS1_11target_archE1200ELNS1_3gpuE4ELNS1_3repE0EEENS1_30default_config_static_selectorELNS0_4arch9wavefront6targetE0EEEvS11_
                                        ; -- End function
	.set _ZN7rocprim17ROCPRIM_400000_NS6detail17trampoline_kernelINS0_14default_configENS1_21merge_config_selectorINS0_5tupleIJffEEENS0_10empty_typeEEEZNS1_10merge_implIS3_NS0_12zip_iteratorINS5_IJN6thrust23THRUST_200600_302600_NS6detail15normal_iteratorINSC_10device_ptrIKfEEEESI_EEEEESK_NSA_INS5_IJNSC_16discard_iteratorINSC_11use_defaultEEESN_EEEEEPS7_SQ_SQ_NSC_11hip_rocprim7__merge17predicate_wrapperIffNSC_4lessIfEEEEEE10hipError_tPvRmT0_T1_T2_T3_T4_T5_mmT6_P12ihipStream_tbEUlT_E_NS1_11comp_targetILNS1_3genE10ELNS1_11target_archE1200ELNS1_3gpuE4ELNS1_3repE0EEENS1_30default_config_static_selectorELNS0_4arch9wavefront6targetE0EEEvS11_.num_vgpr, 0
	.set _ZN7rocprim17ROCPRIM_400000_NS6detail17trampoline_kernelINS0_14default_configENS1_21merge_config_selectorINS0_5tupleIJffEEENS0_10empty_typeEEEZNS1_10merge_implIS3_NS0_12zip_iteratorINS5_IJN6thrust23THRUST_200600_302600_NS6detail15normal_iteratorINSC_10device_ptrIKfEEEESI_EEEEESK_NSA_INS5_IJNSC_16discard_iteratorINSC_11use_defaultEEESN_EEEEEPS7_SQ_SQ_NSC_11hip_rocprim7__merge17predicate_wrapperIffNSC_4lessIfEEEEEE10hipError_tPvRmT0_T1_T2_T3_T4_T5_mmT6_P12ihipStream_tbEUlT_E_NS1_11comp_targetILNS1_3genE10ELNS1_11target_archE1200ELNS1_3gpuE4ELNS1_3repE0EEENS1_30default_config_static_selectorELNS0_4arch9wavefront6targetE0EEEvS11_.num_agpr, 0
	.set _ZN7rocprim17ROCPRIM_400000_NS6detail17trampoline_kernelINS0_14default_configENS1_21merge_config_selectorINS0_5tupleIJffEEENS0_10empty_typeEEEZNS1_10merge_implIS3_NS0_12zip_iteratorINS5_IJN6thrust23THRUST_200600_302600_NS6detail15normal_iteratorINSC_10device_ptrIKfEEEESI_EEEEESK_NSA_INS5_IJNSC_16discard_iteratorINSC_11use_defaultEEESN_EEEEEPS7_SQ_SQ_NSC_11hip_rocprim7__merge17predicate_wrapperIffNSC_4lessIfEEEEEE10hipError_tPvRmT0_T1_T2_T3_T4_T5_mmT6_P12ihipStream_tbEUlT_E_NS1_11comp_targetILNS1_3genE10ELNS1_11target_archE1200ELNS1_3gpuE4ELNS1_3repE0EEENS1_30default_config_static_selectorELNS0_4arch9wavefront6targetE0EEEvS11_.numbered_sgpr, 0
	.set _ZN7rocprim17ROCPRIM_400000_NS6detail17trampoline_kernelINS0_14default_configENS1_21merge_config_selectorINS0_5tupleIJffEEENS0_10empty_typeEEEZNS1_10merge_implIS3_NS0_12zip_iteratorINS5_IJN6thrust23THRUST_200600_302600_NS6detail15normal_iteratorINSC_10device_ptrIKfEEEESI_EEEEESK_NSA_INS5_IJNSC_16discard_iteratorINSC_11use_defaultEEESN_EEEEEPS7_SQ_SQ_NSC_11hip_rocprim7__merge17predicate_wrapperIffNSC_4lessIfEEEEEE10hipError_tPvRmT0_T1_T2_T3_T4_T5_mmT6_P12ihipStream_tbEUlT_E_NS1_11comp_targetILNS1_3genE10ELNS1_11target_archE1200ELNS1_3gpuE4ELNS1_3repE0EEENS1_30default_config_static_selectorELNS0_4arch9wavefront6targetE0EEEvS11_.num_named_barrier, 0
	.set _ZN7rocprim17ROCPRIM_400000_NS6detail17trampoline_kernelINS0_14default_configENS1_21merge_config_selectorINS0_5tupleIJffEEENS0_10empty_typeEEEZNS1_10merge_implIS3_NS0_12zip_iteratorINS5_IJN6thrust23THRUST_200600_302600_NS6detail15normal_iteratorINSC_10device_ptrIKfEEEESI_EEEEESK_NSA_INS5_IJNSC_16discard_iteratorINSC_11use_defaultEEESN_EEEEEPS7_SQ_SQ_NSC_11hip_rocprim7__merge17predicate_wrapperIffNSC_4lessIfEEEEEE10hipError_tPvRmT0_T1_T2_T3_T4_T5_mmT6_P12ihipStream_tbEUlT_E_NS1_11comp_targetILNS1_3genE10ELNS1_11target_archE1200ELNS1_3gpuE4ELNS1_3repE0EEENS1_30default_config_static_selectorELNS0_4arch9wavefront6targetE0EEEvS11_.private_seg_size, 0
	.set _ZN7rocprim17ROCPRIM_400000_NS6detail17trampoline_kernelINS0_14default_configENS1_21merge_config_selectorINS0_5tupleIJffEEENS0_10empty_typeEEEZNS1_10merge_implIS3_NS0_12zip_iteratorINS5_IJN6thrust23THRUST_200600_302600_NS6detail15normal_iteratorINSC_10device_ptrIKfEEEESI_EEEEESK_NSA_INS5_IJNSC_16discard_iteratorINSC_11use_defaultEEESN_EEEEEPS7_SQ_SQ_NSC_11hip_rocprim7__merge17predicate_wrapperIffNSC_4lessIfEEEEEE10hipError_tPvRmT0_T1_T2_T3_T4_T5_mmT6_P12ihipStream_tbEUlT_E_NS1_11comp_targetILNS1_3genE10ELNS1_11target_archE1200ELNS1_3gpuE4ELNS1_3repE0EEENS1_30default_config_static_selectorELNS0_4arch9wavefront6targetE0EEEvS11_.uses_vcc, 0
	.set _ZN7rocprim17ROCPRIM_400000_NS6detail17trampoline_kernelINS0_14default_configENS1_21merge_config_selectorINS0_5tupleIJffEEENS0_10empty_typeEEEZNS1_10merge_implIS3_NS0_12zip_iteratorINS5_IJN6thrust23THRUST_200600_302600_NS6detail15normal_iteratorINSC_10device_ptrIKfEEEESI_EEEEESK_NSA_INS5_IJNSC_16discard_iteratorINSC_11use_defaultEEESN_EEEEEPS7_SQ_SQ_NSC_11hip_rocprim7__merge17predicate_wrapperIffNSC_4lessIfEEEEEE10hipError_tPvRmT0_T1_T2_T3_T4_T5_mmT6_P12ihipStream_tbEUlT_E_NS1_11comp_targetILNS1_3genE10ELNS1_11target_archE1200ELNS1_3gpuE4ELNS1_3repE0EEENS1_30default_config_static_selectorELNS0_4arch9wavefront6targetE0EEEvS11_.uses_flat_scratch, 0
	.set _ZN7rocprim17ROCPRIM_400000_NS6detail17trampoline_kernelINS0_14default_configENS1_21merge_config_selectorINS0_5tupleIJffEEENS0_10empty_typeEEEZNS1_10merge_implIS3_NS0_12zip_iteratorINS5_IJN6thrust23THRUST_200600_302600_NS6detail15normal_iteratorINSC_10device_ptrIKfEEEESI_EEEEESK_NSA_INS5_IJNSC_16discard_iteratorINSC_11use_defaultEEESN_EEEEEPS7_SQ_SQ_NSC_11hip_rocprim7__merge17predicate_wrapperIffNSC_4lessIfEEEEEE10hipError_tPvRmT0_T1_T2_T3_T4_T5_mmT6_P12ihipStream_tbEUlT_E_NS1_11comp_targetILNS1_3genE10ELNS1_11target_archE1200ELNS1_3gpuE4ELNS1_3repE0EEENS1_30default_config_static_selectorELNS0_4arch9wavefront6targetE0EEEvS11_.has_dyn_sized_stack, 0
	.set _ZN7rocprim17ROCPRIM_400000_NS6detail17trampoline_kernelINS0_14default_configENS1_21merge_config_selectorINS0_5tupleIJffEEENS0_10empty_typeEEEZNS1_10merge_implIS3_NS0_12zip_iteratorINS5_IJN6thrust23THRUST_200600_302600_NS6detail15normal_iteratorINSC_10device_ptrIKfEEEESI_EEEEESK_NSA_INS5_IJNSC_16discard_iteratorINSC_11use_defaultEEESN_EEEEEPS7_SQ_SQ_NSC_11hip_rocprim7__merge17predicate_wrapperIffNSC_4lessIfEEEEEE10hipError_tPvRmT0_T1_T2_T3_T4_T5_mmT6_P12ihipStream_tbEUlT_E_NS1_11comp_targetILNS1_3genE10ELNS1_11target_archE1200ELNS1_3gpuE4ELNS1_3repE0EEENS1_30default_config_static_selectorELNS0_4arch9wavefront6targetE0EEEvS11_.has_recursion, 0
	.set _ZN7rocprim17ROCPRIM_400000_NS6detail17trampoline_kernelINS0_14default_configENS1_21merge_config_selectorINS0_5tupleIJffEEENS0_10empty_typeEEEZNS1_10merge_implIS3_NS0_12zip_iteratorINS5_IJN6thrust23THRUST_200600_302600_NS6detail15normal_iteratorINSC_10device_ptrIKfEEEESI_EEEEESK_NSA_INS5_IJNSC_16discard_iteratorINSC_11use_defaultEEESN_EEEEEPS7_SQ_SQ_NSC_11hip_rocprim7__merge17predicate_wrapperIffNSC_4lessIfEEEEEE10hipError_tPvRmT0_T1_T2_T3_T4_T5_mmT6_P12ihipStream_tbEUlT_E_NS1_11comp_targetILNS1_3genE10ELNS1_11target_archE1200ELNS1_3gpuE4ELNS1_3repE0EEENS1_30default_config_static_selectorELNS0_4arch9wavefront6targetE0EEEvS11_.has_indirect_call, 0
	.section	.AMDGPU.csdata,"",@progbits
; Kernel info:
; codeLenInByte = 0
; TotalNumSgprs: 0
; NumVgprs: 0
; ScratchSize: 0
; MemoryBound: 0
; FloatMode: 240
; IeeeMode: 1
; LDSByteSize: 0 bytes/workgroup (compile time only)
; SGPRBlocks: 0
; VGPRBlocks: 0
; NumSGPRsForWavesPerEU: 1
; NumVGPRsForWavesPerEU: 1
; Occupancy: 16
; WaveLimiterHint : 0
; COMPUTE_PGM_RSRC2:SCRATCH_EN: 0
; COMPUTE_PGM_RSRC2:USER_SGPR: 6
; COMPUTE_PGM_RSRC2:TRAP_HANDLER: 0
; COMPUTE_PGM_RSRC2:TGID_X_EN: 1
; COMPUTE_PGM_RSRC2:TGID_Y_EN: 0
; COMPUTE_PGM_RSRC2:TGID_Z_EN: 0
; COMPUTE_PGM_RSRC2:TIDIG_COMP_CNT: 0
	.section	.text._ZN7rocprim17ROCPRIM_400000_NS6detail17trampoline_kernelINS0_14default_configENS1_21merge_config_selectorINS0_5tupleIJffEEENS0_10empty_typeEEEZNS1_10merge_implIS3_NS0_12zip_iteratorINS5_IJN6thrust23THRUST_200600_302600_NS6detail15normal_iteratorINSC_10device_ptrIKfEEEESI_EEEEESK_NSA_INS5_IJNSC_16discard_iteratorINSC_11use_defaultEEESN_EEEEEPS7_SQ_SQ_NSC_11hip_rocprim7__merge17predicate_wrapperIffNSC_4lessIfEEEEEE10hipError_tPvRmT0_T1_T2_T3_T4_T5_mmT6_P12ihipStream_tbEUlT_E_NS1_11comp_targetILNS1_3genE9ELNS1_11target_archE1100ELNS1_3gpuE3ELNS1_3repE0EEENS1_30default_config_static_selectorELNS0_4arch9wavefront6targetE0EEEvS11_,"axG",@progbits,_ZN7rocprim17ROCPRIM_400000_NS6detail17trampoline_kernelINS0_14default_configENS1_21merge_config_selectorINS0_5tupleIJffEEENS0_10empty_typeEEEZNS1_10merge_implIS3_NS0_12zip_iteratorINS5_IJN6thrust23THRUST_200600_302600_NS6detail15normal_iteratorINSC_10device_ptrIKfEEEESI_EEEEESK_NSA_INS5_IJNSC_16discard_iteratorINSC_11use_defaultEEESN_EEEEEPS7_SQ_SQ_NSC_11hip_rocprim7__merge17predicate_wrapperIffNSC_4lessIfEEEEEE10hipError_tPvRmT0_T1_T2_T3_T4_T5_mmT6_P12ihipStream_tbEUlT_E_NS1_11comp_targetILNS1_3genE9ELNS1_11target_archE1100ELNS1_3gpuE3ELNS1_3repE0EEENS1_30default_config_static_selectorELNS0_4arch9wavefront6targetE0EEEvS11_,comdat
	.protected	_ZN7rocprim17ROCPRIM_400000_NS6detail17trampoline_kernelINS0_14default_configENS1_21merge_config_selectorINS0_5tupleIJffEEENS0_10empty_typeEEEZNS1_10merge_implIS3_NS0_12zip_iteratorINS5_IJN6thrust23THRUST_200600_302600_NS6detail15normal_iteratorINSC_10device_ptrIKfEEEESI_EEEEESK_NSA_INS5_IJNSC_16discard_iteratorINSC_11use_defaultEEESN_EEEEEPS7_SQ_SQ_NSC_11hip_rocprim7__merge17predicate_wrapperIffNSC_4lessIfEEEEEE10hipError_tPvRmT0_T1_T2_T3_T4_T5_mmT6_P12ihipStream_tbEUlT_E_NS1_11comp_targetILNS1_3genE9ELNS1_11target_archE1100ELNS1_3gpuE3ELNS1_3repE0EEENS1_30default_config_static_selectorELNS0_4arch9wavefront6targetE0EEEvS11_ ; -- Begin function _ZN7rocprim17ROCPRIM_400000_NS6detail17trampoline_kernelINS0_14default_configENS1_21merge_config_selectorINS0_5tupleIJffEEENS0_10empty_typeEEEZNS1_10merge_implIS3_NS0_12zip_iteratorINS5_IJN6thrust23THRUST_200600_302600_NS6detail15normal_iteratorINSC_10device_ptrIKfEEEESI_EEEEESK_NSA_INS5_IJNSC_16discard_iteratorINSC_11use_defaultEEESN_EEEEEPS7_SQ_SQ_NSC_11hip_rocprim7__merge17predicate_wrapperIffNSC_4lessIfEEEEEE10hipError_tPvRmT0_T1_T2_T3_T4_T5_mmT6_P12ihipStream_tbEUlT_E_NS1_11comp_targetILNS1_3genE9ELNS1_11target_archE1100ELNS1_3gpuE3ELNS1_3repE0EEENS1_30default_config_static_selectorELNS0_4arch9wavefront6targetE0EEEvS11_
	.globl	_ZN7rocprim17ROCPRIM_400000_NS6detail17trampoline_kernelINS0_14default_configENS1_21merge_config_selectorINS0_5tupleIJffEEENS0_10empty_typeEEEZNS1_10merge_implIS3_NS0_12zip_iteratorINS5_IJN6thrust23THRUST_200600_302600_NS6detail15normal_iteratorINSC_10device_ptrIKfEEEESI_EEEEESK_NSA_INS5_IJNSC_16discard_iteratorINSC_11use_defaultEEESN_EEEEEPS7_SQ_SQ_NSC_11hip_rocprim7__merge17predicate_wrapperIffNSC_4lessIfEEEEEE10hipError_tPvRmT0_T1_T2_T3_T4_T5_mmT6_P12ihipStream_tbEUlT_E_NS1_11comp_targetILNS1_3genE9ELNS1_11target_archE1100ELNS1_3gpuE3ELNS1_3repE0EEENS1_30default_config_static_selectorELNS0_4arch9wavefront6targetE0EEEvS11_
	.p2align	8
	.type	_ZN7rocprim17ROCPRIM_400000_NS6detail17trampoline_kernelINS0_14default_configENS1_21merge_config_selectorINS0_5tupleIJffEEENS0_10empty_typeEEEZNS1_10merge_implIS3_NS0_12zip_iteratorINS5_IJN6thrust23THRUST_200600_302600_NS6detail15normal_iteratorINSC_10device_ptrIKfEEEESI_EEEEESK_NSA_INS5_IJNSC_16discard_iteratorINSC_11use_defaultEEESN_EEEEEPS7_SQ_SQ_NSC_11hip_rocprim7__merge17predicate_wrapperIffNSC_4lessIfEEEEEE10hipError_tPvRmT0_T1_T2_T3_T4_T5_mmT6_P12ihipStream_tbEUlT_E_NS1_11comp_targetILNS1_3genE9ELNS1_11target_archE1100ELNS1_3gpuE3ELNS1_3repE0EEENS1_30default_config_static_selectorELNS0_4arch9wavefront6targetE0EEEvS11_,@function
_ZN7rocprim17ROCPRIM_400000_NS6detail17trampoline_kernelINS0_14default_configENS1_21merge_config_selectorINS0_5tupleIJffEEENS0_10empty_typeEEEZNS1_10merge_implIS3_NS0_12zip_iteratorINS5_IJN6thrust23THRUST_200600_302600_NS6detail15normal_iteratorINSC_10device_ptrIKfEEEESI_EEEEESK_NSA_INS5_IJNSC_16discard_iteratorINSC_11use_defaultEEESN_EEEEEPS7_SQ_SQ_NSC_11hip_rocprim7__merge17predicate_wrapperIffNSC_4lessIfEEEEEE10hipError_tPvRmT0_T1_T2_T3_T4_T5_mmT6_P12ihipStream_tbEUlT_E_NS1_11comp_targetILNS1_3genE9ELNS1_11target_archE1100ELNS1_3gpuE3ELNS1_3repE0EEENS1_30default_config_static_selectorELNS0_4arch9wavefront6targetE0EEEvS11_: ; @_ZN7rocprim17ROCPRIM_400000_NS6detail17trampoline_kernelINS0_14default_configENS1_21merge_config_selectorINS0_5tupleIJffEEENS0_10empty_typeEEEZNS1_10merge_implIS3_NS0_12zip_iteratorINS5_IJN6thrust23THRUST_200600_302600_NS6detail15normal_iteratorINSC_10device_ptrIKfEEEESI_EEEEESK_NSA_INS5_IJNSC_16discard_iteratorINSC_11use_defaultEEESN_EEEEEPS7_SQ_SQ_NSC_11hip_rocprim7__merge17predicate_wrapperIffNSC_4lessIfEEEEEE10hipError_tPvRmT0_T1_T2_T3_T4_T5_mmT6_P12ihipStream_tbEUlT_E_NS1_11comp_targetILNS1_3genE9ELNS1_11target_archE1100ELNS1_3gpuE3ELNS1_3repE0EEENS1_30default_config_static_selectorELNS0_4arch9wavefront6targetE0EEEvS11_
; %bb.0:
	.section	.rodata,"a",@progbits
	.p2align	6, 0x0
	.amdhsa_kernel _ZN7rocprim17ROCPRIM_400000_NS6detail17trampoline_kernelINS0_14default_configENS1_21merge_config_selectorINS0_5tupleIJffEEENS0_10empty_typeEEEZNS1_10merge_implIS3_NS0_12zip_iteratorINS5_IJN6thrust23THRUST_200600_302600_NS6detail15normal_iteratorINSC_10device_ptrIKfEEEESI_EEEEESK_NSA_INS5_IJNSC_16discard_iteratorINSC_11use_defaultEEESN_EEEEEPS7_SQ_SQ_NSC_11hip_rocprim7__merge17predicate_wrapperIffNSC_4lessIfEEEEEE10hipError_tPvRmT0_T1_T2_T3_T4_T5_mmT6_P12ihipStream_tbEUlT_E_NS1_11comp_targetILNS1_3genE9ELNS1_11target_archE1100ELNS1_3gpuE3ELNS1_3repE0EEENS1_30default_config_static_selectorELNS0_4arch9wavefront6targetE0EEEvS11_
		.amdhsa_group_segment_fixed_size 0
		.amdhsa_private_segment_fixed_size 0
		.amdhsa_kernarg_size 64
		.amdhsa_user_sgpr_count 6
		.amdhsa_user_sgpr_private_segment_buffer 1
		.amdhsa_user_sgpr_dispatch_ptr 0
		.amdhsa_user_sgpr_queue_ptr 0
		.amdhsa_user_sgpr_kernarg_segment_ptr 1
		.amdhsa_user_sgpr_dispatch_id 0
		.amdhsa_user_sgpr_flat_scratch_init 0
		.amdhsa_user_sgpr_private_segment_size 0
		.amdhsa_wavefront_size32 1
		.amdhsa_uses_dynamic_stack 0
		.amdhsa_system_sgpr_private_segment_wavefront_offset 0
		.amdhsa_system_sgpr_workgroup_id_x 1
		.amdhsa_system_sgpr_workgroup_id_y 0
		.amdhsa_system_sgpr_workgroup_id_z 0
		.amdhsa_system_sgpr_workgroup_info 0
		.amdhsa_system_vgpr_workitem_id 0
		.amdhsa_next_free_vgpr 1
		.amdhsa_next_free_sgpr 1
		.amdhsa_reserve_vcc 0
		.amdhsa_reserve_flat_scratch 0
		.amdhsa_float_round_mode_32 0
		.amdhsa_float_round_mode_16_64 0
		.amdhsa_float_denorm_mode_32 3
		.amdhsa_float_denorm_mode_16_64 3
		.amdhsa_dx10_clamp 1
		.amdhsa_ieee_mode 1
		.amdhsa_fp16_overflow 0
		.amdhsa_workgroup_processor_mode 1
		.amdhsa_memory_ordered 1
		.amdhsa_forward_progress 1
		.amdhsa_shared_vgpr_count 0
		.amdhsa_exception_fp_ieee_invalid_op 0
		.amdhsa_exception_fp_denorm_src 0
		.amdhsa_exception_fp_ieee_div_zero 0
		.amdhsa_exception_fp_ieee_overflow 0
		.amdhsa_exception_fp_ieee_underflow 0
		.amdhsa_exception_fp_ieee_inexact 0
		.amdhsa_exception_int_div_zero 0
	.end_amdhsa_kernel
	.section	.text._ZN7rocprim17ROCPRIM_400000_NS6detail17trampoline_kernelINS0_14default_configENS1_21merge_config_selectorINS0_5tupleIJffEEENS0_10empty_typeEEEZNS1_10merge_implIS3_NS0_12zip_iteratorINS5_IJN6thrust23THRUST_200600_302600_NS6detail15normal_iteratorINSC_10device_ptrIKfEEEESI_EEEEESK_NSA_INS5_IJNSC_16discard_iteratorINSC_11use_defaultEEESN_EEEEEPS7_SQ_SQ_NSC_11hip_rocprim7__merge17predicate_wrapperIffNSC_4lessIfEEEEEE10hipError_tPvRmT0_T1_T2_T3_T4_T5_mmT6_P12ihipStream_tbEUlT_E_NS1_11comp_targetILNS1_3genE9ELNS1_11target_archE1100ELNS1_3gpuE3ELNS1_3repE0EEENS1_30default_config_static_selectorELNS0_4arch9wavefront6targetE0EEEvS11_,"axG",@progbits,_ZN7rocprim17ROCPRIM_400000_NS6detail17trampoline_kernelINS0_14default_configENS1_21merge_config_selectorINS0_5tupleIJffEEENS0_10empty_typeEEEZNS1_10merge_implIS3_NS0_12zip_iteratorINS5_IJN6thrust23THRUST_200600_302600_NS6detail15normal_iteratorINSC_10device_ptrIKfEEEESI_EEEEESK_NSA_INS5_IJNSC_16discard_iteratorINSC_11use_defaultEEESN_EEEEEPS7_SQ_SQ_NSC_11hip_rocprim7__merge17predicate_wrapperIffNSC_4lessIfEEEEEE10hipError_tPvRmT0_T1_T2_T3_T4_T5_mmT6_P12ihipStream_tbEUlT_E_NS1_11comp_targetILNS1_3genE9ELNS1_11target_archE1100ELNS1_3gpuE3ELNS1_3repE0EEENS1_30default_config_static_selectorELNS0_4arch9wavefront6targetE0EEEvS11_,comdat
.Lfunc_end504:
	.size	_ZN7rocprim17ROCPRIM_400000_NS6detail17trampoline_kernelINS0_14default_configENS1_21merge_config_selectorINS0_5tupleIJffEEENS0_10empty_typeEEEZNS1_10merge_implIS3_NS0_12zip_iteratorINS5_IJN6thrust23THRUST_200600_302600_NS6detail15normal_iteratorINSC_10device_ptrIKfEEEESI_EEEEESK_NSA_INS5_IJNSC_16discard_iteratorINSC_11use_defaultEEESN_EEEEEPS7_SQ_SQ_NSC_11hip_rocprim7__merge17predicate_wrapperIffNSC_4lessIfEEEEEE10hipError_tPvRmT0_T1_T2_T3_T4_T5_mmT6_P12ihipStream_tbEUlT_E_NS1_11comp_targetILNS1_3genE9ELNS1_11target_archE1100ELNS1_3gpuE3ELNS1_3repE0EEENS1_30default_config_static_selectorELNS0_4arch9wavefront6targetE0EEEvS11_, .Lfunc_end504-_ZN7rocprim17ROCPRIM_400000_NS6detail17trampoline_kernelINS0_14default_configENS1_21merge_config_selectorINS0_5tupleIJffEEENS0_10empty_typeEEEZNS1_10merge_implIS3_NS0_12zip_iteratorINS5_IJN6thrust23THRUST_200600_302600_NS6detail15normal_iteratorINSC_10device_ptrIKfEEEESI_EEEEESK_NSA_INS5_IJNSC_16discard_iteratorINSC_11use_defaultEEESN_EEEEEPS7_SQ_SQ_NSC_11hip_rocprim7__merge17predicate_wrapperIffNSC_4lessIfEEEEEE10hipError_tPvRmT0_T1_T2_T3_T4_T5_mmT6_P12ihipStream_tbEUlT_E_NS1_11comp_targetILNS1_3genE9ELNS1_11target_archE1100ELNS1_3gpuE3ELNS1_3repE0EEENS1_30default_config_static_selectorELNS0_4arch9wavefront6targetE0EEEvS11_
                                        ; -- End function
	.set _ZN7rocprim17ROCPRIM_400000_NS6detail17trampoline_kernelINS0_14default_configENS1_21merge_config_selectorINS0_5tupleIJffEEENS0_10empty_typeEEEZNS1_10merge_implIS3_NS0_12zip_iteratorINS5_IJN6thrust23THRUST_200600_302600_NS6detail15normal_iteratorINSC_10device_ptrIKfEEEESI_EEEEESK_NSA_INS5_IJNSC_16discard_iteratorINSC_11use_defaultEEESN_EEEEEPS7_SQ_SQ_NSC_11hip_rocprim7__merge17predicate_wrapperIffNSC_4lessIfEEEEEE10hipError_tPvRmT0_T1_T2_T3_T4_T5_mmT6_P12ihipStream_tbEUlT_E_NS1_11comp_targetILNS1_3genE9ELNS1_11target_archE1100ELNS1_3gpuE3ELNS1_3repE0EEENS1_30default_config_static_selectorELNS0_4arch9wavefront6targetE0EEEvS11_.num_vgpr, 0
	.set _ZN7rocprim17ROCPRIM_400000_NS6detail17trampoline_kernelINS0_14default_configENS1_21merge_config_selectorINS0_5tupleIJffEEENS0_10empty_typeEEEZNS1_10merge_implIS3_NS0_12zip_iteratorINS5_IJN6thrust23THRUST_200600_302600_NS6detail15normal_iteratorINSC_10device_ptrIKfEEEESI_EEEEESK_NSA_INS5_IJNSC_16discard_iteratorINSC_11use_defaultEEESN_EEEEEPS7_SQ_SQ_NSC_11hip_rocprim7__merge17predicate_wrapperIffNSC_4lessIfEEEEEE10hipError_tPvRmT0_T1_T2_T3_T4_T5_mmT6_P12ihipStream_tbEUlT_E_NS1_11comp_targetILNS1_3genE9ELNS1_11target_archE1100ELNS1_3gpuE3ELNS1_3repE0EEENS1_30default_config_static_selectorELNS0_4arch9wavefront6targetE0EEEvS11_.num_agpr, 0
	.set _ZN7rocprim17ROCPRIM_400000_NS6detail17trampoline_kernelINS0_14default_configENS1_21merge_config_selectorINS0_5tupleIJffEEENS0_10empty_typeEEEZNS1_10merge_implIS3_NS0_12zip_iteratorINS5_IJN6thrust23THRUST_200600_302600_NS6detail15normal_iteratorINSC_10device_ptrIKfEEEESI_EEEEESK_NSA_INS5_IJNSC_16discard_iteratorINSC_11use_defaultEEESN_EEEEEPS7_SQ_SQ_NSC_11hip_rocprim7__merge17predicate_wrapperIffNSC_4lessIfEEEEEE10hipError_tPvRmT0_T1_T2_T3_T4_T5_mmT6_P12ihipStream_tbEUlT_E_NS1_11comp_targetILNS1_3genE9ELNS1_11target_archE1100ELNS1_3gpuE3ELNS1_3repE0EEENS1_30default_config_static_selectorELNS0_4arch9wavefront6targetE0EEEvS11_.numbered_sgpr, 0
	.set _ZN7rocprim17ROCPRIM_400000_NS6detail17trampoline_kernelINS0_14default_configENS1_21merge_config_selectorINS0_5tupleIJffEEENS0_10empty_typeEEEZNS1_10merge_implIS3_NS0_12zip_iteratorINS5_IJN6thrust23THRUST_200600_302600_NS6detail15normal_iteratorINSC_10device_ptrIKfEEEESI_EEEEESK_NSA_INS5_IJNSC_16discard_iteratorINSC_11use_defaultEEESN_EEEEEPS7_SQ_SQ_NSC_11hip_rocprim7__merge17predicate_wrapperIffNSC_4lessIfEEEEEE10hipError_tPvRmT0_T1_T2_T3_T4_T5_mmT6_P12ihipStream_tbEUlT_E_NS1_11comp_targetILNS1_3genE9ELNS1_11target_archE1100ELNS1_3gpuE3ELNS1_3repE0EEENS1_30default_config_static_selectorELNS0_4arch9wavefront6targetE0EEEvS11_.num_named_barrier, 0
	.set _ZN7rocprim17ROCPRIM_400000_NS6detail17trampoline_kernelINS0_14default_configENS1_21merge_config_selectorINS0_5tupleIJffEEENS0_10empty_typeEEEZNS1_10merge_implIS3_NS0_12zip_iteratorINS5_IJN6thrust23THRUST_200600_302600_NS6detail15normal_iteratorINSC_10device_ptrIKfEEEESI_EEEEESK_NSA_INS5_IJNSC_16discard_iteratorINSC_11use_defaultEEESN_EEEEEPS7_SQ_SQ_NSC_11hip_rocprim7__merge17predicate_wrapperIffNSC_4lessIfEEEEEE10hipError_tPvRmT0_T1_T2_T3_T4_T5_mmT6_P12ihipStream_tbEUlT_E_NS1_11comp_targetILNS1_3genE9ELNS1_11target_archE1100ELNS1_3gpuE3ELNS1_3repE0EEENS1_30default_config_static_selectorELNS0_4arch9wavefront6targetE0EEEvS11_.private_seg_size, 0
	.set _ZN7rocprim17ROCPRIM_400000_NS6detail17trampoline_kernelINS0_14default_configENS1_21merge_config_selectorINS0_5tupleIJffEEENS0_10empty_typeEEEZNS1_10merge_implIS3_NS0_12zip_iteratorINS5_IJN6thrust23THRUST_200600_302600_NS6detail15normal_iteratorINSC_10device_ptrIKfEEEESI_EEEEESK_NSA_INS5_IJNSC_16discard_iteratorINSC_11use_defaultEEESN_EEEEEPS7_SQ_SQ_NSC_11hip_rocprim7__merge17predicate_wrapperIffNSC_4lessIfEEEEEE10hipError_tPvRmT0_T1_T2_T3_T4_T5_mmT6_P12ihipStream_tbEUlT_E_NS1_11comp_targetILNS1_3genE9ELNS1_11target_archE1100ELNS1_3gpuE3ELNS1_3repE0EEENS1_30default_config_static_selectorELNS0_4arch9wavefront6targetE0EEEvS11_.uses_vcc, 0
	.set _ZN7rocprim17ROCPRIM_400000_NS6detail17trampoline_kernelINS0_14default_configENS1_21merge_config_selectorINS0_5tupleIJffEEENS0_10empty_typeEEEZNS1_10merge_implIS3_NS0_12zip_iteratorINS5_IJN6thrust23THRUST_200600_302600_NS6detail15normal_iteratorINSC_10device_ptrIKfEEEESI_EEEEESK_NSA_INS5_IJNSC_16discard_iteratorINSC_11use_defaultEEESN_EEEEEPS7_SQ_SQ_NSC_11hip_rocprim7__merge17predicate_wrapperIffNSC_4lessIfEEEEEE10hipError_tPvRmT0_T1_T2_T3_T4_T5_mmT6_P12ihipStream_tbEUlT_E_NS1_11comp_targetILNS1_3genE9ELNS1_11target_archE1100ELNS1_3gpuE3ELNS1_3repE0EEENS1_30default_config_static_selectorELNS0_4arch9wavefront6targetE0EEEvS11_.uses_flat_scratch, 0
	.set _ZN7rocprim17ROCPRIM_400000_NS6detail17trampoline_kernelINS0_14default_configENS1_21merge_config_selectorINS0_5tupleIJffEEENS0_10empty_typeEEEZNS1_10merge_implIS3_NS0_12zip_iteratorINS5_IJN6thrust23THRUST_200600_302600_NS6detail15normal_iteratorINSC_10device_ptrIKfEEEESI_EEEEESK_NSA_INS5_IJNSC_16discard_iteratorINSC_11use_defaultEEESN_EEEEEPS7_SQ_SQ_NSC_11hip_rocprim7__merge17predicate_wrapperIffNSC_4lessIfEEEEEE10hipError_tPvRmT0_T1_T2_T3_T4_T5_mmT6_P12ihipStream_tbEUlT_E_NS1_11comp_targetILNS1_3genE9ELNS1_11target_archE1100ELNS1_3gpuE3ELNS1_3repE0EEENS1_30default_config_static_selectorELNS0_4arch9wavefront6targetE0EEEvS11_.has_dyn_sized_stack, 0
	.set _ZN7rocprim17ROCPRIM_400000_NS6detail17trampoline_kernelINS0_14default_configENS1_21merge_config_selectorINS0_5tupleIJffEEENS0_10empty_typeEEEZNS1_10merge_implIS3_NS0_12zip_iteratorINS5_IJN6thrust23THRUST_200600_302600_NS6detail15normal_iteratorINSC_10device_ptrIKfEEEESI_EEEEESK_NSA_INS5_IJNSC_16discard_iteratorINSC_11use_defaultEEESN_EEEEEPS7_SQ_SQ_NSC_11hip_rocprim7__merge17predicate_wrapperIffNSC_4lessIfEEEEEE10hipError_tPvRmT0_T1_T2_T3_T4_T5_mmT6_P12ihipStream_tbEUlT_E_NS1_11comp_targetILNS1_3genE9ELNS1_11target_archE1100ELNS1_3gpuE3ELNS1_3repE0EEENS1_30default_config_static_selectorELNS0_4arch9wavefront6targetE0EEEvS11_.has_recursion, 0
	.set _ZN7rocprim17ROCPRIM_400000_NS6detail17trampoline_kernelINS0_14default_configENS1_21merge_config_selectorINS0_5tupleIJffEEENS0_10empty_typeEEEZNS1_10merge_implIS3_NS0_12zip_iteratorINS5_IJN6thrust23THRUST_200600_302600_NS6detail15normal_iteratorINSC_10device_ptrIKfEEEESI_EEEEESK_NSA_INS5_IJNSC_16discard_iteratorINSC_11use_defaultEEESN_EEEEEPS7_SQ_SQ_NSC_11hip_rocprim7__merge17predicate_wrapperIffNSC_4lessIfEEEEEE10hipError_tPvRmT0_T1_T2_T3_T4_T5_mmT6_P12ihipStream_tbEUlT_E_NS1_11comp_targetILNS1_3genE9ELNS1_11target_archE1100ELNS1_3gpuE3ELNS1_3repE0EEENS1_30default_config_static_selectorELNS0_4arch9wavefront6targetE0EEEvS11_.has_indirect_call, 0
	.section	.AMDGPU.csdata,"",@progbits
; Kernel info:
; codeLenInByte = 0
; TotalNumSgprs: 0
; NumVgprs: 0
; ScratchSize: 0
; MemoryBound: 0
; FloatMode: 240
; IeeeMode: 1
; LDSByteSize: 0 bytes/workgroup (compile time only)
; SGPRBlocks: 0
; VGPRBlocks: 0
; NumSGPRsForWavesPerEU: 1
; NumVGPRsForWavesPerEU: 1
; Occupancy: 16
; WaveLimiterHint : 0
; COMPUTE_PGM_RSRC2:SCRATCH_EN: 0
; COMPUTE_PGM_RSRC2:USER_SGPR: 6
; COMPUTE_PGM_RSRC2:TRAP_HANDLER: 0
; COMPUTE_PGM_RSRC2:TGID_X_EN: 1
; COMPUTE_PGM_RSRC2:TGID_Y_EN: 0
; COMPUTE_PGM_RSRC2:TGID_Z_EN: 0
; COMPUTE_PGM_RSRC2:TIDIG_COMP_CNT: 0
	.section	.text._ZN7rocprim17ROCPRIM_400000_NS6detail17trampoline_kernelINS0_14default_configENS1_21merge_config_selectorINS0_5tupleIJffEEENS0_10empty_typeEEEZNS1_10merge_implIS3_NS0_12zip_iteratorINS5_IJN6thrust23THRUST_200600_302600_NS6detail15normal_iteratorINSC_10device_ptrIKfEEEESI_EEEEESK_NSA_INS5_IJNSC_16discard_iteratorINSC_11use_defaultEEESN_EEEEEPS7_SQ_SQ_NSC_11hip_rocprim7__merge17predicate_wrapperIffNSC_4lessIfEEEEEE10hipError_tPvRmT0_T1_T2_T3_T4_T5_mmT6_P12ihipStream_tbEUlT_E_NS1_11comp_targetILNS1_3genE8ELNS1_11target_archE1030ELNS1_3gpuE2ELNS1_3repE0EEENS1_30default_config_static_selectorELNS0_4arch9wavefront6targetE0EEEvS11_,"axG",@progbits,_ZN7rocprim17ROCPRIM_400000_NS6detail17trampoline_kernelINS0_14default_configENS1_21merge_config_selectorINS0_5tupleIJffEEENS0_10empty_typeEEEZNS1_10merge_implIS3_NS0_12zip_iteratorINS5_IJN6thrust23THRUST_200600_302600_NS6detail15normal_iteratorINSC_10device_ptrIKfEEEESI_EEEEESK_NSA_INS5_IJNSC_16discard_iteratorINSC_11use_defaultEEESN_EEEEEPS7_SQ_SQ_NSC_11hip_rocprim7__merge17predicate_wrapperIffNSC_4lessIfEEEEEE10hipError_tPvRmT0_T1_T2_T3_T4_T5_mmT6_P12ihipStream_tbEUlT_E_NS1_11comp_targetILNS1_3genE8ELNS1_11target_archE1030ELNS1_3gpuE2ELNS1_3repE0EEENS1_30default_config_static_selectorELNS0_4arch9wavefront6targetE0EEEvS11_,comdat
	.protected	_ZN7rocprim17ROCPRIM_400000_NS6detail17trampoline_kernelINS0_14default_configENS1_21merge_config_selectorINS0_5tupleIJffEEENS0_10empty_typeEEEZNS1_10merge_implIS3_NS0_12zip_iteratorINS5_IJN6thrust23THRUST_200600_302600_NS6detail15normal_iteratorINSC_10device_ptrIKfEEEESI_EEEEESK_NSA_INS5_IJNSC_16discard_iteratorINSC_11use_defaultEEESN_EEEEEPS7_SQ_SQ_NSC_11hip_rocprim7__merge17predicate_wrapperIffNSC_4lessIfEEEEEE10hipError_tPvRmT0_T1_T2_T3_T4_T5_mmT6_P12ihipStream_tbEUlT_E_NS1_11comp_targetILNS1_3genE8ELNS1_11target_archE1030ELNS1_3gpuE2ELNS1_3repE0EEENS1_30default_config_static_selectorELNS0_4arch9wavefront6targetE0EEEvS11_ ; -- Begin function _ZN7rocprim17ROCPRIM_400000_NS6detail17trampoline_kernelINS0_14default_configENS1_21merge_config_selectorINS0_5tupleIJffEEENS0_10empty_typeEEEZNS1_10merge_implIS3_NS0_12zip_iteratorINS5_IJN6thrust23THRUST_200600_302600_NS6detail15normal_iteratorINSC_10device_ptrIKfEEEESI_EEEEESK_NSA_INS5_IJNSC_16discard_iteratorINSC_11use_defaultEEESN_EEEEEPS7_SQ_SQ_NSC_11hip_rocprim7__merge17predicate_wrapperIffNSC_4lessIfEEEEEE10hipError_tPvRmT0_T1_T2_T3_T4_T5_mmT6_P12ihipStream_tbEUlT_E_NS1_11comp_targetILNS1_3genE8ELNS1_11target_archE1030ELNS1_3gpuE2ELNS1_3repE0EEENS1_30default_config_static_selectorELNS0_4arch9wavefront6targetE0EEEvS11_
	.globl	_ZN7rocprim17ROCPRIM_400000_NS6detail17trampoline_kernelINS0_14default_configENS1_21merge_config_selectorINS0_5tupleIJffEEENS0_10empty_typeEEEZNS1_10merge_implIS3_NS0_12zip_iteratorINS5_IJN6thrust23THRUST_200600_302600_NS6detail15normal_iteratorINSC_10device_ptrIKfEEEESI_EEEEESK_NSA_INS5_IJNSC_16discard_iteratorINSC_11use_defaultEEESN_EEEEEPS7_SQ_SQ_NSC_11hip_rocprim7__merge17predicate_wrapperIffNSC_4lessIfEEEEEE10hipError_tPvRmT0_T1_T2_T3_T4_T5_mmT6_P12ihipStream_tbEUlT_E_NS1_11comp_targetILNS1_3genE8ELNS1_11target_archE1030ELNS1_3gpuE2ELNS1_3repE0EEENS1_30default_config_static_selectorELNS0_4arch9wavefront6targetE0EEEvS11_
	.p2align	8
	.type	_ZN7rocprim17ROCPRIM_400000_NS6detail17trampoline_kernelINS0_14default_configENS1_21merge_config_selectorINS0_5tupleIJffEEENS0_10empty_typeEEEZNS1_10merge_implIS3_NS0_12zip_iteratorINS5_IJN6thrust23THRUST_200600_302600_NS6detail15normal_iteratorINSC_10device_ptrIKfEEEESI_EEEEESK_NSA_INS5_IJNSC_16discard_iteratorINSC_11use_defaultEEESN_EEEEEPS7_SQ_SQ_NSC_11hip_rocprim7__merge17predicate_wrapperIffNSC_4lessIfEEEEEE10hipError_tPvRmT0_T1_T2_T3_T4_T5_mmT6_P12ihipStream_tbEUlT_E_NS1_11comp_targetILNS1_3genE8ELNS1_11target_archE1030ELNS1_3gpuE2ELNS1_3repE0EEENS1_30default_config_static_selectorELNS0_4arch9wavefront6targetE0EEEvS11_,@function
_ZN7rocprim17ROCPRIM_400000_NS6detail17trampoline_kernelINS0_14default_configENS1_21merge_config_selectorINS0_5tupleIJffEEENS0_10empty_typeEEEZNS1_10merge_implIS3_NS0_12zip_iteratorINS5_IJN6thrust23THRUST_200600_302600_NS6detail15normal_iteratorINSC_10device_ptrIKfEEEESI_EEEEESK_NSA_INS5_IJNSC_16discard_iteratorINSC_11use_defaultEEESN_EEEEEPS7_SQ_SQ_NSC_11hip_rocprim7__merge17predicate_wrapperIffNSC_4lessIfEEEEEE10hipError_tPvRmT0_T1_T2_T3_T4_T5_mmT6_P12ihipStream_tbEUlT_E_NS1_11comp_targetILNS1_3genE8ELNS1_11target_archE1030ELNS1_3gpuE2ELNS1_3repE0EEENS1_30default_config_static_selectorELNS0_4arch9wavefront6targetE0EEEvS11_: ; @_ZN7rocprim17ROCPRIM_400000_NS6detail17trampoline_kernelINS0_14default_configENS1_21merge_config_selectorINS0_5tupleIJffEEENS0_10empty_typeEEEZNS1_10merge_implIS3_NS0_12zip_iteratorINS5_IJN6thrust23THRUST_200600_302600_NS6detail15normal_iteratorINSC_10device_ptrIKfEEEESI_EEEEESK_NSA_INS5_IJNSC_16discard_iteratorINSC_11use_defaultEEESN_EEEEEPS7_SQ_SQ_NSC_11hip_rocprim7__merge17predicate_wrapperIffNSC_4lessIfEEEEEE10hipError_tPvRmT0_T1_T2_T3_T4_T5_mmT6_P12ihipStream_tbEUlT_E_NS1_11comp_targetILNS1_3genE8ELNS1_11target_archE1030ELNS1_3gpuE2ELNS1_3repE0EEENS1_30default_config_static_selectorELNS0_4arch9wavefront6targetE0EEEvS11_
; %bb.0:
	s_clause 0x2
	s_load_dword s2, s[4:5], 0x38
	s_load_dword s0, s[4:5], 0x4c
	s_load_dwordx4 s[12:15], s[4:5], 0x28
	s_waitcnt lgkmcnt(0)
	v_cvt_f32_u32_e32 v1, s2
	s_and_b32 s3, s0, 0xffff
	s_add_u32 s0, s14, s12
	s_addc_u32 s1, s15, s13
	s_sub_i32 s8, 0, s2
	v_rcp_iflag_f32_e32 v1, v1
	s_add_i32 s9, s2, s0
	s_add_i32 s9, s9, -1
	v_mul_f32_e32 v1, 0x4f7ffffe, v1
	v_cvt_u32_f32_e32 v1, v1
	v_readfirstlane_b32 s7, v1
	v_mad_u64_u32 v[0:1], null, s6, s3, v[0:1]
	s_mul_i32 s8, s8, s7
	s_mul_hi_u32 s8, s7, s8
	s_add_i32 s7, s7, s8
	s_mul_hi_u32 s7, s9, s7
	s_mul_i32 s8, s7, s2
	s_sub_i32 s8, s9, s8
	s_add_i32 s9, s7, 1
	s_sub_i32 s10, s8, s2
	s_cmp_ge_u32 s8, s2
	s_cselect_b32 s3, s9, s7
	s_cselect_b32 s6, s10, s8
	s_add_i32 s7, s3, 1
	s_cmp_ge_u32 s6, s2
	s_cselect_b32 s3, s7, s3
	v_cmp_ge_u32_e32 vcc_lo, s3, v0
	s_and_saveexec_b32 s3, vcc_lo
	s_cbranch_execz .LBB505_6
; %bb.1:
	v_mul_lo_u32 v1, v0, s2
	v_mov_b32_e32 v2, 0
	s_load_dwordx4 s[8:11], s[4:5], 0x0
	v_cmp_gt_u64_e32 vcc_lo, s[0:1], v[1:2]
	v_cndmask_b32_e32 v6, s0, v1, vcc_lo
	v_cndmask_b32_e64 v7, s1, 0, vcc_lo
	v_sub_co_u32 v1, vcc_lo, v6, s14
	v_subrev_co_ci_u32_e64 v2, null, s15, v7, vcc_lo
	v_cmp_gt_u64_e64 s0, s[12:13], v[6:7]
	v_cmp_gt_u64_e32 vcc_lo, v[1:2], v[6:7]
	v_cndmask_b32_e64 v5, s13, v7, s0
	v_cndmask_b32_e64 v4, s12, v6, s0
	s_mov_b32 s0, exec_lo
	v_cndmask_b32_e64 v3, v2, 0, vcc_lo
	v_cndmask_b32_e64 v2, v1, 0, vcc_lo
	v_cmpx_lt_u64_e64 v[2:3], v[4:5]
	s_cbranch_execz .LBB505_5
; %bb.2:
	s_load_dwordx2 s[2:3], s[4:5], 0x18
	v_lshlrev_b64 v[6:7], 2, v[6:7]
	s_mov_b32 s1, 0
	s_waitcnt lgkmcnt(0)
	v_add_co_u32 v1, vcc_lo, s2, v6
	v_add_co_ci_u32_e64 v6, null, s3, v7, vcc_lo
	s_inst_prefetch 0x1
	.p2align	6
.LBB505_3:                              ; =>This Inner Loop Header: Depth=1
	v_add_co_u32 v7, vcc_lo, v4, v2
	v_add_co_ci_u32_e64 v8, null, v5, v3, vcc_lo
	v_lshrrev_b64 v[7:8], 1, v[7:8]
	v_lshlrev_b64 v[9:10], 2, v[7:8]
	v_xor_b32_e32 v11, -4, v9
	v_xor_b32_e32 v12, -1, v10
	v_add_co_u32 v9, vcc_lo, s10, v9
	v_add_co_ci_u32_e64 v10, null, s11, v10, vcc_lo
	v_add_co_u32 v11, vcc_lo, v1, v11
	v_add_co_ci_u32_e64 v12, null, v6, v12, vcc_lo
	global_load_dword v9, v[9:10], off
	global_load_dword v10, v[11:12], off
	v_add_co_u32 v11, vcc_lo, v7, 1
	v_add_co_ci_u32_e64 v12, null, 0, v8, vcc_lo
	s_waitcnt vmcnt(0)
	v_cmp_lt_f32_e32 vcc_lo, v10, v9
	v_cndmask_b32_e32 v5, v5, v8, vcc_lo
	v_cndmask_b32_e32 v4, v4, v7, vcc_lo
	;; [unrolled: 1-line block ×4, first 2 shown]
	v_cmp_ge_u64_e32 vcc_lo, v[2:3], v[4:5]
	s_or_b32 s1, vcc_lo, s1
	s_andn2_b32 exec_lo, exec_lo, s1
	s_cbranch_execnz .LBB505_3
; %bb.4:
	s_inst_prefetch 0x2
	s_or_b32 exec_lo, exec_lo, s1
.LBB505_5:
	s_or_b32 exec_lo, exec_lo, s0
	v_mov_b32_e32 v1, 0
	v_lshlrev_b64 v[0:1], 2, v[0:1]
	s_waitcnt lgkmcnt(0)
	v_add_co_u32 v0, vcc_lo, s8, v0
	v_add_co_ci_u32_e64 v1, null, s9, v1, vcc_lo
	global_store_dword v[0:1], v2, off
.LBB505_6:
	s_endpgm
	.section	.rodata,"a",@progbits
	.p2align	6, 0x0
	.amdhsa_kernel _ZN7rocprim17ROCPRIM_400000_NS6detail17trampoline_kernelINS0_14default_configENS1_21merge_config_selectorINS0_5tupleIJffEEENS0_10empty_typeEEEZNS1_10merge_implIS3_NS0_12zip_iteratorINS5_IJN6thrust23THRUST_200600_302600_NS6detail15normal_iteratorINSC_10device_ptrIKfEEEESI_EEEEESK_NSA_INS5_IJNSC_16discard_iteratorINSC_11use_defaultEEESN_EEEEEPS7_SQ_SQ_NSC_11hip_rocprim7__merge17predicate_wrapperIffNSC_4lessIfEEEEEE10hipError_tPvRmT0_T1_T2_T3_T4_T5_mmT6_P12ihipStream_tbEUlT_E_NS1_11comp_targetILNS1_3genE8ELNS1_11target_archE1030ELNS1_3gpuE2ELNS1_3repE0EEENS1_30default_config_static_selectorELNS0_4arch9wavefront6targetE0EEEvS11_
		.amdhsa_group_segment_fixed_size 0
		.amdhsa_private_segment_fixed_size 0
		.amdhsa_kernarg_size 320
		.amdhsa_user_sgpr_count 6
		.amdhsa_user_sgpr_private_segment_buffer 1
		.amdhsa_user_sgpr_dispatch_ptr 0
		.amdhsa_user_sgpr_queue_ptr 0
		.amdhsa_user_sgpr_kernarg_segment_ptr 1
		.amdhsa_user_sgpr_dispatch_id 0
		.amdhsa_user_sgpr_flat_scratch_init 0
		.amdhsa_user_sgpr_private_segment_size 0
		.amdhsa_wavefront_size32 1
		.amdhsa_uses_dynamic_stack 0
		.amdhsa_system_sgpr_private_segment_wavefront_offset 0
		.amdhsa_system_sgpr_workgroup_id_x 1
		.amdhsa_system_sgpr_workgroup_id_y 0
		.amdhsa_system_sgpr_workgroup_id_z 0
		.amdhsa_system_sgpr_workgroup_info 0
		.amdhsa_system_vgpr_workitem_id 0
		.amdhsa_next_free_vgpr 13
		.amdhsa_next_free_sgpr 16
		.amdhsa_reserve_vcc 1
		.amdhsa_reserve_flat_scratch 0
		.amdhsa_float_round_mode_32 0
		.amdhsa_float_round_mode_16_64 0
		.amdhsa_float_denorm_mode_32 3
		.amdhsa_float_denorm_mode_16_64 3
		.amdhsa_dx10_clamp 1
		.amdhsa_ieee_mode 1
		.amdhsa_fp16_overflow 0
		.amdhsa_workgroup_processor_mode 1
		.amdhsa_memory_ordered 1
		.amdhsa_forward_progress 1
		.amdhsa_shared_vgpr_count 0
		.amdhsa_exception_fp_ieee_invalid_op 0
		.amdhsa_exception_fp_denorm_src 0
		.amdhsa_exception_fp_ieee_div_zero 0
		.amdhsa_exception_fp_ieee_overflow 0
		.amdhsa_exception_fp_ieee_underflow 0
		.amdhsa_exception_fp_ieee_inexact 0
		.amdhsa_exception_int_div_zero 0
	.end_amdhsa_kernel
	.section	.text._ZN7rocprim17ROCPRIM_400000_NS6detail17trampoline_kernelINS0_14default_configENS1_21merge_config_selectorINS0_5tupleIJffEEENS0_10empty_typeEEEZNS1_10merge_implIS3_NS0_12zip_iteratorINS5_IJN6thrust23THRUST_200600_302600_NS6detail15normal_iteratorINSC_10device_ptrIKfEEEESI_EEEEESK_NSA_INS5_IJNSC_16discard_iteratorINSC_11use_defaultEEESN_EEEEEPS7_SQ_SQ_NSC_11hip_rocprim7__merge17predicate_wrapperIffNSC_4lessIfEEEEEE10hipError_tPvRmT0_T1_T2_T3_T4_T5_mmT6_P12ihipStream_tbEUlT_E_NS1_11comp_targetILNS1_3genE8ELNS1_11target_archE1030ELNS1_3gpuE2ELNS1_3repE0EEENS1_30default_config_static_selectorELNS0_4arch9wavefront6targetE0EEEvS11_,"axG",@progbits,_ZN7rocprim17ROCPRIM_400000_NS6detail17trampoline_kernelINS0_14default_configENS1_21merge_config_selectorINS0_5tupleIJffEEENS0_10empty_typeEEEZNS1_10merge_implIS3_NS0_12zip_iteratorINS5_IJN6thrust23THRUST_200600_302600_NS6detail15normal_iteratorINSC_10device_ptrIKfEEEESI_EEEEESK_NSA_INS5_IJNSC_16discard_iteratorINSC_11use_defaultEEESN_EEEEEPS7_SQ_SQ_NSC_11hip_rocprim7__merge17predicate_wrapperIffNSC_4lessIfEEEEEE10hipError_tPvRmT0_T1_T2_T3_T4_T5_mmT6_P12ihipStream_tbEUlT_E_NS1_11comp_targetILNS1_3genE8ELNS1_11target_archE1030ELNS1_3gpuE2ELNS1_3repE0EEENS1_30default_config_static_selectorELNS0_4arch9wavefront6targetE0EEEvS11_,comdat
.Lfunc_end505:
	.size	_ZN7rocprim17ROCPRIM_400000_NS6detail17trampoline_kernelINS0_14default_configENS1_21merge_config_selectorINS0_5tupleIJffEEENS0_10empty_typeEEEZNS1_10merge_implIS3_NS0_12zip_iteratorINS5_IJN6thrust23THRUST_200600_302600_NS6detail15normal_iteratorINSC_10device_ptrIKfEEEESI_EEEEESK_NSA_INS5_IJNSC_16discard_iteratorINSC_11use_defaultEEESN_EEEEEPS7_SQ_SQ_NSC_11hip_rocprim7__merge17predicate_wrapperIffNSC_4lessIfEEEEEE10hipError_tPvRmT0_T1_T2_T3_T4_T5_mmT6_P12ihipStream_tbEUlT_E_NS1_11comp_targetILNS1_3genE8ELNS1_11target_archE1030ELNS1_3gpuE2ELNS1_3repE0EEENS1_30default_config_static_selectorELNS0_4arch9wavefront6targetE0EEEvS11_, .Lfunc_end505-_ZN7rocprim17ROCPRIM_400000_NS6detail17trampoline_kernelINS0_14default_configENS1_21merge_config_selectorINS0_5tupleIJffEEENS0_10empty_typeEEEZNS1_10merge_implIS3_NS0_12zip_iteratorINS5_IJN6thrust23THRUST_200600_302600_NS6detail15normal_iteratorINSC_10device_ptrIKfEEEESI_EEEEESK_NSA_INS5_IJNSC_16discard_iteratorINSC_11use_defaultEEESN_EEEEEPS7_SQ_SQ_NSC_11hip_rocprim7__merge17predicate_wrapperIffNSC_4lessIfEEEEEE10hipError_tPvRmT0_T1_T2_T3_T4_T5_mmT6_P12ihipStream_tbEUlT_E_NS1_11comp_targetILNS1_3genE8ELNS1_11target_archE1030ELNS1_3gpuE2ELNS1_3repE0EEENS1_30default_config_static_selectorELNS0_4arch9wavefront6targetE0EEEvS11_
                                        ; -- End function
	.set _ZN7rocprim17ROCPRIM_400000_NS6detail17trampoline_kernelINS0_14default_configENS1_21merge_config_selectorINS0_5tupleIJffEEENS0_10empty_typeEEEZNS1_10merge_implIS3_NS0_12zip_iteratorINS5_IJN6thrust23THRUST_200600_302600_NS6detail15normal_iteratorINSC_10device_ptrIKfEEEESI_EEEEESK_NSA_INS5_IJNSC_16discard_iteratorINSC_11use_defaultEEESN_EEEEEPS7_SQ_SQ_NSC_11hip_rocprim7__merge17predicate_wrapperIffNSC_4lessIfEEEEEE10hipError_tPvRmT0_T1_T2_T3_T4_T5_mmT6_P12ihipStream_tbEUlT_E_NS1_11comp_targetILNS1_3genE8ELNS1_11target_archE1030ELNS1_3gpuE2ELNS1_3repE0EEENS1_30default_config_static_selectorELNS0_4arch9wavefront6targetE0EEEvS11_.num_vgpr, 13
	.set _ZN7rocprim17ROCPRIM_400000_NS6detail17trampoline_kernelINS0_14default_configENS1_21merge_config_selectorINS0_5tupleIJffEEENS0_10empty_typeEEEZNS1_10merge_implIS3_NS0_12zip_iteratorINS5_IJN6thrust23THRUST_200600_302600_NS6detail15normal_iteratorINSC_10device_ptrIKfEEEESI_EEEEESK_NSA_INS5_IJNSC_16discard_iteratorINSC_11use_defaultEEESN_EEEEEPS7_SQ_SQ_NSC_11hip_rocprim7__merge17predicate_wrapperIffNSC_4lessIfEEEEEE10hipError_tPvRmT0_T1_T2_T3_T4_T5_mmT6_P12ihipStream_tbEUlT_E_NS1_11comp_targetILNS1_3genE8ELNS1_11target_archE1030ELNS1_3gpuE2ELNS1_3repE0EEENS1_30default_config_static_selectorELNS0_4arch9wavefront6targetE0EEEvS11_.num_agpr, 0
	.set _ZN7rocprim17ROCPRIM_400000_NS6detail17trampoline_kernelINS0_14default_configENS1_21merge_config_selectorINS0_5tupleIJffEEENS0_10empty_typeEEEZNS1_10merge_implIS3_NS0_12zip_iteratorINS5_IJN6thrust23THRUST_200600_302600_NS6detail15normal_iteratorINSC_10device_ptrIKfEEEESI_EEEEESK_NSA_INS5_IJNSC_16discard_iteratorINSC_11use_defaultEEESN_EEEEEPS7_SQ_SQ_NSC_11hip_rocprim7__merge17predicate_wrapperIffNSC_4lessIfEEEEEE10hipError_tPvRmT0_T1_T2_T3_T4_T5_mmT6_P12ihipStream_tbEUlT_E_NS1_11comp_targetILNS1_3genE8ELNS1_11target_archE1030ELNS1_3gpuE2ELNS1_3repE0EEENS1_30default_config_static_selectorELNS0_4arch9wavefront6targetE0EEEvS11_.numbered_sgpr, 16
	.set _ZN7rocprim17ROCPRIM_400000_NS6detail17trampoline_kernelINS0_14default_configENS1_21merge_config_selectorINS0_5tupleIJffEEENS0_10empty_typeEEEZNS1_10merge_implIS3_NS0_12zip_iteratorINS5_IJN6thrust23THRUST_200600_302600_NS6detail15normal_iteratorINSC_10device_ptrIKfEEEESI_EEEEESK_NSA_INS5_IJNSC_16discard_iteratorINSC_11use_defaultEEESN_EEEEEPS7_SQ_SQ_NSC_11hip_rocprim7__merge17predicate_wrapperIffNSC_4lessIfEEEEEE10hipError_tPvRmT0_T1_T2_T3_T4_T5_mmT6_P12ihipStream_tbEUlT_E_NS1_11comp_targetILNS1_3genE8ELNS1_11target_archE1030ELNS1_3gpuE2ELNS1_3repE0EEENS1_30default_config_static_selectorELNS0_4arch9wavefront6targetE0EEEvS11_.num_named_barrier, 0
	.set _ZN7rocprim17ROCPRIM_400000_NS6detail17trampoline_kernelINS0_14default_configENS1_21merge_config_selectorINS0_5tupleIJffEEENS0_10empty_typeEEEZNS1_10merge_implIS3_NS0_12zip_iteratorINS5_IJN6thrust23THRUST_200600_302600_NS6detail15normal_iteratorINSC_10device_ptrIKfEEEESI_EEEEESK_NSA_INS5_IJNSC_16discard_iteratorINSC_11use_defaultEEESN_EEEEEPS7_SQ_SQ_NSC_11hip_rocprim7__merge17predicate_wrapperIffNSC_4lessIfEEEEEE10hipError_tPvRmT0_T1_T2_T3_T4_T5_mmT6_P12ihipStream_tbEUlT_E_NS1_11comp_targetILNS1_3genE8ELNS1_11target_archE1030ELNS1_3gpuE2ELNS1_3repE0EEENS1_30default_config_static_selectorELNS0_4arch9wavefront6targetE0EEEvS11_.private_seg_size, 0
	.set _ZN7rocprim17ROCPRIM_400000_NS6detail17trampoline_kernelINS0_14default_configENS1_21merge_config_selectorINS0_5tupleIJffEEENS0_10empty_typeEEEZNS1_10merge_implIS3_NS0_12zip_iteratorINS5_IJN6thrust23THRUST_200600_302600_NS6detail15normal_iteratorINSC_10device_ptrIKfEEEESI_EEEEESK_NSA_INS5_IJNSC_16discard_iteratorINSC_11use_defaultEEESN_EEEEEPS7_SQ_SQ_NSC_11hip_rocprim7__merge17predicate_wrapperIffNSC_4lessIfEEEEEE10hipError_tPvRmT0_T1_T2_T3_T4_T5_mmT6_P12ihipStream_tbEUlT_E_NS1_11comp_targetILNS1_3genE8ELNS1_11target_archE1030ELNS1_3gpuE2ELNS1_3repE0EEENS1_30default_config_static_selectorELNS0_4arch9wavefront6targetE0EEEvS11_.uses_vcc, 1
	.set _ZN7rocprim17ROCPRIM_400000_NS6detail17trampoline_kernelINS0_14default_configENS1_21merge_config_selectorINS0_5tupleIJffEEENS0_10empty_typeEEEZNS1_10merge_implIS3_NS0_12zip_iteratorINS5_IJN6thrust23THRUST_200600_302600_NS6detail15normal_iteratorINSC_10device_ptrIKfEEEESI_EEEEESK_NSA_INS5_IJNSC_16discard_iteratorINSC_11use_defaultEEESN_EEEEEPS7_SQ_SQ_NSC_11hip_rocprim7__merge17predicate_wrapperIffNSC_4lessIfEEEEEE10hipError_tPvRmT0_T1_T2_T3_T4_T5_mmT6_P12ihipStream_tbEUlT_E_NS1_11comp_targetILNS1_3genE8ELNS1_11target_archE1030ELNS1_3gpuE2ELNS1_3repE0EEENS1_30default_config_static_selectorELNS0_4arch9wavefront6targetE0EEEvS11_.uses_flat_scratch, 0
	.set _ZN7rocprim17ROCPRIM_400000_NS6detail17trampoline_kernelINS0_14default_configENS1_21merge_config_selectorINS0_5tupleIJffEEENS0_10empty_typeEEEZNS1_10merge_implIS3_NS0_12zip_iteratorINS5_IJN6thrust23THRUST_200600_302600_NS6detail15normal_iteratorINSC_10device_ptrIKfEEEESI_EEEEESK_NSA_INS5_IJNSC_16discard_iteratorINSC_11use_defaultEEESN_EEEEEPS7_SQ_SQ_NSC_11hip_rocprim7__merge17predicate_wrapperIffNSC_4lessIfEEEEEE10hipError_tPvRmT0_T1_T2_T3_T4_T5_mmT6_P12ihipStream_tbEUlT_E_NS1_11comp_targetILNS1_3genE8ELNS1_11target_archE1030ELNS1_3gpuE2ELNS1_3repE0EEENS1_30default_config_static_selectorELNS0_4arch9wavefront6targetE0EEEvS11_.has_dyn_sized_stack, 0
	.set _ZN7rocprim17ROCPRIM_400000_NS6detail17trampoline_kernelINS0_14default_configENS1_21merge_config_selectorINS0_5tupleIJffEEENS0_10empty_typeEEEZNS1_10merge_implIS3_NS0_12zip_iteratorINS5_IJN6thrust23THRUST_200600_302600_NS6detail15normal_iteratorINSC_10device_ptrIKfEEEESI_EEEEESK_NSA_INS5_IJNSC_16discard_iteratorINSC_11use_defaultEEESN_EEEEEPS7_SQ_SQ_NSC_11hip_rocprim7__merge17predicate_wrapperIffNSC_4lessIfEEEEEE10hipError_tPvRmT0_T1_T2_T3_T4_T5_mmT6_P12ihipStream_tbEUlT_E_NS1_11comp_targetILNS1_3genE8ELNS1_11target_archE1030ELNS1_3gpuE2ELNS1_3repE0EEENS1_30default_config_static_selectorELNS0_4arch9wavefront6targetE0EEEvS11_.has_recursion, 0
	.set _ZN7rocprim17ROCPRIM_400000_NS6detail17trampoline_kernelINS0_14default_configENS1_21merge_config_selectorINS0_5tupleIJffEEENS0_10empty_typeEEEZNS1_10merge_implIS3_NS0_12zip_iteratorINS5_IJN6thrust23THRUST_200600_302600_NS6detail15normal_iteratorINSC_10device_ptrIKfEEEESI_EEEEESK_NSA_INS5_IJNSC_16discard_iteratorINSC_11use_defaultEEESN_EEEEEPS7_SQ_SQ_NSC_11hip_rocprim7__merge17predicate_wrapperIffNSC_4lessIfEEEEEE10hipError_tPvRmT0_T1_T2_T3_T4_T5_mmT6_P12ihipStream_tbEUlT_E_NS1_11comp_targetILNS1_3genE8ELNS1_11target_archE1030ELNS1_3gpuE2ELNS1_3repE0EEENS1_30default_config_static_selectorELNS0_4arch9wavefront6targetE0EEEvS11_.has_indirect_call, 0
	.section	.AMDGPU.csdata,"",@progbits
; Kernel info:
; codeLenInByte = 520
; TotalNumSgprs: 18
; NumVgprs: 13
; ScratchSize: 0
; MemoryBound: 0
; FloatMode: 240
; IeeeMode: 1
; LDSByteSize: 0 bytes/workgroup (compile time only)
; SGPRBlocks: 0
; VGPRBlocks: 1
; NumSGPRsForWavesPerEU: 18
; NumVGPRsForWavesPerEU: 13
; Occupancy: 16
; WaveLimiterHint : 0
; COMPUTE_PGM_RSRC2:SCRATCH_EN: 0
; COMPUTE_PGM_RSRC2:USER_SGPR: 6
; COMPUTE_PGM_RSRC2:TRAP_HANDLER: 0
; COMPUTE_PGM_RSRC2:TGID_X_EN: 1
; COMPUTE_PGM_RSRC2:TGID_Y_EN: 0
; COMPUTE_PGM_RSRC2:TGID_Z_EN: 0
; COMPUTE_PGM_RSRC2:TIDIG_COMP_CNT: 0
	.section	.text._ZN7rocprim17ROCPRIM_400000_NS6detail17trampoline_kernelINS0_14default_configENS1_21merge_config_selectorINS0_5tupleIJffEEENS0_10empty_typeEEEZNS1_10merge_implIS3_NS0_12zip_iteratorINS5_IJN6thrust23THRUST_200600_302600_NS6detail15normal_iteratorINSC_10device_ptrIKfEEEESI_EEEEESK_NSA_INS5_IJNSC_16discard_iteratorINSC_11use_defaultEEESN_EEEEEPS7_SQ_SQ_NSC_11hip_rocprim7__merge17predicate_wrapperIffNSC_4lessIfEEEEEE10hipError_tPvRmT0_T1_T2_T3_T4_T5_mmT6_P12ihipStream_tbEUlT_E0_NS1_11comp_targetILNS1_3genE0ELNS1_11target_archE4294967295ELNS1_3gpuE0ELNS1_3repE0EEENS1_30default_config_static_selectorELNS0_4arch9wavefront6targetE0EEEvS11_,"axG",@progbits,_ZN7rocprim17ROCPRIM_400000_NS6detail17trampoline_kernelINS0_14default_configENS1_21merge_config_selectorINS0_5tupleIJffEEENS0_10empty_typeEEEZNS1_10merge_implIS3_NS0_12zip_iteratorINS5_IJN6thrust23THRUST_200600_302600_NS6detail15normal_iteratorINSC_10device_ptrIKfEEEESI_EEEEESK_NSA_INS5_IJNSC_16discard_iteratorINSC_11use_defaultEEESN_EEEEEPS7_SQ_SQ_NSC_11hip_rocprim7__merge17predicate_wrapperIffNSC_4lessIfEEEEEE10hipError_tPvRmT0_T1_T2_T3_T4_T5_mmT6_P12ihipStream_tbEUlT_E0_NS1_11comp_targetILNS1_3genE0ELNS1_11target_archE4294967295ELNS1_3gpuE0ELNS1_3repE0EEENS1_30default_config_static_selectorELNS0_4arch9wavefront6targetE0EEEvS11_,comdat
	.protected	_ZN7rocprim17ROCPRIM_400000_NS6detail17trampoline_kernelINS0_14default_configENS1_21merge_config_selectorINS0_5tupleIJffEEENS0_10empty_typeEEEZNS1_10merge_implIS3_NS0_12zip_iteratorINS5_IJN6thrust23THRUST_200600_302600_NS6detail15normal_iteratorINSC_10device_ptrIKfEEEESI_EEEEESK_NSA_INS5_IJNSC_16discard_iteratorINSC_11use_defaultEEESN_EEEEEPS7_SQ_SQ_NSC_11hip_rocprim7__merge17predicate_wrapperIffNSC_4lessIfEEEEEE10hipError_tPvRmT0_T1_T2_T3_T4_T5_mmT6_P12ihipStream_tbEUlT_E0_NS1_11comp_targetILNS1_3genE0ELNS1_11target_archE4294967295ELNS1_3gpuE0ELNS1_3repE0EEENS1_30default_config_static_selectorELNS0_4arch9wavefront6targetE0EEEvS11_ ; -- Begin function _ZN7rocprim17ROCPRIM_400000_NS6detail17trampoline_kernelINS0_14default_configENS1_21merge_config_selectorINS0_5tupleIJffEEENS0_10empty_typeEEEZNS1_10merge_implIS3_NS0_12zip_iteratorINS5_IJN6thrust23THRUST_200600_302600_NS6detail15normal_iteratorINSC_10device_ptrIKfEEEESI_EEEEESK_NSA_INS5_IJNSC_16discard_iteratorINSC_11use_defaultEEESN_EEEEEPS7_SQ_SQ_NSC_11hip_rocprim7__merge17predicate_wrapperIffNSC_4lessIfEEEEEE10hipError_tPvRmT0_T1_T2_T3_T4_T5_mmT6_P12ihipStream_tbEUlT_E0_NS1_11comp_targetILNS1_3genE0ELNS1_11target_archE4294967295ELNS1_3gpuE0ELNS1_3repE0EEENS1_30default_config_static_selectorELNS0_4arch9wavefront6targetE0EEEvS11_
	.globl	_ZN7rocprim17ROCPRIM_400000_NS6detail17trampoline_kernelINS0_14default_configENS1_21merge_config_selectorINS0_5tupleIJffEEENS0_10empty_typeEEEZNS1_10merge_implIS3_NS0_12zip_iteratorINS5_IJN6thrust23THRUST_200600_302600_NS6detail15normal_iteratorINSC_10device_ptrIKfEEEESI_EEEEESK_NSA_INS5_IJNSC_16discard_iteratorINSC_11use_defaultEEESN_EEEEEPS7_SQ_SQ_NSC_11hip_rocprim7__merge17predicate_wrapperIffNSC_4lessIfEEEEEE10hipError_tPvRmT0_T1_T2_T3_T4_T5_mmT6_P12ihipStream_tbEUlT_E0_NS1_11comp_targetILNS1_3genE0ELNS1_11target_archE4294967295ELNS1_3gpuE0ELNS1_3repE0EEENS1_30default_config_static_selectorELNS0_4arch9wavefront6targetE0EEEvS11_
	.p2align	8
	.type	_ZN7rocprim17ROCPRIM_400000_NS6detail17trampoline_kernelINS0_14default_configENS1_21merge_config_selectorINS0_5tupleIJffEEENS0_10empty_typeEEEZNS1_10merge_implIS3_NS0_12zip_iteratorINS5_IJN6thrust23THRUST_200600_302600_NS6detail15normal_iteratorINSC_10device_ptrIKfEEEESI_EEEEESK_NSA_INS5_IJNSC_16discard_iteratorINSC_11use_defaultEEESN_EEEEEPS7_SQ_SQ_NSC_11hip_rocprim7__merge17predicate_wrapperIffNSC_4lessIfEEEEEE10hipError_tPvRmT0_T1_T2_T3_T4_T5_mmT6_P12ihipStream_tbEUlT_E0_NS1_11comp_targetILNS1_3genE0ELNS1_11target_archE4294967295ELNS1_3gpuE0ELNS1_3repE0EEENS1_30default_config_static_selectorELNS0_4arch9wavefront6targetE0EEEvS11_,@function
_ZN7rocprim17ROCPRIM_400000_NS6detail17trampoline_kernelINS0_14default_configENS1_21merge_config_selectorINS0_5tupleIJffEEENS0_10empty_typeEEEZNS1_10merge_implIS3_NS0_12zip_iteratorINS5_IJN6thrust23THRUST_200600_302600_NS6detail15normal_iteratorINSC_10device_ptrIKfEEEESI_EEEEESK_NSA_INS5_IJNSC_16discard_iteratorINSC_11use_defaultEEESN_EEEEEPS7_SQ_SQ_NSC_11hip_rocprim7__merge17predicate_wrapperIffNSC_4lessIfEEEEEE10hipError_tPvRmT0_T1_T2_T3_T4_T5_mmT6_P12ihipStream_tbEUlT_E0_NS1_11comp_targetILNS1_3genE0ELNS1_11target_archE4294967295ELNS1_3gpuE0ELNS1_3repE0EEENS1_30default_config_static_selectorELNS0_4arch9wavefront6targetE0EEEvS11_: ; @_ZN7rocprim17ROCPRIM_400000_NS6detail17trampoline_kernelINS0_14default_configENS1_21merge_config_selectorINS0_5tupleIJffEEENS0_10empty_typeEEEZNS1_10merge_implIS3_NS0_12zip_iteratorINS5_IJN6thrust23THRUST_200600_302600_NS6detail15normal_iteratorINSC_10device_ptrIKfEEEESI_EEEEESK_NSA_INS5_IJNSC_16discard_iteratorINSC_11use_defaultEEESN_EEEEEPS7_SQ_SQ_NSC_11hip_rocprim7__merge17predicate_wrapperIffNSC_4lessIfEEEEEE10hipError_tPvRmT0_T1_T2_T3_T4_T5_mmT6_P12ihipStream_tbEUlT_E0_NS1_11comp_targetILNS1_3genE0ELNS1_11target_archE4294967295ELNS1_3gpuE0ELNS1_3repE0EEENS1_30default_config_static_selectorELNS0_4arch9wavefront6targetE0EEEvS11_
; %bb.0:
	.section	.rodata,"a",@progbits
	.p2align	6, 0x0
	.amdhsa_kernel _ZN7rocprim17ROCPRIM_400000_NS6detail17trampoline_kernelINS0_14default_configENS1_21merge_config_selectorINS0_5tupleIJffEEENS0_10empty_typeEEEZNS1_10merge_implIS3_NS0_12zip_iteratorINS5_IJN6thrust23THRUST_200600_302600_NS6detail15normal_iteratorINSC_10device_ptrIKfEEEESI_EEEEESK_NSA_INS5_IJNSC_16discard_iteratorINSC_11use_defaultEEESN_EEEEEPS7_SQ_SQ_NSC_11hip_rocprim7__merge17predicate_wrapperIffNSC_4lessIfEEEEEE10hipError_tPvRmT0_T1_T2_T3_T4_T5_mmT6_P12ihipStream_tbEUlT_E0_NS1_11comp_targetILNS1_3genE0ELNS1_11target_archE4294967295ELNS1_3gpuE0ELNS1_3repE0EEENS1_30default_config_static_selectorELNS0_4arch9wavefront6targetE0EEEvS11_
		.amdhsa_group_segment_fixed_size 0
		.amdhsa_private_segment_fixed_size 0
		.amdhsa_kernarg_size 128
		.amdhsa_user_sgpr_count 6
		.amdhsa_user_sgpr_private_segment_buffer 1
		.amdhsa_user_sgpr_dispatch_ptr 0
		.amdhsa_user_sgpr_queue_ptr 0
		.amdhsa_user_sgpr_kernarg_segment_ptr 1
		.amdhsa_user_sgpr_dispatch_id 0
		.amdhsa_user_sgpr_flat_scratch_init 0
		.amdhsa_user_sgpr_private_segment_size 0
		.amdhsa_wavefront_size32 1
		.amdhsa_uses_dynamic_stack 0
		.amdhsa_system_sgpr_private_segment_wavefront_offset 0
		.amdhsa_system_sgpr_workgroup_id_x 1
		.amdhsa_system_sgpr_workgroup_id_y 0
		.amdhsa_system_sgpr_workgroup_id_z 0
		.amdhsa_system_sgpr_workgroup_info 0
		.amdhsa_system_vgpr_workitem_id 0
		.amdhsa_next_free_vgpr 1
		.amdhsa_next_free_sgpr 1
		.amdhsa_reserve_vcc 0
		.amdhsa_reserve_flat_scratch 0
		.amdhsa_float_round_mode_32 0
		.amdhsa_float_round_mode_16_64 0
		.amdhsa_float_denorm_mode_32 3
		.amdhsa_float_denorm_mode_16_64 3
		.amdhsa_dx10_clamp 1
		.amdhsa_ieee_mode 1
		.amdhsa_fp16_overflow 0
		.amdhsa_workgroup_processor_mode 1
		.amdhsa_memory_ordered 1
		.amdhsa_forward_progress 1
		.amdhsa_shared_vgpr_count 0
		.amdhsa_exception_fp_ieee_invalid_op 0
		.amdhsa_exception_fp_denorm_src 0
		.amdhsa_exception_fp_ieee_div_zero 0
		.amdhsa_exception_fp_ieee_overflow 0
		.amdhsa_exception_fp_ieee_underflow 0
		.amdhsa_exception_fp_ieee_inexact 0
		.amdhsa_exception_int_div_zero 0
	.end_amdhsa_kernel
	.section	.text._ZN7rocprim17ROCPRIM_400000_NS6detail17trampoline_kernelINS0_14default_configENS1_21merge_config_selectorINS0_5tupleIJffEEENS0_10empty_typeEEEZNS1_10merge_implIS3_NS0_12zip_iteratorINS5_IJN6thrust23THRUST_200600_302600_NS6detail15normal_iteratorINSC_10device_ptrIKfEEEESI_EEEEESK_NSA_INS5_IJNSC_16discard_iteratorINSC_11use_defaultEEESN_EEEEEPS7_SQ_SQ_NSC_11hip_rocprim7__merge17predicate_wrapperIffNSC_4lessIfEEEEEE10hipError_tPvRmT0_T1_T2_T3_T4_T5_mmT6_P12ihipStream_tbEUlT_E0_NS1_11comp_targetILNS1_3genE0ELNS1_11target_archE4294967295ELNS1_3gpuE0ELNS1_3repE0EEENS1_30default_config_static_selectorELNS0_4arch9wavefront6targetE0EEEvS11_,"axG",@progbits,_ZN7rocprim17ROCPRIM_400000_NS6detail17trampoline_kernelINS0_14default_configENS1_21merge_config_selectorINS0_5tupleIJffEEENS0_10empty_typeEEEZNS1_10merge_implIS3_NS0_12zip_iteratorINS5_IJN6thrust23THRUST_200600_302600_NS6detail15normal_iteratorINSC_10device_ptrIKfEEEESI_EEEEESK_NSA_INS5_IJNSC_16discard_iteratorINSC_11use_defaultEEESN_EEEEEPS7_SQ_SQ_NSC_11hip_rocprim7__merge17predicate_wrapperIffNSC_4lessIfEEEEEE10hipError_tPvRmT0_T1_T2_T3_T4_T5_mmT6_P12ihipStream_tbEUlT_E0_NS1_11comp_targetILNS1_3genE0ELNS1_11target_archE4294967295ELNS1_3gpuE0ELNS1_3repE0EEENS1_30default_config_static_selectorELNS0_4arch9wavefront6targetE0EEEvS11_,comdat
.Lfunc_end506:
	.size	_ZN7rocprim17ROCPRIM_400000_NS6detail17trampoline_kernelINS0_14default_configENS1_21merge_config_selectorINS0_5tupleIJffEEENS0_10empty_typeEEEZNS1_10merge_implIS3_NS0_12zip_iteratorINS5_IJN6thrust23THRUST_200600_302600_NS6detail15normal_iteratorINSC_10device_ptrIKfEEEESI_EEEEESK_NSA_INS5_IJNSC_16discard_iteratorINSC_11use_defaultEEESN_EEEEEPS7_SQ_SQ_NSC_11hip_rocprim7__merge17predicate_wrapperIffNSC_4lessIfEEEEEE10hipError_tPvRmT0_T1_T2_T3_T4_T5_mmT6_P12ihipStream_tbEUlT_E0_NS1_11comp_targetILNS1_3genE0ELNS1_11target_archE4294967295ELNS1_3gpuE0ELNS1_3repE0EEENS1_30default_config_static_selectorELNS0_4arch9wavefront6targetE0EEEvS11_, .Lfunc_end506-_ZN7rocprim17ROCPRIM_400000_NS6detail17trampoline_kernelINS0_14default_configENS1_21merge_config_selectorINS0_5tupleIJffEEENS0_10empty_typeEEEZNS1_10merge_implIS3_NS0_12zip_iteratorINS5_IJN6thrust23THRUST_200600_302600_NS6detail15normal_iteratorINSC_10device_ptrIKfEEEESI_EEEEESK_NSA_INS5_IJNSC_16discard_iteratorINSC_11use_defaultEEESN_EEEEEPS7_SQ_SQ_NSC_11hip_rocprim7__merge17predicate_wrapperIffNSC_4lessIfEEEEEE10hipError_tPvRmT0_T1_T2_T3_T4_T5_mmT6_P12ihipStream_tbEUlT_E0_NS1_11comp_targetILNS1_3genE0ELNS1_11target_archE4294967295ELNS1_3gpuE0ELNS1_3repE0EEENS1_30default_config_static_selectorELNS0_4arch9wavefront6targetE0EEEvS11_
                                        ; -- End function
	.set _ZN7rocprim17ROCPRIM_400000_NS6detail17trampoline_kernelINS0_14default_configENS1_21merge_config_selectorINS0_5tupleIJffEEENS0_10empty_typeEEEZNS1_10merge_implIS3_NS0_12zip_iteratorINS5_IJN6thrust23THRUST_200600_302600_NS6detail15normal_iteratorINSC_10device_ptrIKfEEEESI_EEEEESK_NSA_INS5_IJNSC_16discard_iteratorINSC_11use_defaultEEESN_EEEEEPS7_SQ_SQ_NSC_11hip_rocprim7__merge17predicate_wrapperIffNSC_4lessIfEEEEEE10hipError_tPvRmT0_T1_T2_T3_T4_T5_mmT6_P12ihipStream_tbEUlT_E0_NS1_11comp_targetILNS1_3genE0ELNS1_11target_archE4294967295ELNS1_3gpuE0ELNS1_3repE0EEENS1_30default_config_static_selectorELNS0_4arch9wavefront6targetE0EEEvS11_.num_vgpr, 0
	.set _ZN7rocprim17ROCPRIM_400000_NS6detail17trampoline_kernelINS0_14default_configENS1_21merge_config_selectorINS0_5tupleIJffEEENS0_10empty_typeEEEZNS1_10merge_implIS3_NS0_12zip_iteratorINS5_IJN6thrust23THRUST_200600_302600_NS6detail15normal_iteratorINSC_10device_ptrIKfEEEESI_EEEEESK_NSA_INS5_IJNSC_16discard_iteratorINSC_11use_defaultEEESN_EEEEEPS7_SQ_SQ_NSC_11hip_rocprim7__merge17predicate_wrapperIffNSC_4lessIfEEEEEE10hipError_tPvRmT0_T1_T2_T3_T4_T5_mmT6_P12ihipStream_tbEUlT_E0_NS1_11comp_targetILNS1_3genE0ELNS1_11target_archE4294967295ELNS1_3gpuE0ELNS1_3repE0EEENS1_30default_config_static_selectorELNS0_4arch9wavefront6targetE0EEEvS11_.num_agpr, 0
	.set _ZN7rocprim17ROCPRIM_400000_NS6detail17trampoline_kernelINS0_14default_configENS1_21merge_config_selectorINS0_5tupleIJffEEENS0_10empty_typeEEEZNS1_10merge_implIS3_NS0_12zip_iteratorINS5_IJN6thrust23THRUST_200600_302600_NS6detail15normal_iteratorINSC_10device_ptrIKfEEEESI_EEEEESK_NSA_INS5_IJNSC_16discard_iteratorINSC_11use_defaultEEESN_EEEEEPS7_SQ_SQ_NSC_11hip_rocprim7__merge17predicate_wrapperIffNSC_4lessIfEEEEEE10hipError_tPvRmT0_T1_T2_T3_T4_T5_mmT6_P12ihipStream_tbEUlT_E0_NS1_11comp_targetILNS1_3genE0ELNS1_11target_archE4294967295ELNS1_3gpuE0ELNS1_3repE0EEENS1_30default_config_static_selectorELNS0_4arch9wavefront6targetE0EEEvS11_.numbered_sgpr, 0
	.set _ZN7rocprim17ROCPRIM_400000_NS6detail17trampoline_kernelINS0_14default_configENS1_21merge_config_selectorINS0_5tupleIJffEEENS0_10empty_typeEEEZNS1_10merge_implIS3_NS0_12zip_iteratorINS5_IJN6thrust23THRUST_200600_302600_NS6detail15normal_iteratorINSC_10device_ptrIKfEEEESI_EEEEESK_NSA_INS5_IJNSC_16discard_iteratorINSC_11use_defaultEEESN_EEEEEPS7_SQ_SQ_NSC_11hip_rocprim7__merge17predicate_wrapperIffNSC_4lessIfEEEEEE10hipError_tPvRmT0_T1_T2_T3_T4_T5_mmT6_P12ihipStream_tbEUlT_E0_NS1_11comp_targetILNS1_3genE0ELNS1_11target_archE4294967295ELNS1_3gpuE0ELNS1_3repE0EEENS1_30default_config_static_selectorELNS0_4arch9wavefront6targetE0EEEvS11_.num_named_barrier, 0
	.set _ZN7rocprim17ROCPRIM_400000_NS6detail17trampoline_kernelINS0_14default_configENS1_21merge_config_selectorINS0_5tupleIJffEEENS0_10empty_typeEEEZNS1_10merge_implIS3_NS0_12zip_iteratorINS5_IJN6thrust23THRUST_200600_302600_NS6detail15normal_iteratorINSC_10device_ptrIKfEEEESI_EEEEESK_NSA_INS5_IJNSC_16discard_iteratorINSC_11use_defaultEEESN_EEEEEPS7_SQ_SQ_NSC_11hip_rocprim7__merge17predicate_wrapperIffNSC_4lessIfEEEEEE10hipError_tPvRmT0_T1_T2_T3_T4_T5_mmT6_P12ihipStream_tbEUlT_E0_NS1_11comp_targetILNS1_3genE0ELNS1_11target_archE4294967295ELNS1_3gpuE0ELNS1_3repE0EEENS1_30default_config_static_selectorELNS0_4arch9wavefront6targetE0EEEvS11_.private_seg_size, 0
	.set _ZN7rocprim17ROCPRIM_400000_NS6detail17trampoline_kernelINS0_14default_configENS1_21merge_config_selectorINS0_5tupleIJffEEENS0_10empty_typeEEEZNS1_10merge_implIS3_NS0_12zip_iteratorINS5_IJN6thrust23THRUST_200600_302600_NS6detail15normal_iteratorINSC_10device_ptrIKfEEEESI_EEEEESK_NSA_INS5_IJNSC_16discard_iteratorINSC_11use_defaultEEESN_EEEEEPS7_SQ_SQ_NSC_11hip_rocprim7__merge17predicate_wrapperIffNSC_4lessIfEEEEEE10hipError_tPvRmT0_T1_T2_T3_T4_T5_mmT6_P12ihipStream_tbEUlT_E0_NS1_11comp_targetILNS1_3genE0ELNS1_11target_archE4294967295ELNS1_3gpuE0ELNS1_3repE0EEENS1_30default_config_static_selectorELNS0_4arch9wavefront6targetE0EEEvS11_.uses_vcc, 0
	.set _ZN7rocprim17ROCPRIM_400000_NS6detail17trampoline_kernelINS0_14default_configENS1_21merge_config_selectorINS0_5tupleIJffEEENS0_10empty_typeEEEZNS1_10merge_implIS3_NS0_12zip_iteratorINS5_IJN6thrust23THRUST_200600_302600_NS6detail15normal_iteratorINSC_10device_ptrIKfEEEESI_EEEEESK_NSA_INS5_IJNSC_16discard_iteratorINSC_11use_defaultEEESN_EEEEEPS7_SQ_SQ_NSC_11hip_rocprim7__merge17predicate_wrapperIffNSC_4lessIfEEEEEE10hipError_tPvRmT0_T1_T2_T3_T4_T5_mmT6_P12ihipStream_tbEUlT_E0_NS1_11comp_targetILNS1_3genE0ELNS1_11target_archE4294967295ELNS1_3gpuE0ELNS1_3repE0EEENS1_30default_config_static_selectorELNS0_4arch9wavefront6targetE0EEEvS11_.uses_flat_scratch, 0
	.set _ZN7rocprim17ROCPRIM_400000_NS6detail17trampoline_kernelINS0_14default_configENS1_21merge_config_selectorINS0_5tupleIJffEEENS0_10empty_typeEEEZNS1_10merge_implIS3_NS0_12zip_iteratorINS5_IJN6thrust23THRUST_200600_302600_NS6detail15normal_iteratorINSC_10device_ptrIKfEEEESI_EEEEESK_NSA_INS5_IJNSC_16discard_iteratorINSC_11use_defaultEEESN_EEEEEPS7_SQ_SQ_NSC_11hip_rocprim7__merge17predicate_wrapperIffNSC_4lessIfEEEEEE10hipError_tPvRmT0_T1_T2_T3_T4_T5_mmT6_P12ihipStream_tbEUlT_E0_NS1_11comp_targetILNS1_3genE0ELNS1_11target_archE4294967295ELNS1_3gpuE0ELNS1_3repE0EEENS1_30default_config_static_selectorELNS0_4arch9wavefront6targetE0EEEvS11_.has_dyn_sized_stack, 0
	.set _ZN7rocprim17ROCPRIM_400000_NS6detail17trampoline_kernelINS0_14default_configENS1_21merge_config_selectorINS0_5tupleIJffEEENS0_10empty_typeEEEZNS1_10merge_implIS3_NS0_12zip_iteratorINS5_IJN6thrust23THRUST_200600_302600_NS6detail15normal_iteratorINSC_10device_ptrIKfEEEESI_EEEEESK_NSA_INS5_IJNSC_16discard_iteratorINSC_11use_defaultEEESN_EEEEEPS7_SQ_SQ_NSC_11hip_rocprim7__merge17predicate_wrapperIffNSC_4lessIfEEEEEE10hipError_tPvRmT0_T1_T2_T3_T4_T5_mmT6_P12ihipStream_tbEUlT_E0_NS1_11comp_targetILNS1_3genE0ELNS1_11target_archE4294967295ELNS1_3gpuE0ELNS1_3repE0EEENS1_30default_config_static_selectorELNS0_4arch9wavefront6targetE0EEEvS11_.has_recursion, 0
	.set _ZN7rocprim17ROCPRIM_400000_NS6detail17trampoline_kernelINS0_14default_configENS1_21merge_config_selectorINS0_5tupleIJffEEENS0_10empty_typeEEEZNS1_10merge_implIS3_NS0_12zip_iteratorINS5_IJN6thrust23THRUST_200600_302600_NS6detail15normal_iteratorINSC_10device_ptrIKfEEEESI_EEEEESK_NSA_INS5_IJNSC_16discard_iteratorINSC_11use_defaultEEESN_EEEEEPS7_SQ_SQ_NSC_11hip_rocprim7__merge17predicate_wrapperIffNSC_4lessIfEEEEEE10hipError_tPvRmT0_T1_T2_T3_T4_T5_mmT6_P12ihipStream_tbEUlT_E0_NS1_11comp_targetILNS1_3genE0ELNS1_11target_archE4294967295ELNS1_3gpuE0ELNS1_3repE0EEENS1_30default_config_static_selectorELNS0_4arch9wavefront6targetE0EEEvS11_.has_indirect_call, 0
	.section	.AMDGPU.csdata,"",@progbits
; Kernel info:
; codeLenInByte = 0
; TotalNumSgprs: 0
; NumVgprs: 0
; ScratchSize: 0
; MemoryBound: 0
; FloatMode: 240
; IeeeMode: 1
; LDSByteSize: 0 bytes/workgroup (compile time only)
; SGPRBlocks: 0
; VGPRBlocks: 0
; NumSGPRsForWavesPerEU: 1
; NumVGPRsForWavesPerEU: 1
; Occupancy: 16
; WaveLimiterHint : 0
; COMPUTE_PGM_RSRC2:SCRATCH_EN: 0
; COMPUTE_PGM_RSRC2:USER_SGPR: 6
; COMPUTE_PGM_RSRC2:TRAP_HANDLER: 0
; COMPUTE_PGM_RSRC2:TGID_X_EN: 1
; COMPUTE_PGM_RSRC2:TGID_Y_EN: 0
; COMPUTE_PGM_RSRC2:TGID_Z_EN: 0
; COMPUTE_PGM_RSRC2:TIDIG_COMP_CNT: 0
	.section	.text._ZN7rocprim17ROCPRIM_400000_NS6detail17trampoline_kernelINS0_14default_configENS1_21merge_config_selectorINS0_5tupleIJffEEENS0_10empty_typeEEEZNS1_10merge_implIS3_NS0_12zip_iteratorINS5_IJN6thrust23THRUST_200600_302600_NS6detail15normal_iteratorINSC_10device_ptrIKfEEEESI_EEEEESK_NSA_INS5_IJNSC_16discard_iteratorINSC_11use_defaultEEESN_EEEEEPS7_SQ_SQ_NSC_11hip_rocprim7__merge17predicate_wrapperIffNSC_4lessIfEEEEEE10hipError_tPvRmT0_T1_T2_T3_T4_T5_mmT6_P12ihipStream_tbEUlT_E0_NS1_11comp_targetILNS1_3genE5ELNS1_11target_archE942ELNS1_3gpuE9ELNS1_3repE0EEENS1_30default_config_static_selectorELNS0_4arch9wavefront6targetE0EEEvS11_,"axG",@progbits,_ZN7rocprim17ROCPRIM_400000_NS6detail17trampoline_kernelINS0_14default_configENS1_21merge_config_selectorINS0_5tupleIJffEEENS0_10empty_typeEEEZNS1_10merge_implIS3_NS0_12zip_iteratorINS5_IJN6thrust23THRUST_200600_302600_NS6detail15normal_iteratorINSC_10device_ptrIKfEEEESI_EEEEESK_NSA_INS5_IJNSC_16discard_iteratorINSC_11use_defaultEEESN_EEEEEPS7_SQ_SQ_NSC_11hip_rocprim7__merge17predicate_wrapperIffNSC_4lessIfEEEEEE10hipError_tPvRmT0_T1_T2_T3_T4_T5_mmT6_P12ihipStream_tbEUlT_E0_NS1_11comp_targetILNS1_3genE5ELNS1_11target_archE942ELNS1_3gpuE9ELNS1_3repE0EEENS1_30default_config_static_selectorELNS0_4arch9wavefront6targetE0EEEvS11_,comdat
	.protected	_ZN7rocprim17ROCPRIM_400000_NS6detail17trampoline_kernelINS0_14default_configENS1_21merge_config_selectorINS0_5tupleIJffEEENS0_10empty_typeEEEZNS1_10merge_implIS3_NS0_12zip_iteratorINS5_IJN6thrust23THRUST_200600_302600_NS6detail15normal_iteratorINSC_10device_ptrIKfEEEESI_EEEEESK_NSA_INS5_IJNSC_16discard_iteratorINSC_11use_defaultEEESN_EEEEEPS7_SQ_SQ_NSC_11hip_rocprim7__merge17predicate_wrapperIffNSC_4lessIfEEEEEE10hipError_tPvRmT0_T1_T2_T3_T4_T5_mmT6_P12ihipStream_tbEUlT_E0_NS1_11comp_targetILNS1_3genE5ELNS1_11target_archE942ELNS1_3gpuE9ELNS1_3repE0EEENS1_30default_config_static_selectorELNS0_4arch9wavefront6targetE0EEEvS11_ ; -- Begin function _ZN7rocprim17ROCPRIM_400000_NS6detail17trampoline_kernelINS0_14default_configENS1_21merge_config_selectorINS0_5tupleIJffEEENS0_10empty_typeEEEZNS1_10merge_implIS3_NS0_12zip_iteratorINS5_IJN6thrust23THRUST_200600_302600_NS6detail15normal_iteratorINSC_10device_ptrIKfEEEESI_EEEEESK_NSA_INS5_IJNSC_16discard_iteratorINSC_11use_defaultEEESN_EEEEEPS7_SQ_SQ_NSC_11hip_rocprim7__merge17predicate_wrapperIffNSC_4lessIfEEEEEE10hipError_tPvRmT0_T1_T2_T3_T4_T5_mmT6_P12ihipStream_tbEUlT_E0_NS1_11comp_targetILNS1_3genE5ELNS1_11target_archE942ELNS1_3gpuE9ELNS1_3repE0EEENS1_30default_config_static_selectorELNS0_4arch9wavefront6targetE0EEEvS11_
	.globl	_ZN7rocprim17ROCPRIM_400000_NS6detail17trampoline_kernelINS0_14default_configENS1_21merge_config_selectorINS0_5tupleIJffEEENS0_10empty_typeEEEZNS1_10merge_implIS3_NS0_12zip_iteratorINS5_IJN6thrust23THRUST_200600_302600_NS6detail15normal_iteratorINSC_10device_ptrIKfEEEESI_EEEEESK_NSA_INS5_IJNSC_16discard_iteratorINSC_11use_defaultEEESN_EEEEEPS7_SQ_SQ_NSC_11hip_rocprim7__merge17predicate_wrapperIffNSC_4lessIfEEEEEE10hipError_tPvRmT0_T1_T2_T3_T4_T5_mmT6_P12ihipStream_tbEUlT_E0_NS1_11comp_targetILNS1_3genE5ELNS1_11target_archE942ELNS1_3gpuE9ELNS1_3repE0EEENS1_30default_config_static_selectorELNS0_4arch9wavefront6targetE0EEEvS11_
	.p2align	8
	.type	_ZN7rocprim17ROCPRIM_400000_NS6detail17trampoline_kernelINS0_14default_configENS1_21merge_config_selectorINS0_5tupleIJffEEENS0_10empty_typeEEEZNS1_10merge_implIS3_NS0_12zip_iteratorINS5_IJN6thrust23THRUST_200600_302600_NS6detail15normal_iteratorINSC_10device_ptrIKfEEEESI_EEEEESK_NSA_INS5_IJNSC_16discard_iteratorINSC_11use_defaultEEESN_EEEEEPS7_SQ_SQ_NSC_11hip_rocprim7__merge17predicate_wrapperIffNSC_4lessIfEEEEEE10hipError_tPvRmT0_T1_T2_T3_T4_T5_mmT6_P12ihipStream_tbEUlT_E0_NS1_11comp_targetILNS1_3genE5ELNS1_11target_archE942ELNS1_3gpuE9ELNS1_3repE0EEENS1_30default_config_static_selectorELNS0_4arch9wavefront6targetE0EEEvS11_,@function
_ZN7rocprim17ROCPRIM_400000_NS6detail17trampoline_kernelINS0_14default_configENS1_21merge_config_selectorINS0_5tupleIJffEEENS0_10empty_typeEEEZNS1_10merge_implIS3_NS0_12zip_iteratorINS5_IJN6thrust23THRUST_200600_302600_NS6detail15normal_iteratorINSC_10device_ptrIKfEEEESI_EEEEESK_NSA_INS5_IJNSC_16discard_iteratorINSC_11use_defaultEEESN_EEEEEPS7_SQ_SQ_NSC_11hip_rocprim7__merge17predicate_wrapperIffNSC_4lessIfEEEEEE10hipError_tPvRmT0_T1_T2_T3_T4_T5_mmT6_P12ihipStream_tbEUlT_E0_NS1_11comp_targetILNS1_3genE5ELNS1_11target_archE942ELNS1_3gpuE9ELNS1_3repE0EEENS1_30default_config_static_selectorELNS0_4arch9wavefront6targetE0EEEvS11_: ; @_ZN7rocprim17ROCPRIM_400000_NS6detail17trampoline_kernelINS0_14default_configENS1_21merge_config_selectorINS0_5tupleIJffEEENS0_10empty_typeEEEZNS1_10merge_implIS3_NS0_12zip_iteratorINS5_IJN6thrust23THRUST_200600_302600_NS6detail15normal_iteratorINSC_10device_ptrIKfEEEESI_EEEEESK_NSA_INS5_IJNSC_16discard_iteratorINSC_11use_defaultEEESN_EEEEEPS7_SQ_SQ_NSC_11hip_rocprim7__merge17predicate_wrapperIffNSC_4lessIfEEEEEE10hipError_tPvRmT0_T1_T2_T3_T4_T5_mmT6_P12ihipStream_tbEUlT_E0_NS1_11comp_targetILNS1_3genE5ELNS1_11target_archE942ELNS1_3gpuE9ELNS1_3repE0EEENS1_30default_config_static_selectorELNS0_4arch9wavefront6targetE0EEEvS11_
; %bb.0:
	.section	.rodata,"a",@progbits
	.p2align	6, 0x0
	.amdhsa_kernel _ZN7rocprim17ROCPRIM_400000_NS6detail17trampoline_kernelINS0_14default_configENS1_21merge_config_selectorINS0_5tupleIJffEEENS0_10empty_typeEEEZNS1_10merge_implIS3_NS0_12zip_iteratorINS5_IJN6thrust23THRUST_200600_302600_NS6detail15normal_iteratorINSC_10device_ptrIKfEEEESI_EEEEESK_NSA_INS5_IJNSC_16discard_iteratorINSC_11use_defaultEEESN_EEEEEPS7_SQ_SQ_NSC_11hip_rocprim7__merge17predicate_wrapperIffNSC_4lessIfEEEEEE10hipError_tPvRmT0_T1_T2_T3_T4_T5_mmT6_P12ihipStream_tbEUlT_E0_NS1_11comp_targetILNS1_3genE5ELNS1_11target_archE942ELNS1_3gpuE9ELNS1_3repE0EEENS1_30default_config_static_selectorELNS0_4arch9wavefront6targetE0EEEvS11_
		.amdhsa_group_segment_fixed_size 0
		.amdhsa_private_segment_fixed_size 0
		.amdhsa_kernarg_size 128
		.amdhsa_user_sgpr_count 6
		.amdhsa_user_sgpr_private_segment_buffer 1
		.amdhsa_user_sgpr_dispatch_ptr 0
		.amdhsa_user_sgpr_queue_ptr 0
		.amdhsa_user_sgpr_kernarg_segment_ptr 1
		.amdhsa_user_sgpr_dispatch_id 0
		.amdhsa_user_sgpr_flat_scratch_init 0
		.amdhsa_user_sgpr_private_segment_size 0
		.amdhsa_wavefront_size32 1
		.amdhsa_uses_dynamic_stack 0
		.amdhsa_system_sgpr_private_segment_wavefront_offset 0
		.amdhsa_system_sgpr_workgroup_id_x 1
		.amdhsa_system_sgpr_workgroup_id_y 0
		.amdhsa_system_sgpr_workgroup_id_z 0
		.amdhsa_system_sgpr_workgroup_info 0
		.amdhsa_system_vgpr_workitem_id 0
		.amdhsa_next_free_vgpr 1
		.amdhsa_next_free_sgpr 1
		.amdhsa_reserve_vcc 0
		.amdhsa_reserve_flat_scratch 0
		.amdhsa_float_round_mode_32 0
		.amdhsa_float_round_mode_16_64 0
		.amdhsa_float_denorm_mode_32 3
		.amdhsa_float_denorm_mode_16_64 3
		.amdhsa_dx10_clamp 1
		.amdhsa_ieee_mode 1
		.amdhsa_fp16_overflow 0
		.amdhsa_workgroup_processor_mode 1
		.amdhsa_memory_ordered 1
		.amdhsa_forward_progress 1
		.amdhsa_shared_vgpr_count 0
		.amdhsa_exception_fp_ieee_invalid_op 0
		.amdhsa_exception_fp_denorm_src 0
		.amdhsa_exception_fp_ieee_div_zero 0
		.amdhsa_exception_fp_ieee_overflow 0
		.amdhsa_exception_fp_ieee_underflow 0
		.amdhsa_exception_fp_ieee_inexact 0
		.amdhsa_exception_int_div_zero 0
	.end_amdhsa_kernel
	.section	.text._ZN7rocprim17ROCPRIM_400000_NS6detail17trampoline_kernelINS0_14default_configENS1_21merge_config_selectorINS0_5tupleIJffEEENS0_10empty_typeEEEZNS1_10merge_implIS3_NS0_12zip_iteratorINS5_IJN6thrust23THRUST_200600_302600_NS6detail15normal_iteratorINSC_10device_ptrIKfEEEESI_EEEEESK_NSA_INS5_IJNSC_16discard_iteratorINSC_11use_defaultEEESN_EEEEEPS7_SQ_SQ_NSC_11hip_rocprim7__merge17predicate_wrapperIffNSC_4lessIfEEEEEE10hipError_tPvRmT0_T1_T2_T3_T4_T5_mmT6_P12ihipStream_tbEUlT_E0_NS1_11comp_targetILNS1_3genE5ELNS1_11target_archE942ELNS1_3gpuE9ELNS1_3repE0EEENS1_30default_config_static_selectorELNS0_4arch9wavefront6targetE0EEEvS11_,"axG",@progbits,_ZN7rocprim17ROCPRIM_400000_NS6detail17trampoline_kernelINS0_14default_configENS1_21merge_config_selectorINS0_5tupleIJffEEENS0_10empty_typeEEEZNS1_10merge_implIS3_NS0_12zip_iteratorINS5_IJN6thrust23THRUST_200600_302600_NS6detail15normal_iteratorINSC_10device_ptrIKfEEEESI_EEEEESK_NSA_INS5_IJNSC_16discard_iteratorINSC_11use_defaultEEESN_EEEEEPS7_SQ_SQ_NSC_11hip_rocprim7__merge17predicate_wrapperIffNSC_4lessIfEEEEEE10hipError_tPvRmT0_T1_T2_T3_T4_T5_mmT6_P12ihipStream_tbEUlT_E0_NS1_11comp_targetILNS1_3genE5ELNS1_11target_archE942ELNS1_3gpuE9ELNS1_3repE0EEENS1_30default_config_static_selectorELNS0_4arch9wavefront6targetE0EEEvS11_,comdat
.Lfunc_end507:
	.size	_ZN7rocprim17ROCPRIM_400000_NS6detail17trampoline_kernelINS0_14default_configENS1_21merge_config_selectorINS0_5tupleIJffEEENS0_10empty_typeEEEZNS1_10merge_implIS3_NS0_12zip_iteratorINS5_IJN6thrust23THRUST_200600_302600_NS6detail15normal_iteratorINSC_10device_ptrIKfEEEESI_EEEEESK_NSA_INS5_IJNSC_16discard_iteratorINSC_11use_defaultEEESN_EEEEEPS7_SQ_SQ_NSC_11hip_rocprim7__merge17predicate_wrapperIffNSC_4lessIfEEEEEE10hipError_tPvRmT0_T1_T2_T3_T4_T5_mmT6_P12ihipStream_tbEUlT_E0_NS1_11comp_targetILNS1_3genE5ELNS1_11target_archE942ELNS1_3gpuE9ELNS1_3repE0EEENS1_30default_config_static_selectorELNS0_4arch9wavefront6targetE0EEEvS11_, .Lfunc_end507-_ZN7rocprim17ROCPRIM_400000_NS6detail17trampoline_kernelINS0_14default_configENS1_21merge_config_selectorINS0_5tupleIJffEEENS0_10empty_typeEEEZNS1_10merge_implIS3_NS0_12zip_iteratorINS5_IJN6thrust23THRUST_200600_302600_NS6detail15normal_iteratorINSC_10device_ptrIKfEEEESI_EEEEESK_NSA_INS5_IJNSC_16discard_iteratorINSC_11use_defaultEEESN_EEEEEPS7_SQ_SQ_NSC_11hip_rocprim7__merge17predicate_wrapperIffNSC_4lessIfEEEEEE10hipError_tPvRmT0_T1_T2_T3_T4_T5_mmT6_P12ihipStream_tbEUlT_E0_NS1_11comp_targetILNS1_3genE5ELNS1_11target_archE942ELNS1_3gpuE9ELNS1_3repE0EEENS1_30default_config_static_selectorELNS0_4arch9wavefront6targetE0EEEvS11_
                                        ; -- End function
	.set _ZN7rocprim17ROCPRIM_400000_NS6detail17trampoline_kernelINS0_14default_configENS1_21merge_config_selectorINS0_5tupleIJffEEENS0_10empty_typeEEEZNS1_10merge_implIS3_NS0_12zip_iteratorINS5_IJN6thrust23THRUST_200600_302600_NS6detail15normal_iteratorINSC_10device_ptrIKfEEEESI_EEEEESK_NSA_INS5_IJNSC_16discard_iteratorINSC_11use_defaultEEESN_EEEEEPS7_SQ_SQ_NSC_11hip_rocprim7__merge17predicate_wrapperIffNSC_4lessIfEEEEEE10hipError_tPvRmT0_T1_T2_T3_T4_T5_mmT6_P12ihipStream_tbEUlT_E0_NS1_11comp_targetILNS1_3genE5ELNS1_11target_archE942ELNS1_3gpuE9ELNS1_3repE0EEENS1_30default_config_static_selectorELNS0_4arch9wavefront6targetE0EEEvS11_.num_vgpr, 0
	.set _ZN7rocprim17ROCPRIM_400000_NS6detail17trampoline_kernelINS0_14default_configENS1_21merge_config_selectorINS0_5tupleIJffEEENS0_10empty_typeEEEZNS1_10merge_implIS3_NS0_12zip_iteratorINS5_IJN6thrust23THRUST_200600_302600_NS6detail15normal_iteratorINSC_10device_ptrIKfEEEESI_EEEEESK_NSA_INS5_IJNSC_16discard_iteratorINSC_11use_defaultEEESN_EEEEEPS7_SQ_SQ_NSC_11hip_rocprim7__merge17predicate_wrapperIffNSC_4lessIfEEEEEE10hipError_tPvRmT0_T1_T2_T3_T4_T5_mmT6_P12ihipStream_tbEUlT_E0_NS1_11comp_targetILNS1_3genE5ELNS1_11target_archE942ELNS1_3gpuE9ELNS1_3repE0EEENS1_30default_config_static_selectorELNS0_4arch9wavefront6targetE0EEEvS11_.num_agpr, 0
	.set _ZN7rocprim17ROCPRIM_400000_NS6detail17trampoline_kernelINS0_14default_configENS1_21merge_config_selectorINS0_5tupleIJffEEENS0_10empty_typeEEEZNS1_10merge_implIS3_NS0_12zip_iteratorINS5_IJN6thrust23THRUST_200600_302600_NS6detail15normal_iteratorINSC_10device_ptrIKfEEEESI_EEEEESK_NSA_INS5_IJNSC_16discard_iteratorINSC_11use_defaultEEESN_EEEEEPS7_SQ_SQ_NSC_11hip_rocprim7__merge17predicate_wrapperIffNSC_4lessIfEEEEEE10hipError_tPvRmT0_T1_T2_T3_T4_T5_mmT6_P12ihipStream_tbEUlT_E0_NS1_11comp_targetILNS1_3genE5ELNS1_11target_archE942ELNS1_3gpuE9ELNS1_3repE0EEENS1_30default_config_static_selectorELNS0_4arch9wavefront6targetE0EEEvS11_.numbered_sgpr, 0
	.set _ZN7rocprim17ROCPRIM_400000_NS6detail17trampoline_kernelINS0_14default_configENS1_21merge_config_selectorINS0_5tupleIJffEEENS0_10empty_typeEEEZNS1_10merge_implIS3_NS0_12zip_iteratorINS5_IJN6thrust23THRUST_200600_302600_NS6detail15normal_iteratorINSC_10device_ptrIKfEEEESI_EEEEESK_NSA_INS5_IJNSC_16discard_iteratorINSC_11use_defaultEEESN_EEEEEPS7_SQ_SQ_NSC_11hip_rocprim7__merge17predicate_wrapperIffNSC_4lessIfEEEEEE10hipError_tPvRmT0_T1_T2_T3_T4_T5_mmT6_P12ihipStream_tbEUlT_E0_NS1_11comp_targetILNS1_3genE5ELNS1_11target_archE942ELNS1_3gpuE9ELNS1_3repE0EEENS1_30default_config_static_selectorELNS0_4arch9wavefront6targetE0EEEvS11_.num_named_barrier, 0
	.set _ZN7rocprim17ROCPRIM_400000_NS6detail17trampoline_kernelINS0_14default_configENS1_21merge_config_selectorINS0_5tupleIJffEEENS0_10empty_typeEEEZNS1_10merge_implIS3_NS0_12zip_iteratorINS5_IJN6thrust23THRUST_200600_302600_NS6detail15normal_iteratorINSC_10device_ptrIKfEEEESI_EEEEESK_NSA_INS5_IJNSC_16discard_iteratorINSC_11use_defaultEEESN_EEEEEPS7_SQ_SQ_NSC_11hip_rocprim7__merge17predicate_wrapperIffNSC_4lessIfEEEEEE10hipError_tPvRmT0_T1_T2_T3_T4_T5_mmT6_P12ihipStream_tbEUlT_E0_NS1_11comp_targetILNS1_3genE5ELNS1_11target_archE942ELNS1_3gpuE9ELNS1_3repE0EEENS1_30default_config_static_selectorELNS0_4arch9wavefront6targetE0EEEvS11_.private_seg_size, 0
	.set _ZN7rocprim17ROCPRIM_400000_NS6detail17trampoline_kernelINS0_14default_configENS1_21merge_config_selectorINS0_5tupleIJffEEENS0_10empty_typeEEEZNS1_10merge_implIS3_NS0_12zip_iteratorINS5_IJN6thrust23THRUST_200600_302600_NS6detail15normal_iteratorINSC_10device_ptrIKfEEEESI_EEEEESK_NSA_INS5_IJNSC_16discard_iteratorINSC_11use_defaultEEESN_EEEEEPS7_SQ_SQ_NSC_11hip_rocprim7__merge17predicate_wrapperIffNSC_4lessIfEEEEEE10hipError_tPvRmT0_T1_T2_T3_T4_T5_mmT6_P12ihipStream_tbEUlT_E0_NS1_11comp_targetILNS1_3genE5ELNS1_11target_archE942ELNS1_3gpuE9ELNS1_3repE0EEENS1_30default_config_static_selectorELNS0_4arch9wavefront6targetE0EEEvS11_.uses_vcc, 0
	.set _ZN7rocprim17ROCPRIM_400000_NS6detail17trampoline_kernelINS0_14default_configENS1_21merge_config_selectorINS0_5tupleIJffEEENS0_10empty_typeEEEZNS1_10merge_implIS3_NS0_12zip_iteratorINS5_IJN6thrust23THRUST_200600_302600_NS6detail15normal_iteratorINSC_10device_ptrIKfEEEESI_EEEEESK_NSA_INS5_IJNSC_16discard_iteratorINSC_11use_defaultEEESN_EEEEEPS7_SQ_SQ_NSC_11hip_rocprim7__merge17predicate_wrapperIffNSC_4lessIfEEEEEE10hipError_tPvRmT0_T1_T2_T3_T4_T5_mmT6_P12ihipStream_tbEUlT_E0_NS1_11comp_targetILNS1_3genE5ELNS1_11target_archE942ELNS1_3gpuE9ELNS1_3repE0EEENS1_30default_config_static_selectorELNS0_4arch9wavefront6targetE0EEEvS11_.uses_flat_scratch, 0
	.set _ZN7rocprim17ROCPRIM_400000_NS6detail17trampoline_kernelINS0_14default_configENS1_21merge_config_selectorINS0_5tupleIJffEEENS0_10empty_typeEEEZNS1_10merge_implIS3_NS0_12zip_iteratorINS5_IJN6thrust23THRUST_200600_302600_NS6detail15normal_iteratorINSC_10device_ptrIKfEEEESI_EEEEESK_NSA_INS5_IJNSC_16discard_iteratorINSC_11use_defaultEEESN_EEEEEPS7_SQ_SQ_NSC_11hip_rocprim7__merge17predicate_wrapperIffNSC_4lessIfEEEEEE10hipError_tPvRmT0_T1_T2_T3_T4_T5_mmT6_P12ihipStream_tbEUlT_E0_NS1_11comp_targetILNS1_3genE5ELNS1_11target_archE942ELNS1_3gpuE9ELNS1_3repE0EEENS1_30default_config_static_selectorELNS0_4arch9wavefront6targetE0EEEvS11_.has_dyn_sized_stack, 0
	.set _ZN7rocprim17ROCPRIM_400000_NS6detail17trampoline_kernelINS0_14default_configENS1_21merge_config_selectorINS0_5tupleIJffEEENS0_10empty_typeEEEZNS1_10merge_implIS3_NS0_12zip_iteratorINS5_IJN6thrust23THRUST_200600_302600_NS6detail15normal_iteratorINSC_10device_ptrIKfEEEESI_EEEEESK_NSA_INS5_IJNSC_16discard_iteratorINSC_11use_defaultEEESN_EEEEEPS7_SQ_SQ_NSC_11hip_rocprim7__merge17predicate_wrapperIffNSC_4lessIfEEEEEE10hipError_tPvRmT0_T1_T2_T3_T4_T5_mmT6_P12ihipStream_tbEUlT_E0_NS1_11comp_targetILNS1_3genE5ELNS1_11target_archE942ELNS1_3gpuE9ELNS1_3repE0EEENS1_30default_config_static_selectorELNS0_4arch9wavefront6targetE0EEEvS11_.has_recursion, 0
	.set _ZN7rocprim17ROCPRIM_400000_NS6detail17trampoline_kernelINS0_14default_configENS1_21merge_config_selectorINS0_5tupleIJffEEENS0_10empty_typeEEEZNS1_10merge_implIS3_NS0_12zip_iteratorINS5_IJN6thrust23THRUST_200600_302600_NS6detail15normal_iteratorINSC_10device_ptrIKfEEEESI_EEEEESK_NSA_INS5_IJNSC_16discard_iteratorINSC_11use_defaultEEESN_EEEEEPS7_SQ_SQ_NSC_11hip_rocprim7__merge17predicate_wrapperIffNSC_4lessIfEEEEEE10hipError_tPvRmT0_T1_T2_T3_T4_T5_mmT6_P12ihipStream_tbEUlT_E0_NS1_11comp_targetILNS1_3genE5ELNS1_11target_archE942ELNS1_3gpuE9ELNS1_3repE0EEENS1_30default_config_static_selectorELNS0_4arch9wavefront6targetE0EEEvS11_.has_indirect_call, 0
	.section	.AMDGPU.csdata,"",@progbits
; Kernel info:
; codeLenInByte = 0
; TotalNumSgprs: 0
; NumVgprs: 0
; ScratchSize: 0
; MemoryBound: 0
; FloatMode: 240
; IeeeMode: 1
; LDSByteSize: 0 bytes/workgroup (compile time only)
; SGPRBlocks: 0
; VGPRBlocks: 0
; NumSGPRsForWavesPerEU: 1
; NumVGPRsForWavesPerEU: 1
; Occupancy: 16
; WaveLimiterHint : 0
; COMPUTE_PGM_RSRC2:SCRATCH_EN: 0
; COMPUTE_PGM_RSRC2:USER_SGPR: 6
; COMPUTE_PGM_RSRC2:TRAP_HANDLER: 0
; COMPUTE_PGM_RSRC2:TGID_X_EN: 1
; COMPUTE_PGM_RSRC2:TGID_Y_EN: 0
; COMPUTE_PGM_RSRC2:TGID_Z_EN: 0
; COMPUTE_PGM_RSRC2:TIDIG_COMP_CNT: 0
	.section	.text._ZN7rocprim17ROCPRIM_400000_NS6detail17trampoline_kernelINS0_14default_configENS1_21merge_config_selectorINS0_5tupleIJffEEENS0_10empty_typeEEEZNS1_10merge_implIS3_NS0_12zip_iteratorINS5_IJN6thrust23THRUST_200600_302600_NS6detail15normal_iteratorINSC_10device_ptrIKfEEEESI_EEEEESK_NSA_INS5_IJNSC_16discard_iteratorINSC_11use_defaultEEESN_EEEEEPS7_SQ_SQ_NSC_11hip_rocprim7__merge17predicate_wrapperIffNSC_4lessIfEEEEEE10hipError_tPvRmT0_T1_T2_T3_T4_T5_mmT6_P12ihipStream_tbEUlT_E0_NS1_11comp_targetILNS1_3genE4ELNS1_11target_archE910ELNS1_3gpuE8ELNS1_3repE0EEENS1_30default_config_static_selectorELNS0_4arch9wavefront6targetE0EEEvS11_,"axG",@progbits,_ZN7rocprim17ROCPRIM_400000_NS6detail17trampoline_kernelINS0_14default_configENS1_21merge_config_selectorINS0_5tupleIJffEEENS0_10empty_typeEEEZNS1_10merge_implIS3_NS0_12zip_iteratorINS5_IJN6thrust23THRUST_200600_302600_NS6detail15normal_iteratorINSC_10device_ptrIKfEEEESI_EEEEESK_NSA_INS5_IJNSC_16discard_iteratorINSC_11use_defaultEEESN_EEEEEPS7_SQ_SQ_NSC_11hip_rocprim7__merge17predicate_wrapperIffNSC_4lessIfEEEEEE10hipError_tPvRmT0_T1_T2_T3_T4_T5_mmT6_P12ihipStream_tbEUlT_E0_NS1_11comp_targetILNS1_3genE4ELNS1_11target_archE910ELNS1_3gpuE8ELNS1_3repE0EEENS1_30default_config_static_selectorELNS0_4arch9wavefront6targetE0EEEvS11_,comdat
	.protected	_ZN7rocprim17ROCPRIM_400000_NS6detail17trampoline_kernelINS0_14default_configENS1_21merge_config_selectorINS0_5tupleIJffEEENS0_10empty_typeEEEZNS1_10merge_implIS3_NS0_12zip_iteratorINS5_IJN6thrust23THRUST_200600_302600_NS6detail15normal_iteratorINSC_10device_ptrIKfEEEESI_EEEEESK_NSA_INS5_IJNSC_16discard_iteratorINSC_11use_defaultEEESN_EEEEEPS7_SQ_SQ_NSC_11hip_rocprim7__merge17predicate_wrapperIffNSC_4lessIfEEEEEE10hipError_tPvRmT0_T1_T2_T3_T4_T5_mmT6_P12ihipStream_tbEUlT_E0_NS1_11comp_targetILNS1_3genE4ELNS1_11target_archE910ELNS1_3gpuE8ELNS1_3repE0EEENS1_30default_config_static_selectorELNS0_4arch9wavefront6targetE0EEEvS11_ ; -- Begin function _ZN7rocprim17ROCPRIM_400000_NS6detail17trampoline_kernelINS0_14default_configENS1_21merge_config_selectorINS0_5tupleIJffEEENS0_10empty_typeEEEZNS1_10merge_implIS3_NS0_12zip_iteratorINS5_IJN6thrust23THRUST_200600_302600_NS6detail15normal_iteratorINSC_10device_ptrIKfEEEESI_EEEEESK_NSA_INS5_IJNSC_16discard_iteratorINSC_11use_defaultEEESN_EEEEEPS7_SQ_SQ_NSC_11hip_rocprim7__merge17predicate_wrapperIffNSC_4lessIfEEEEEE10hipError_tPvRmT0_T1_T2_T3_T4_T5_mmT6_P12ihipStream_tbEUlT_E0_NS1_11comp_targetILNS1_3genE4ELNS1_11target_archE910ELNS1_3gpuE8ELNS1_3repE0EEENS1_30default_config_static_selectorELNS0_4arch9wavefront6targetE0EEEvS11_
	.globl	_ZN7rocprim17ROCPRIM_400000_NS6detail17trampoline_kernelINS0_14default_configENS1_21merge_config_selectorINS0_5tupleIJffEEENS0_10empty_typeEEEZNS1_10merge_implIS3_NS0_12zip_iteratorINS5_IJN6thrust23THRUST_200600_302600_NS6detail15normal_iteratorINSC_10device_ptrIKfEEEESI_EEEEESK_NSA_INS5_IJNSC_16discard_iteratorINSC_11use_defaultEEESN_EEEEEPS7_SQ_SQ_NSC_11hip_rocprim7__merge17predicate_wrapperIffNSC_4lessIfEEEEEE10hipError_tPvRmT0_T1_T2_T3_T4_T5_mmT6_P12ihipStream_tbEUlT_E0_NS1_11comp_targetILNS1_3genE4ELNS1_11target_archE910ELNS1_3gpuE8ELNS1_3repE0EEENS1_30default_config_static_selectorELNS0_4arch9wavefront6targetE0EEEvS11_
	.p2align	8
	.type	_ZN7rocprim17ROCPRIM_400000_NS6detail17trampoline_kernelINS0_14default_configENS1_21merge_config_selectorINS0_5tupleIJffEEENS0_10empty_typeEEEZNS1_10merge_implIS3_NS0_12zip_iteratorINS5_IJN6thrust23THRUST_200600_302600_NS6detail15normal_iteratorINSC_10device_ptrIKfEEEESI_EEEEESK_NSA_INS5_IJNSC_16discard_iteratorINSC_11use_defaultEEESN_EEEEEPS7_SQ_SQ_NSC_11hip_rocprim7__merge17predicate_wrapperIffNSC_4lessIfEEEEEE10hipError_tPvRmT0_T1_T2_T3_T4_T5_mmT6_P12ihipStream_tbEUlT_E0_NS1_11comp_targetILNS1_3genE4ELNS1_11target_archE910ELNS1_3gpuE8ELNS1_3repE0EEENS1_30default_config_static_selectorELNS0_4arch9wavefront6targetE0EEEvS11_,@function
_ZN7rocprim17ROCPRIM_400000_NS6detail17trampoline_kernelINS0_14default_configENS1_21merge_config_selectorINS0_5tupleIJffEEENS0_10empty_typeEEEZNS1_10merge_implIS3_NS0_12zip_iteratorINS5_IJN6thrust23THRUST_200600_302600_NS6detail15normal_iteratorINSC_10device_ptrIKfEEEESI_EEEEESK_NSA_INS5_IJNSC_16discard_iteratorINSC_11use_defaultEEESN_EEEEEPS7_SQ_SQ_NSC_11hip_rocprim7__merge17predicate_wrapperIffNSC_4lessIfEEEEEE10hipError_tPvRmT0_T1_T2_T3_T4_T5_mmT6_P12ihipStream_tbEUlT_E0_NS1_11comp_targetILNS1_3genE4ELNS1_11target_archE910ELNS1_3gpuE8ELNS1_3repE0EEENS1_30default_config_static_selectorELNS0_4arch9wavefront6targetE0EEEvS11_: ; @_ZN7rocprim17ROCPRIM_400000_NS6detail17trampoline_kernelINS0_14default_configENS1_21merge_config_selectorINS0_5tupleIJffEEENS0_10empty_typeEEEZNS1_10merge_implIS3_NS0_12zip_iteratorINS5_IJN6thrust23THRUST_200600_302600_NS6detail15normal_iteratorINSC_10device_ptrIKfEEEESI_EEEEESK_NSA_INS5_IJNSC_16discard_iteratorINSC_11use_defaultEEESN_EEEEEPS7_SQ_SQ_NSC_11hip_rocprim7__merge17predicate_wrapperIffNSC_4lessIfEEEEEE10hipError_tPvRmT0_T1_T2_T3_T4_T5_mmT6_P12ihipStream_tbEUlT_E0_NS1_11comp_targetILNS1_3genE4ELNS1_11target_archE910ELNS1_3gpuE8ELNS1_3repE0EEENS1_30default_config_static_selectorELNS0_4arch9wavefront6targetE0EEEvS11_
; %bb.0:
	.section	.rodata,"a",@progbits
	.p2align	6, 0x0
	.amdhsa_kernel _ZN7rocprim17ROCPRIM_400000_NS6detail17trampoline_kernelINS0_14default_configENS1_21merge_config_selectorINS0_5tupleIJffEEENS0_10empty_typeEEEZNS1_10merge_implIS3_NS0_12zip_iteratorINS5_IJN6thrust23THRUST_200600_302600_NS6detail15normal_iteratorINSC_10device_ptrIKfEEEESI_EEEEESK_NSA_INS5_IJNSC_16discard_iteratorINSC_11use_defaultEEESN_EEEEEPS7_SQ_SQ_NSC_11hip_rocprim7__merge17predicate_wrapperIffNSC_4lessIfEEEEEE10hipError_tPvRmT0_T1_T2_T3_T4_T5_mmT6_P12ihipStream_tbEUlT_E0_NS1_11comp_targetILNS1_3genE4ELNS1_11target_archE910ELNS1_3gpuE8ELNS1_3repE0EEENS1_30default_config_static_selectorELNS0_4arch9wavefront6targetE0EEEvS11_
		.amdhsa_group_segment_fixed_size 0
		.amdhsa_private_segment_fixed_size 0
		.amdhsa_kernarg_size 128
		.amdhsa_user_sgpr_count 6
		.amdhsa_user_sgpr_private_segment_buffer 1
		.amdhsa_user_sgpr_dispatch_ptr 0
		.amdhsa_user_sgpr_queue_ptr 0
		.amdhsa_user_sgpr_kernarg_segment_ptr 1
		.amdhsa_user_sgpr_dispatch_id 0
		.amdhsa_user_sgpr_flat_scratch_init 0
		.amdhsa_user_sgpr_private_segment_size 0
		.amdhsa_wavefront_size32 1
		.amdhsa_uses_dynamic_stack 0
		.amdhsa_system_sgpr_private_segment_wavefront_offset 0
		.amdhsa_system_sgpr_workgroup_id_x 1
		.amdhsa_system_sgpr_workgroup_id_y 0
		.amdhsa_system_sgpr_workgroup_id_z 0
		.amdhsa_system_sgpr_workgroup_info 0
		.amdhsa_system_vgpr_workitem_id 0
		.amdhsa_next_free_vgpr 1
		.amdhsa_next_free_sgpr 1
		.amdhsa_reserve_vcc 0
		.amdhsa_reserve_flat_scratch 0
		.amdhsa_float_round_mode_32 0
		.amdhsa_float_round_mode_16_64 0
		.amdhsa_float_denorm_mode_32 3
		.amdhsa_float_denorm_mode_16_64 3
		.amdhsa_dx10_clamp 1
		.amdhsa_ieee_mode 1
		.amdhsa_fp16_overflow 0
		.amdhsa_workgroup_processor_mode 1
		.amdhsa_memory_ordered 1
		.amdhsa_forward_progress 1
		.amdhsa_shared_vgpr_count 0
		.amdhsa_exception_fp_ieee_invalid_op 0
		.amdhsa_exception_fp_denorm_src 0
		.amdhsa_exception_fp_ieee_div_zero 0
		.amdhsa_exception_fp_ieee_overflow 0
		.amdhsa_exception_fp_ieee_underflow 0
		.amdhsa_exception_fp_ieee_inexact 0
		.amdhsa_exception_int_div_zero 0
	.end_amdhsa_kernel
	.section	.text._ZN7rocprim17ROCPRIM_400000_NS6detail17trampoline_kernelINS0_14default_configENS1_21merge_config_selectorINS0_5tupleIJffEEENS0_10empty_typeEEEZNS1_10merge_implIS3_NS0_12zip_iteratorINS5_IJN6thrust23THRUST_200600_302600_NS6detail15normal_iteratorINSC_10device_ptrIKfEEEESI_EEEEESK_NSA_INS5_IJNSC_16discard_iteratorINSC_11use_defaultEEESN_EEEEEPS7_SQ_SQ_NSC_11hip_rocprim7__merge17predicate_wrapperIffNSC_4lessIfEEEEEE10hipError_tPvRmT0_T1_T2_T3_T4_T5_mmT6_P12ihipStream_tbEUlT_E0_NS1_11comp_targetILNS1_3genE4ELNS1_11target_archE910ELNS1_3gpuE8ELNS1_3repE0EEENS1_30default_config_static_selectorELNS0_4arch9wavefront6targetE0EEEvS11_,"axG",@progbits,_ZN7rocprim17ROCPRIM_400000_NS6detail17trampoline_kernelINS0_14default_configENS1_21merge_config_selectorINS0_5tupleIJffEEENS0_10empty_typeEEEZNS1_10merge_implIS3_NS0_12zip_iteratorINS5_IJN6thrust23THRUST_200600_302600_NS6detail15normal_iteratorINSC_10device_ptrIKfEEEESI_EEEEESK_NSA_INS5_IJNSC_16discard_iteratorINSC_11use_defaultEEESN_EEEEEPS7_SQ_SQ_NSC_11hip_rocprim7__merge17predicate_wrapperIffNSC_4lessIfEEEEEE10hipError_tPvRmT0_T1_T2_T3_T4_T5_mmT6_P12ihipStream_tbEUlT_E0_NS1_11comp_targetILNS1_3genE4ELNS1_11target_archE910ELNS1_3gpuE8ELNS1_3repE0EEENS1_30default_config_static_selectorELNS0_4arch9wavefront6targetE0EEEvS11_,comdat
.Lfunc_end508:
	.size	_ZN7rocprim17ROCPRIM_400000_NS6detail17trampoline_kernelINS0_14default_configENS1_21merge_config_selectorINS0_5tupleIJffEEENS0_10empty_typeEEEZNS1_10merge_implIS3_NS0_12zip_iteratorINS5_IJN6thrust23THRUST_200600_302600_NS6detail15normal_iteratorINSC_10device_ptrIKfEEEESI_EEEEESK_NSA_INS5_IJNSC_16discard_iteratorINSC_11use_defaultEEESN_EEEEEPS7_SQ_SQ_NSC_11hip_rocprim7__merge17predicate_wrapperIffNSC_4lessIfEEEEEE10hipError_tPvRmT0_T1_T2_T3_T4_T5_mmT6_P12ihipStream_tbEUlT_E0_NS1_11comp_targetILNS1_3genE4ELNS1_11target_archE910ELNS1_3gpuE8ELNS1_3repE0EEENS1_30default_config_static_selectorELNS0_4arch9wavefront6targetE0EEEvS11_, .Lfunc_end508-_ZN7rocprim17ROCPRIM_400000_NS6detail17trampoline_kernelINS0_14default_configENS1_21merge_config_selectorINS0_5tupleIJffEEENS0_10empty_typeEEEZNS1_10merge_implIS3_NS0_12zip_iteratorINS5_IJN6thrust23THRUST_200600_302600_NS6detail15normal_iteratorINSC_10device_ptrIKfEEEESI_EEEEESK_NSA_INS5_IJNSC_16discard_iteratorINSC_11use_defaultEEESN_EEEEEPS7_SQ_SQ_NSC_11hip_rocprim7__merge17predicate_wrapperIffNSC_4lessIfEEEEEE10hipError_tPvRmT0_T1_T2_T3_T4_T5_mmT6_P12ihipStream_tbEUlT_E0_NS1_11comp_targetILNS1_3genE4ELNS1_11target_archE910ELNS1_3gpuE8ELNS1_3repE0EEENS1_30default_config_static_selectorELNS0_4arch9wavefront6targetE0EEEvS11_
                                        ; -- End function
	.set _ZN7rocprim17ROCPRIM_400000_NS6detail17trampoline_kernelINS0_14default_configENS1_21merge_config_selectorINS0_5tupleIJffEEENS0_10empty_typeEEEZNS1_10merge_implIS3_NS0_12zip_iteratorINS5_IJN6thrust23THRUST_200600_302600_NS6detail15normal_iteratorINSC_10device_ptrIKfEEEESI_EEEEESK_NSA_INS5_IJNSC_16discard_iteratorINSC_11use_defaultEEESN_EEEEEPS7_SQ_SQ_NSC_11hip_rocprim7__merge17predicate_wrapperIffNSC_4lessIfEEEEEE10hipError_tPvRmT0_T1_T2_T3_T4_T5_mmT6_P12ihipStream_tbEUlT_E0_NS1_11comp_targetILNS1_3genE4ELNS1_11target_archE910ELNS1_3gpuE8ELNS1_3repE0EEENS1_30default_config_static_selectorELNS0_4arch9wavefront6targetE0EEEvS11_.num_vgpr, 0
	.set _ZN7rocprim17ROCPRIM_400000_NS6detail17trampoline_kernelINS0_14default_configENS1_21merge_config_selectorINS0_5tupleIJffEEENS0_10empty_typeEEEZNS1_10merge_implIS3_NS0_12zip_iteratorINS5_IJN6thrust23THRUST_200600_302600_NS6detail15normal_iteratorINSC_10device_ptrIKfEEEESI_EEEEESK_NSA_INS5_IJNSC_16discard_iteratorINSC_11use_defaultEEESN_EEEEEPS7_SQ_SQ_NSC_11hip_rocprim7__merge17predicate_wrapperIffNSC_4lessIfEEEEEE10hipError_tPvRmT0_T1_T2_T3_T4_T5_mmT6_P12ihipStream_tbEUlT_E0_NS1_11comp_targetILNS1_3genE4ELNS1_11target_archE910ELNS1_3gpuE8ELNS1_3repE0EEENS1_30default_config_static_selectorELNS0_4arch9wavefront6targetE0EEEvS11_.num_agpr, 0
	.set _ZN7rocprim17ROCPRIM_400000_NS6detail17trampoline_kernelINS0_14default_configENS1_21merge_config_selectorINS0_5tupleIJffEEENS0_10empty_typeEEEZNS1_10merge_implIS3_NS0_12zip_iteratorINS5_IJN6thrust23THRUST_200600_302600_NS6detail15normal_iteratorINSC_10device_ptrIKfEEEESI_EEEEESK_NSA_INS5_IJNSC_16discard_iteratorINSC_11use_defaultEEESN_EEEEEPS7_SQ_SQ_NSC_11hip_rocprim7__merge17predicate_wrapperIffNSC_4lessIfEEEEEE10hipError_tPvRmT0_T1_T2_T3_T4_T5_mmT6_P12ihipStream_tbEUlT_E0_NS1_11comp_targetILNS1_3genE4ELNS1_11target_archE910ELNS1_3gpuE8ELNS1_3repE0EEENS1_30default_config_static_selectorELNS0_4arch9wavefront6targetE0EEEvS11_.numbered_sgpr, 0
	.set _ZN7rocprim17ROCPRIM_400000_NS6detail17trampoline_kernelINS0_14default_configENS1_21merge_config_selectorINS0_5tupleIJffEEENS0_10empty_typeEEEZNS1_10merge_implIS3_NS0_12zip_iteratorINS5_IJN6thrust23THRUST_200600_302600_NS6detail15normal_iteratorINSC_10device_ptrIKfEEEESI_EEEEESK_NSA_INS5_IJNSC_16discard_iteratorINSC_11use_defaultEEESN_EEEEEPS7_SQ_SQ_NSC_11hip_rocprim7__merge17predicate_wrapperIffNSC_4lessIfEEEEEE10hipError_tPvRmT0_T1_T2_T3_T4_T5_mmT6_P12ihipStream_tbEUlT_E0_NS1_11comp_targetILNS1_3genE4ELNS1_11target_archE910ELNS1_3gpuE8ELNS1_3repE0EEENS1_30default_config_static_selectorELNS0_4arch9wavefront6targetE0EEEvS11_.num_named_barrier, 0
	.set _ZN7rocprim17ROCPRIM_400000_NS6detail17trampoline_kernelINS0_14default_configENS1_21merge_config_selectorINS0_5tupleIJffEEENS0_10empty_typeEEEZNS1_10merge_implIS3_NS0_12zip_iteratorINS5_IJN6thrust23THRUST_200600_302600_NS6detail15normal_iteratorINSC_10device_ptrIKfEEEESI_EEEEESK_NSA_INS5_IJNSC_16discard_iteratorINSC_11use_defaultEEESN_EEEEEPS7_SQ_SQ_NSC_11hip_rocprim7__merge17predicate_wrapperIffNSC_4lessIfEEEEEE10hipError_tPvRmT0_T1_T2_T3_T4_T5_mmT6_P12ihipStream_tbEUlT_E0_NS1_11comp_targetILNS1_3genE4ELNS1_11target_archE910ELNS1_3gpuE8ELNS1_3repE0EEENS1_30default_config_static_selectorELNS0_4arch9wavefront6targetE0EEEvS11_.private_seg_size, 0
	.set _ZN7rocprim17ROCPRIM_400000_NS6detail17trampoline_kernelINS0_14default_configENS1_21merge_config_selectorINS0_5tupleIJffEEENS0_10empty_typeEEEZNS1_10merge_implIS3_NS0_12zip_iteratorINS5_IJN6thrust23THRUST_200600_302600_NS6detail15normal_iteratorINSC_10device_ptrIKfEEEESI_EEEEESK_NSA_INS5_IJNSC_16discard_iteratorINSC_11use_defaultEEESN_EEEEEPS7_SQ_SQ_NSC_11hip_rocprim7__merge17predicate_wrapperIffNSC_4lessIfEEEEEE10hipError_tPvRmT0_T1_T2_T3_T4_T5_mmT6_P12ihipStream_tbEUlT_E0_NS1_11comp_targetILNS1_3genE4ELNS1_11target_archE910ELNS1_3gpuE8ELNS1_3repE0EEENS1_30default_config_static_selectorELNS0_4arch9wavefront6targetE0EEEvS11_.uses_vcc, 0
	.set _ZN7rocprim17ROCPRIM_400000_NS6detail17trampoline_kernelINS0_14default_configENS1_21merge_config_selectorINS0_5tupleIJffEEENS0_10empty_typeEEEZNS1_10merge_implIS3_NS0_12zip_iteratorINS5_IJN6thrust23THRUST_200600_302600_NS6detail15normal_iteratorINSC_10device_ptrIKfEEEESI_EEEEESK_NSA_INS5_IJNSC_16discard_iteratorINSC_11use_defaultEEESN_EEEEEPS7_SQ_SQ_NSC_11hip_rocprim7__merge17predicate_wrapperIffNSC_4lessIfEEEEEE10hipError_tPvRmT0_T1_T2_T3_T4_T5_mmT6_P12ihipStream_tbEUlT_E0_NS1_11comp_targetILNS1_3genE4ELNS1_11target_archE910ELNS1_3gpuE8ELNS1_3repE0EEENS1_30default_config_static_selectorELNS0_4arch9wavefront6targetE0EEEvS11_.uses_flat_scratch, 0
	.set _ZN7rocprim17ROCPRIM_400000_NS6detail17trampoline_kernelINS0_14default_configENS1_21merge_config_selectorINS0_5tupleIJffEEENS0_10empty_typeEEEZNS1_10merge_implIS3_NS0_12zip_iteratorINS5_IJN6thrust23THRUST_200600_302600_NS6detail15normal_iteratorINSC_10device_ptrIKfEEEESI_EEEEESK_NSA_INS5_IJNSC_16discard_iteratorINSC_11use_defaultEEESN_EEEEEPS7_SQ_SQ_NSC_11hip_rocprim7__merge17predicate_wrapperIffNSC_4lessIfEEEEEE10hipError_tPvRmT0_T1_T2_T3_T4_T5_mmT6_P12ihipStream_tbEUlT_E0_NS1_11comp_targetILNS1_3genE4ELNS1_11target_archE910ELNS1_3gpuE8ELNS1_3repE0EEENS1_30default_config_static_selectorELNS0_4arch9wavefront6targetE0EEEvS11_.has_dyn_sized_stack, 0
	.set _ZN7rocprim17ROCPRIM_400000_NS6detail17trampoline_kernelINS0_14default_configENS1_21merge_config_selectorINS0_5tupleIJffEEENS0_10empty_typeEEEZNS1_10merge_implIS3_NS0_12zip_iteratorINS5_IJN6thrust23THRUST_200600_302600_NS6detail15normal_iteratorINSC_10device_ptrIKfEEEESI_EEEEESK_NSA_INS5_IJNSC_16discard_iteratorINSC_11use_defaultEEESN_EEEEEPS7_SQ_SQ_NSC_11hip_rocprim7__merge17predicate_wrapperIffNSC_4lessIfEEEEEE10hipError_tPvRmT0_T1_T2_T3_T4_T5_mmT6_P12ihipStream_tbEUlT_E0_NS1_11comp_targetILNS1_3genE4ELNS1_11target_archE910ELNS1_3gpuE8ELNS1_3repE0EEENS1_30default_config_static_selectorELNS0_4arch9wavefront6targetE0EEEvS11_.has_recursion, 0
	.set _ZN7rocprim17ROCPRIM_400000_NS6detail17trampoline_kernelINS0_14default_configENS1_21merge_config_selectorINS0_5tupleIJffEEENS0_10empty_typeEEEZNS1_10merge_implIS3_NS0_12zip_iteratorINS5_IJN6thrust23THRUST_200600_302600_NS6detail15normal_iteratorINSC_10device_ptrIKfEEEESI_EEEEESK_NSA_INS5_IJNSC_16discard_iteratorINSC_11use_defaultEEESN_EEEEEPS7_SQ_SQ_NSC_11hip_rocprim7__merge17predicate_wrapperIffNSC_4lessIfEEEEEE10hipError_tPvRmT0_T1_T2_T3_T4_T5_mmT6_P12ihipStream_tbEUlT_E0_NS1_11comp_targetILNS1_3genE4ELNS1_11target_archE910ELNS1_3gpuE8ELNS1_3repE0EEENS1_30default_config_static_selectorELNS0_4arch9wavefront6targetE0EEEvS11_.has_indirect_call, 0
	.section	.AMDGPU.csdata,"",@progbits
; Kernel info:
; codeLenInByte = 0
; TotalNumSgprs: 0
; NumVgprs: 0
; ScratchSize: 0
; MemoryBound: 0
; FloatMode: 240
; IeeeMode: 1
; LDSByteSize: 0 bytes/workgroup (compile time only)
; SGPRBlocks: 0
; VGPRBlocks: 0
; NumSGPRsForWavesPerEU: 1
; NumVGPRsForWavesPerEU: 1
; Occupancy: 16
; WaveLimiterHint : 0
; COMPUTE_PGM_RSRC2:SCRATCH_EN: 0
; COMPUTE_PGM_RSRC2:USER_SGPR: 6
; COMPUTE_PGM_RSRC2:TRAP_HANDLER: 0
; COMPUTE_PGM_RSRC2:TGID_X_EN: 1
; COMPUTE_PGM_RSRC2:TGID_Y_EN: 0
; COMPUTE_PGM_RSRC2:TGID_Z_EN: 0
; COMPUTE_PGM_RSRC2:TIDIG_COMP_CNT: 0
	.section	.text._ZN7rocprim17ROCPRIM_400000_NS6detail17trampoline_kernelINS0_14default_configENS1_21merge_config_selectorINS0_5tupleIJffEEENS0_10empty_typeEEEZNS1_10merge_implIS3_NS0_12zip_iteratorINS5_IJN6thrust23THRUST_200600_302600_NS6detail15normal_iteratorINSC_10device_ptrIKfEEEESI_EEEEESK_NSA_INS5_IJNSC_16discard_iteratorINSC_11use_defaultEEESN_EEEEEPS7_SQ_SQ_NSC_11hip_rocprim7__merge17predicate_wrapperIffNSC_4lessIfEEEEEE10hipError_tPvRmT0_T1_T2_T3_T4_T5_mmT6_P12ihipStream_tbEUlT_E0_NS1_11comp_targetILNS1_3genE3ELNS1_11target_archE908ELNS1_3gpuE7ELNS1_3repE0EEENS1_30default_config_static_selectorELNS0_4arch9wavefront6targetE0EEEvS11_,"axG",@progbits,_ZN7rocprim17ROCPRIM_400000_NS6detail17trampoline_kernelINS0_14default_configENS1_21merge_config_selectorINS0_5tupleIJffEEENS0_10empty_typeEEEZNS1_10merge_implIS3_NS0_12zip_iteratorINS5_IJN6thrust23THRUST_200600_302600_NS6detail15normal_iteratorINSC_10device_ptrIKfEEEESI_EEEEESK_NSA_INS5_IJNSC_16discard_iteratorINSC_11use_defaultEEESN_EEEEEPS7_SQ_SQ_NSC_11hip_rocprim7__merge17predicate_wrapperIffNSC_4lessIfEEEEEE10hipError_tPvRmT0_T1_T2_T3_T4_T5_mmT6_P12ihipStream_tbEUlT_E0_NS1_11comp_targetILNS1_3genE3ELNS1_11target_archE908ELNS1_3gpuE7ELNS1_3repE0EEENS1_30default_config_static_selectorELNS0_4arch9wavefront6targetE0EEEvS11_,comdat
	.protected	_ZN7rocprim17ROCPRIM_400000_NS6detail17trampoline_kernelINS0_14default_configENS1_21merge_config_selectorINS0_5tupleIJffEEENS0_10empty_typeEEEZNS1_10merge_implIS3_NS0_12zip_iteratorINS5_IJN6thrust23THRUST_200600_302600_NS6detail15normal_iteratorINSC_10device_ptrIKfEEEESI_EEEEESK_NSA_INS5_IJNSC_16discard_iteratorINSC_11use_defaultEEESN_EEEEEPS7_SQ_SQ_NSC_11hip_rocprim7__merge17predicate_wrapperIffNSC_4lessIfEEEEEE10hipError_tPvRmT0_T1_T2_T3_T4_T5_mmT6_P12ihipStream_tbEUlT_E0_NS1_11comp_targetILNS1_3genE3ELNS1_11target_archE908ELNS1_3gpuE7ELNS1_3repE0EEENS1_30default_config_static_selectorELNS0_4arch9wavefront6targetE0EEEvS11_ ; -- Begin function _ZN7rocprim17ROCPRIM_400000_NS6detail17trampoline_kernelINS0_14default_configENS1_21merge_config_selectorINS0_5tupleIJffEEENS0_10empty_typeEEEZNS1_10merge_implIS3_NS0_12zip_iteratorINS5_IJN6thrust23THRUST_200600_302600_NS6detail15normal_iteratorINSC_10device_ptrIKfEEEESI_EEEEESK_NSA_INS5_IJNSC_16discard_iteratorINSC_11use_defaultEEESN_EEEEEPS7_SQ_SQ_NSC_11hip_rocprim7__merge17predicate_wrapperIffNSC_4lessIfEEEEEE10hipError_tPvRmT0_T1_T2_T3_T4_T5_mmT6_P12ihipStream_tbEUlT_E0_NS1_11comp_targetILNS1_3genE3ELNS1_11target_archE908ELNS1_3gpuE7ELNS1_3repE0EEENS1_30default_config_static_selectorELNS0_4arch9wavefront6targetE0EEEvS11_
	.globl	_ZN7rocprim17ROCPRIM_400000_NS6detail17trampoline_kernelINS0_14default_configENS1_21merge_config_selectorINS0_5tupleIJffEEENS0_10empty_typeEEEZNS1_10merge_implIS3_NS0_12zip_iteratorINS5_IJN6thrust23THRUST_200600_302600_NS6detail15normal_iteratorINSC_10device_ptrIKfEEEESI_EEEEESK_NSA_INS5_IJNSC_16discard_iteratorINSC_11use_defaultEEESN_EEEEEPS7_SQ_SQ_NSC_11hip_rocprim7__merge17predicate_wrapperIffNSC_4lessIfEEEEEE10hipError_tPvRmT0_T1_T2_T3_T4_T5_mmT6_P12ihipStream_tbEUlT_E0_NS1_11comp_targetILNS1_3genE3ELNS1_11target_archE908ELNS1_3gpuE7ELNS1_3repE0EEENS1_30default_config_static_selectorELNS0_4arch9wavefront6targetE0EEEvS11_
	.p2align	8
	.type	_ZN7rocprim17ROCPRIM_400000_NS6detail17trampoline_kernelINS0_14default_configENS1_21merge_config_selectorINS0_5tupleIJffEEENS0_10empty_typeEEEZNS1_10merge_implIS3_NS0_12zip_iteratorINS5_IJN6thrust23THRUST_200600_302600_NS6detail15normal_iteratorINSC_10device_ptrIKfEEEESI_EEEEESK_NSA_INS5_IJNSC_16discard_iteratorINSC_11use_defaultEEESN_EEEEEPS7_SQ_SQ_NSC_11hip_rocprim7__merge17predicate_wrapperIffNSC_4lessIfEEEEEE10hipError_tPvRmT0_T1_T2_T3_T4_T5_mmT6_P12ihipStream_tbEUlT_E0_NS1_11comp_targetILNS1_3genE3ELNS1_11target_archE908ELNS1_3gpuE7ELNS1_3repE0EEENS1_30default_config_static_selectorELNS0_4arch9wavefront6targetE0EEEvS11_,@function
_ZN7rocprim17ROCPRIM_400000_NS6detail17trampoline_kernelINS0_14default_configENS1_21merge_config_selectorINS0_5tupleIJffEEENS0_10empty_typeEEEZNS1_10merge_implIS3_NS0_12zip_iteratorINS5_IJN6thrust23THRUST_200600_302600_NS6detail15normal_iteratorINSC_10device_ptrIKfEEEESI_EEEEESK_NSA_INS5_IJNSC_16discard_iteratorINSC_11use_defaultEEESN_EEEEEPS7_SQ_SQ_NSC_11hip_rocprim7__merge17predicate_wrapperIffNSC_4lessIfEEEEEE10hipError_tPvRmT0_T1_T2_T3_T4_T5_mmT6_P12ihipStream_tbEUlT_E0_NS1_11comp_targetILNS1_3genE3ELNS1_11target_archE908ELNS1_3gpuE7ELNS1_3repE0EEENS1_30default_config_static_selectorELNS0_4arch9wavefront6targetE0EEEvS11_: ; @_ZN7rocprim17ROCPRIM_400000_NS6detail17trampoline_kernelINS0_14default_configENS1_21merge_config_selectorINS0_5tupleIJffEEENS0_10empty_typeEEEZNS1_10merge_implIS3_NS0_12zip_iteratorINS5_IJN6thrust23THRUST_200600_302600_NS6detail15normal_iteratorINSC_10device_ptrIKfEEEESI_EEEEESK_NSA_INS5_IJNSC_16discard_iteratorINSC_11use_defaultEEESN_EEEEEPS7_SQ_SQ_NSC_11hip_rocprim7__merge17predicate_wrapperIffNSC_4lessIfEEEEEE10hipError_tPvRmT0_T1_T2_T3_T4_T5_mmT6_P12ihipStream_tbEUlT_E0_NS1_11comp_targetILNS1_3genE3ELNS1_11target_archE908ELNS1_3gpuE7ELNS1_3repE0EEENS1_30default_config_static_selectorELNS0_4arch9wavefront6targetE0EEEvS11_
; %bb.0:
	.section	.rodata,"a",@progbits
	.p2align	6, 0x0
	.amdhsa_kernel _ZN7rocprim17ROCPRIM_400000_NS6detail17trampoline_kernelINS0_14default_configENS1_21merge_config_selectorINS0_5tupleIJffEEENS0_10empty_typeEEEZNS1_10merge_implIS3_NS0_12zip_iteratorINS5_IJN6thrust23THRUST_200600_302600_NS6detail15normal_iteratorINSC_10device_ptrIKfEEEESI_EEEEESK_NSA_INS5_IJNSC_16discard_iteratorINSC_11use_defaultEEESN_EEEEEPS7_SQ_SQ_NSC_11hip_rocprim7__merge17predicate_wrapperIffNSC_4lessIfEEEEEE10hipError_tPvRmT0_T1_T2_T3_T4_T5_mmT6_P12ihipStream_tbEUlT_E0_NS1_11comp_targetILNS1_3genE3ELNS1_11target_archE908ELNS1_3gpuE7ELNS1_3repE0EEENS1_30default_config_static_selectorELNS0_4arch9wavefront6targetE0EEEvS11_
		.amdhsa_group_segment_fixed_size 0
		.amdhsa_private_segment_fixed_size 0
		.amdhsa_kernarg_size 128
		.amdhsa_user_sgpr_count 6
		.amdhsa_user_sgpr_private_segment_buffer 1
		.amdhsa_user_sgpr_dispatch_ptr 0
		.amdhsa_user_sgpr_queue_ptr 0
		.amdhsa_user_sgpr_kernarg_segment_ptr 1
		.amdhsa_user_sgpr_dispatch_id 0
		.amdhsa_user_sgpr_flat_scratch_init 0
		.amdhsa_user_sgpr_private_segment_size 0
		.amdhsa_wavefront_size32 1
		.amdhsa_uses_dynamic_stack 0
		.amdhsa_system_sgpr_private_segment_wavefront_offset 0
		.amdhsa_system_sgpr_workgroup_id_x 1
		.amdhsa_system_sgpr_workgroup_id_y 0
		.amdhsa_system_sgpr_workgroup_id_z 0
		.amdhsa_system_sgpr_workgroup_info 0
		.amdhsa_system_vgpr_workitem_id 0
		.amdhsa_next_free_vgpr 1
		.amdhsa_next_free_sgpr 1
		.amdhsa_reserve_vcc 0
		.amdhsa_reserve_flat_scratch 0
		.amdhsa_float_round_mode_32 0
		.amdhsa_float_round_mode_16_64 0
		.amdhsa_float_denorm_mode_32 3
		.amdhsa_float_denorm_mode_16_64 3
		.amdhsa_dx10_clamp 1
		.amdhsa_ieee_mode 1
		.amdhsa_fp16_overflow 0
		.amdhsa_workgroup_processor_mode 1
		.amdhsa_memory_ordered 1
		.amdhsa_forward_progress 1
		.amdhsa_shared_vgpr_count 0
		.amdhsa_exception_fp_ieee_invalid_op 0
		.amdhsa_exception_fp_denorm_src 0
		.amdhsa_exception_fp_ieee_div_zero 0
		.amdhsa_exception_fp_ieee_overflow 0
		.amdhsa_exception_fp_ieee_underflow 0
		.amdhsa_exception_fp_ieee_inexact 0
		.amdhsa_exception_int_div_zero 0
	.end_amdhsa_kernel
	.section	.text._ZN7rocprim17ROCPRIM_400000_NS6detail17trampoline_kernelINS0_14default_configENS1_21merge_config_selectorINS0_5tupleIJffEEENS0_10empty_typeEEEZNS1_10merge_implIS3_NS0_12zip_iteratorINS5_IJN6thrust23THRUST_200600_302600_NS6detail15normal_iteratorINSC_10device_ptrIKfEEEESI_EEEEESK_NSA_INS5_IJNSC_16discard_iteratorINSC_11use_defaultEEESN_EEEEEPS7_SQ_SQ_NSC_11hip_rocprim7__merge17predicate_wrapperIffNSC_4lessIfEEEEEE10hipError_tPvRmT0_T1_T2_T3_T4_T5_mmT6_P12ihipStream_tbEUlT_E0_NS1_11comp_targetILNS1_3genE3ELNS1_11target_archE908ELNS1_3gpuE7ELNS1_3repE0EEENS1_30default_config_static_selectorELNS0_4arch9wavefront6targetE0EEEvS11_,"axG",@progbits,_ZN7rocprim17ROCPRIM_400000_NS6detail17trampoline_kernelINS0_14default_configENS1_21merge_config_selectorINS0_5tupleIJffEEENS0_10empty_typeEEEZNS1_10merge_implIS3_NS0_12zip_iteratorINS5_IJN6thrust23THRUST_200600_302600_NS6detail15normal_iteratorINSC_10device_ptrIKfEEEESI_EEEEESK_NSA_INS5_IJNSC_16discard_iteratorINSC_11use_defaultEEESN_EEEEEPS7_SQ_SQ_NSC_11hip_rocprim7__merge17predicate_wrapperIffNSC_4lessIfEEEEEE10hipError_tPvRmT0_T1_T2_T3_T4_T5_mmT6_P12ihipStream_tbEUlT_E0_NS1_11comp_targetILNS1_3genE3ELNS1_11target_archE908ELNS1_3gpuE7ELNS1_3repE0EEENS1_30default_config_static_selectorELNS0_4arch9wavefront6targetE0EEEvS11_,comdat
.Lfunc_end509:
	.size	_ZN7rocprim17ROCPRIM_400000_NS6detail17trampoline_kernelINS0_14default_configENS1_21merge_config_selectorINS0_5tupleIJffEEENS0_10empty_typeEEEZNS1_10merge_implIS3_NS0_12zip_iteratorINS5_IJN6thrust23THRUST_200600_302600_NS6detail15normal_iteratorINSC_10device_ptrIKfEEEESI_EEEEESK_NSA_INS5_IJNSC_16discard_iteratorINSC_11use_defaultEEESN_EEEEEPS7_SQ_SQ_NSC_11hip_rocprim7__merge17predicate_wrapperIffNSC_4lessIfEEEEEE10hipError_tPvRmT0_T1_T2_T3_T4_T5_mmT6_P12ihipStream_tbEUlT_E0_NS1_11comp_targetILNS1_3genE3ELNS1_11target_archE908ELNS1_3gpuE7ELNS1_3repE0EEENS1_30default_config_static_selectorELNS0_4arch9wavefront6targetE0EEEvS11_, .Lfunc_end509-_ZN7rocprim17ROCPRIM_400000_NS6detail17trampoline_kernelINS0_14default_configENS1_21merge_config_selectorINS0_5tupleIJffEEENS0_10empty_typeEEEZNS1_10merge_implIS3_NS0_12zip_iteratorINS5_IJN6thrust23THRUST_200600_302600_NS6detail15normal_iteratorINSC_10device_ptrIKfEEEESI_EEEEESK_NSA_INS5_IJNSC_16discard_iteratorINSC_11use_defaultEEESN_EEEEEPS7_SQ_SQ_NSC_11hip_rocprim7__merge17predicate_wrapperIffNSC_4lessIfEEEEEE10hipError_tPvRmT0_T1_T2_T3_T4_T5_mmT6_P12ihipStream_tbEUlT_E0_NS1_11comp_targetILNS1_3genE3ELNS1_11target_archE908ELNS1_3gpuE7ELNS1_3repE0EEENS1_30default_config_static_selectorELNS0_4arch9wavefront6targetE0EEEvS11_
                                        ; -- End function
	.set _ZN7rocprim17ROCPRIM_400000_NS6detail17trampoline_kernelINS0_14default_configENS1_21merge_config_selectorINS0_5tupleIJffEEENS0_10empty_typeEEEZNS1_10merge_implIS3_NS0_12zip_iteratorINS5_IJN6thrust23THRUST_200600_302600_NS6detail15normal_iteratorINSC_10device_ptrIKfEEEESI_EEEEESK_NSA_INS5_IJNSC_16discard_iteratorINSC_11use_defaultEEESN_EEEEEPS7_SQ_SQ_NSC_11hip_rocprim7__merge17predicate_wrapperIffNSC_4lessIfEEEEEE10hipError_tPvRmT0_T1_T2_T3_T4_T5_mmT6_P12ihipStream_tbEUlT_E0_NS1_11comp_targetILNS1_3genE3ELNS1_11target_archE908ELNS1_3gpuE7ELNS1_3repE0EEENS1_30default_config_static_selectorELNS0_4arch9wavefront6targetE0EEEvS11_.num_vgpr, 0
	.set _ZN7rocprim17ROCPRIM_400000_NS6detail17trampoline_kernelINS0_14default_configENS1_21merge_config_selectorINS0_5tupleIJffEEENS0_10empty_typeEEEZNS1_10merge_implIS3_NS0_12zip_iteratorINS5_IJN6thrust23THRUST_200600_302600_NS6detail15normal_iteratorINSC_10device_ptrIKfEEEESI_EEEEESK_NSA_INS5_IJNSC_16discard_iteratorINSC_11use_defaultEEESN_EEEEEPS7_SQ_SQ_NSC_11hip_rocprim7__merge17predicate_wrapperIffNSC_4lessIfEEEEEE10hipError_tPvRmT0_T1_T2_T3_T4_T5_mmT6_P12ihipStream_tbEUlT_E0_NS1_11comp_targetILNS1_3genE3ELNS1_11target_archE908ELNS1_3gpuE7ELNS1_3repE0EEENS1_30default_config_static_selectorELNS0_4arch9wavefront6targetE0EEEvS11_.num_agpr, 0
	.set _ZN7rocprim17ROCPRIM_400000_NS6detail17trampoline_kernelINS0_14default_configENS1_21merge_config_selectorINS0_5tupleIJffEEENS0_10empty_typeEEEZNS1_10merge_implIS3_NS0_12zip_iteratorINS5_IJN6thrust23THRUST_200600_302600_NS6detail15normal_iteratorINSC_10device_ptrIKfEEEESI_EEEEESK_NSA_INS5_IJNSC_16discard_iteratorINSC_11use_defaultEEESN_EEEEEPS7_SQ_SQ_NSC_11hip_rocprim7__merge17predicate_wrapperIffNSC_4lessIfEEEEEE10hipError_tPvRmT0_T1_T2_T3_T4_T5_mmT6_P12ihipStream_tbEUlT_E0_NS1_11comp_targetILNS1_3genE3ELNS1_11target_archE908ELNS1_3gpuE7ELNS1_3repE0EEENS1_30default_config_static_selectorELNS0_4arch9wavefront6targetE0EEEvS11_.numbered_sgpr, 0
	.set _ZN7rocprim17ROCPRIM_400000_NS6detail17trampoline_kernelINS0_14default_configENS1_21merge_config_selectorINS0_5tupleIJffEEENS0_10empty_typeEEEZNS1_10merge_implIS3_NS0_12zip_iteratorINS5_IJN6thrust23THRUST_200600_302600_NS6detail15normal_iteratorINSC_10device_ptrIKfEEEESI_EEEEESK_NSA_INS5_IJNSC_16discard_iteratorINSC_11use_defaultEEESN_EEEEEPS7_SQ_SQ_NSC_11hip_rocprim7__merge17predicate_wrapperIffNSC_4lessIfEEEEEE10hipError_tPvRmT0_T1_T2_T3_T4_T5_mmT6_P12ihipStream_tbEUlT_E0_NS1_11comp_targetILNS1_3genE3ELNS1_11target_archE908ELNS1_3gpuE7ELNS1_3repE0EEENS1_30default_config_static_selectorELNS0_4arch9wavefront6targetE0EEEvS11_.num_named_barrier, 0
	.set _ZN7rocprim17ROCPRIM_400000_NS6detail17trampoline_kernelINS0_14default_configENS1_21merge_config_selectorINS0_5tupleIJffEEENS0_10empty_typeEEEZNS1_10merge_implIS3_NS0_12zip_iteratorINS5_IJN6thrust23THRUST_200600_302600_NS6detail15normal_iteratorINSC_10device_ptrIKfEEEESI_EEEEESK_NSA_INS5_IJNSC_16discard_iteratorINSC_11use_defaultEEESN_EEEEEPS7_SQ_SQ_NSC_11hip_rocprim7__merge17predicate_wrapperIffNSC_4lessIfEEEEEE10hipError_tPvRmT0_T1_T2_T3_T4_T5_mmT6_P12ihipStream_tbEUlT_E0_NS1_11comp_targetILNS1_3genE3ELNS1_11target_archE908ELNS1_3gpuE7ELNS1_3repE0EEENS1_30default_config_static_selectorELNS0_4arch9wavefront6targetE0EEEvS11_.private_seg_size, 0
	.set _ZN7rocprim17ROCPRIM_400000_NS6detail17trampoline_kernelINS0_14default_configENS1_21merge_config_selectorINS0_5tupleIJffEEENS0_10empty_typeEEEZNS1_10merge_implIS3_NS0_12zip_iteratorINS5_IJN6thrust23THRUST_200600_302600_NS6detail15normal_iteratorINSC_10device_ptrIKfEEEESI_EEEEESK_NSA_INS5_IJNSC_16discard_iteratorINSC_11use_defaultEEESN_EEEEEPS7_SQ_SQ_NSC_11hip_rocprim7__merge17predicate_wrapperIffNSC_4lessIfEEEEEE10hipError_tPvRmT0_T1_T2_T3_T4_T5_mmT6_P12ihipStream_tbEUlT_E0_NS1_11comp_targetILNS1_3genE3ELNS1_11target_archE908ELNS1_3gpuE7ELNS1_3repE0EEENS1_30default_config_static_selectorELNS0_4arch9wavefront6targetE0EEEvS11_.uses_vcc, 0
	.set _ZN7rocprim17ROCPRIM_400000_NS6detail17trampoline_kernelINS0_14default_configENS1_21merge_config_selectorINS0_5tupleIJffEEENS0_10empty_typeEEEZNS1_10merge_implIS3_NS0_12zip_iteratorINS5_IJN6thrust23THRUST_200600_302600_NS6detail15normal_iteratorINSC_10device_ptrIKfEEEESI_EEEEESK_NSA_INS5_IJNSC_16discard_iteratorINSC_11use_defaultEEESN_EEEEEPS7_SQ_SQ_NSC_11hip_rocprim7__merge17predicate_wrapperIffNSC_4lessIfEEEEEE10hipError_tPvRmT0_T1_T2_T3_T4_T5_mmT6_P12ihipStream_tbEUlT_E0_NS1_11comp_targetILNS1_3genE3ELNS1_11target_archE908ELNS1_3gpuE7ELNS1_3repE0EEENS1_30default_config_static_selectorELNS0_4arch9wavefront6targetE0EEEvS11_.uses_flat_scratch, 0
	.set _ZN7rocprim17ROCPRIM_400000_NS6detail17trampoline_kernelINS0_14default_configENS1_21merge_config_selectorINS0_5tupleIJffEEENS0_10empty_typeEEEZNS1_10merge_implIS3_NS0_12zip_iteratorINS5_IJN6thrust23THRUST_200600_302600_NS6detail15normal_iteratorINSC_10device_ptrIKfEEEESI_EEEEESK_NSA_INS5_IJNSC_16discard_iteratorINSC_11use_defaultEEESN_EEEEEPS7_SQ_SQ_NSC_11hip_rocprim7__merge17predicate_wrapperIffNSC_4lessIfEEEEEE10hipError_tPvRmT0_T1_T2_T3_T4_T5_mmT6_P12ihipStream_tbEUlT_E0_NS1_11comp_targetILNS1_3genE3ELNS1_11target_archE908ELNS1_3gpuE7ELNS1_3repE0EEENS1_30default_config_static_selectorELNS0_4arch9wavefront6targetE0EEEvS11_.has_dyn_sized_stack, 0
	.set _ZN7rocprim17ROCPRIM_400000_NS6detail17trampoline_kernelINS0_14default_configENS1_21merge_config_selectorINS0_5tupleIJffEEENS0_10empty_typeEEEZNS1_10merge_implIS3_NS0_12zip_iteratorINS5_IJN6thrust23THRUST_200600_302600_NS6detail15normal_iteratorINSC_10device_ptrIKfEEEESI_EEEEESK_NSA_INS5_IJNSC_16discard_iteratorINSC_11use_defaultEEESN_EEEEEPS7_SQ_SQ_NSC_11hip_rocprim7__merge17predicate_wrapperIffNSC_4lessIfEEEEEE10hipError_tPvRmT0_T1_T2_T3_T4_T5_mmT6_P12ihipStream_tbEUlT_E0_NS1_11comp_targetILNS1_3genE3ELNS1_11target_archE908ELNS1_3gpuE7ELNS1_3repE0EEENS1_30default_config_static_selectorELNS0_4arch9wavefront6targetE0EEEvS11_.has_recursion, 0
	.set _ZN7rocprim17ROCPRIM_400000_NS6detail17trampoline_kernelINS0_14default_configENS1_21merge_config_selectorINS0_5tupleIJffEEENS0_10empty_typeEEEZNS1_10merge_implIS3_NS0_12zip_iteratorINS5_IJN6thrust23THRUST_200600_302600_NS6detail15normal_iteratorINSC_10device_ptrIKfEEEESI_EEEEESK_NSA_INS5_IJNSC_16discard_iteratorINSC_11use_defaultEEESN_EEEEEPS7_SQ_SQ_NSC_11hip_rocprim7__merge17predicate_wrapperIffNSC_4lessIfEEEEEE10hipError_tPvRmT0_T1_T2_T3_T4_T5_mmT6_P12ihipStream_tbEUlT_E0_NS1_11comp_targetILNS1_3genE3ELNS1_11target_archE908ELNS1_3gpuE7ELNS1_3repE0EEENS1_30default_config_static_selectorELNS0_4arch9wavefront6targetE0EEEvS11_.has_indirect_call, 0
	.section	.AMDGPU.csdata,"",@progbits
; Kernel info:
; codeLenInByte = 0
; TotalNumSgprs: 0
; NumVgprs: 0
; ScratchSize: 0
; MemoryBound: 0
; FloatMode: 240
; IeeeMode: 1
; LDSByteSize: 0 bytes/workgroup (compile time only)
; SGPRBlocks: 0
; VGPRBlocks: 0
; NumSGPRsForWavesPerEU: 1
; NumVGPRsForWavesPerEU: 1
; Occupancy: 16
; WaveLimiterHint : 0
; COMPUTE_PGM_RSRC2:SCRATCH_EN: 0
; COMPUTE_PGM_RSRC2:USER_SGPR: 6
; COMPUTE_PGM_RSRC2:TRAP_HANDLER: 0
; COMPUTE_PGM_RSRC2:TGID_X_EN: 1
; COMPUTE_PGM_RSRC2:TGID_Y_EN: 0
; COMPUTE_PGM_RSRC2:TGID_Z_EN: 0
; COMPUTE_PGM_RSRC2:TIDIG_COMP_CNT: 0
	.section	.text._ZN7rocprim17ROCPRIM_400000_NS6detail17trampoline_kernelINS0_14default_configENS1_21merge_config_selectorINS0_5tupleIJffEEENS0_10empty_typeEEEZNS1_10merge_implIS3_NS0_12zip_iteratorINS5_IJN6thrust23THRUST_200600_302600_NS6detail15normal_iteratorINSC_10device_ptrIKfEEEESI_EEEEESK_NSA_INS5_IJNSC_16discard_iteratorINSC_11use_defaultEEESN_EEEEEPS7_SQ_SQ_NSC_11hip_rocprim7__merge17predicate_wrapperIffNSC_4lessIfEEEEEE10hipError_tPvRmT0_T1_T2_T3_T4_T5_mmT6_P12ihipStream_tbEUlT_E0_NS1_11comp_targetILNS1_3genE2ELNS1_11target_archE906ELNS1_3gpuE6ELNS1_3repE0EEENS1_30default_config_static_selectorELNS0_4arch9wavefront6targetE0EEEvS11_,"axG",@progbits,_ZN7rocprim17ROCPRIM_400000_NS6detail17trampoline_kernelINS0_14default_configENS1_21merge_config_selectorINS0_5tupleIJffEEENS0_10empty_typeEEEZNS1_10merge_implIS3_NS0_12zip_iteratorINS5_IJN6thrust23THRUST_200600_302600_NS6detail15normal_iteratorINSC_10device_ptrIKfEEEESI_EEEEESK_NSA_INS5_IJNSC_16discard_iteratorINSC_11use_defaultEEESN_EEEEEPS7_SQ_SQ_NSC_11hip_rocprim7__merge17predicate_wrapperIffNSC_4lessIfEEEEEE10hipError_tPvRmT0_T1_T2_T3_T4_T5_mmT6_P12ihipStream_tbEUlT_E0_NS1_11comp_targetILNS1_3genE2ELNS1_11target_archE906ELNS1_3gpuE6ELNS1_3repE0EEENS1_30default_config_static_selectorELNS0_4arch9wavefront6targetE0EEEvS11_,comdat
	.protected	_ZN7rocprim17ROCPRIM_400000_NS6detail17trampoline_kernelINS0_14default_configENS1_21merge_config_selectorINS0_5tupleIJffEEENS0_10empty_typeEEEZNS1_10merge_implIS3_NS0_12zip_iteratorINS5_IJN6thrust23THRUST_200600_302600_NS6detail15normal_iteratorINSC_10device_ptrIKfEEEESI_EEEEESK_NSA_INS5_IJNSC_16discard_iteratorINSC_11use_defaultEEESN_EEEEEPS7_SQ_SQ_NSC_11hip_rocprim7__merge17predicate_wrapperIffNSC_4lessIfEEEEEE10hipError_tPvRmT0_T1_T2_T3_T4_T5_mmT6_P12ihipStream_tbEUlT_E0_NS1_11comp_targetILNS1_3genE2ELNS1_11target_archE906ELNS1_3gpuE6ELNS1_3repE0EEENS1_30default_config_static_selectorELNS0_4arch9wavefront6targetE0EEEvS11_ ; -- Begin function _ZN7rocprim17ROCPRIM_400000_NS6detail17trampoline_kernelINS0_14default_configENS1_21merge_config_selectorINS0_5tupleIJffEEENS0_10empty_typeEEEZNS1_10merge_implIS3_NS0_12zip_iteratorINS5_IJN6thrust23THRUST_200600_302600_NS6detail15normal_iteratorINSC_10device_ptrIKfEEEESI_EEEEESK_NSA_INS5_IJNSC_16discard_iteratorINSC_11use_defaultEEESN_EEEEEPS7_SQ_SQ_NSC_11hip_rocprim7__merge17predicate_wrapperIffNSC_4lessIfEEEEEE10hipError_tPvRmT0_T1_T2_T3_T4_T5_mmT6_P12ihipStream_tbEUlT_E0_NS1_11comp_targetILNS1_3genE2ELNS1_11target_archE906ELNS1_3gpuE6ELNS1_3repE0EEENS1_30default_config_static_selectorELNS0_4arch9wavefront6targetE0EEEvS11_
	.globl	_ZN7rocprim17ROCPRIM_400000_NS6detail17trampoline_kernelINS0_14default_configENS1_21merge_config_selectorINS0_5tupleIJffEEENS0_10empty_typeEEEZNS1_10merge_implIS3_NS0_12zip_iteratorINS5_IJN6thrust23THRUST_200600_302600_NS6detail15normal_iteratorINSC_10device_ptrIKfEEEESI_EEEEESK_NSA_INS5_IJNSC_16discard_iteratorINSC_11use_defaultEEESN_EEEEEPS7_SQ_SQ_NSC_11hip_rocprim7__merge17predicate_wrapperIffNSC_4lessIfEEEEEE10hipError_tPvRmT0_T1_T2_T3_T4_T5_mmT6_P12ihipStream_tbEUlT_E0_NS1_11comp_targetILNS1_3genE2ELNS1_11target_archE906ELNS1_3gpuE6ELNS1_3repE0EEENS1_30default_config_static_selectorELNS0_4arch9wavefront6targetE0EEEvS11_
	.p2align	8
	.type	_ZN7rocprim17ROCPRIM_400000_NS6detail17trampoline_kernelINS0_14default_configENS1_21merge_config_selectorINS0_5tupleIJffEEENS0_10empty_typeEEEZNS1_10merge_implIS3_NS0_12zip_iteratorINS5_IJN6thrust23THRUST_200600_302600_NS6detail15normal_iteratorINSC_10device_ptrIKfEEEESI_EEEEESK_NSA_INS5_IJNSC_16discard_iteratorINSC_11use_defaultEEESN_EEEEEPS7_SQ_SQ_NSC_11hip_rocprim7__merge17predicate_wrapperIffNSC_4lessIfEEEEEE10hipError_tPvRmT0_T1_T2_T3_T4_T5_mmT6_P12ihipStream_tbEUlT_E0_NS1_11comp_targetILNS1_3genE2ELNS1_11target_archE906ELNS1_3gpuE6ELNS1_3repE0EEENS1_30default_config_static_selectorELNS0_4arch9wavefront6targetE0EEEvS11_,@function
_ZN7rocprim17ROCPRIM_400000_NS6detail17trampoline_kernelINS0_14default_configENS1_21merge_config_selectorINS0_5tupleIJffEEENS0_10empty_typeEEEZNS1_10merge_implIS3_NS0_12zip_iteratorINS5_IJN6thrust23THRUST_200600_302600_NS6detail15normal_iteratorINSC_10device_ptrIKfEEEESI_EEEEESK_NSA_INS5_IJNSC_16discard_iteratorINSC_11use_defaultEEESN_EEEEEPS7_SQ_SQ_NSC_11hip_rocprim7__merge17predicate_wrapperIffNSC_4lessIfEEEEEE10hipError_tPvRmT0_T1_T2_T3_T4_T5_mmT6_P12ihipStream_tbEUlT_E0_NS1_11comp_targetILNS1_3genE2ELNS1_11target_archE906ELNS1_3gpuE6ELNS1_3repE0EEENS1_30default_config_static_selectorELNS0_4arch9wavefront6targetE0EEEvS11_: ; @_ZN7rocprim17ROCPRIM_400000_NS6detail17trampoline_kernelINS0_14default_configENS1_21merge_config_selectorINS0_5tupleIJffEEENS0_10empty_typeEEEZNS1_10merge_implIS3_NS0_12zip_iteratorINS5_IJN6thrust23THRUST_200600_302600_NS6detail15normal_iteratorINSC_10device_ptrIKfEEEESI_EEEEESK_NSA_INS5_IJNSC_16discard_iteratorINSC_11use_defaultEEESN_EEEEEPS7_SQ_SQ_NSC_11hip_rocprim7__merge17predicate_wrapperIffNSC_4lessIfEEEEEE10hipError_tPvRmT0_T1_T2_T3_T4_T5_mmT6_P12ihipStream_tbEUlT_E0_NS1_11comp_targetILNS1_3genE2ELNS1_11target_archE906ELNS1_3gpuE6ELNS1_3repE0EEENS1_30default_config_static_selectorELNS0_4arch9wavefront6targetE0EEEvS11_
; %bb.0:
	.section	.rodata,"a",@progbits
	.p2align	6, 0x0
	.amdhsa_kernel _ZN7rocprim17ROCPRIM_400000_NS6detail17trampoline_kernelINS0_14default_configENS1_21merge_config_selectorINS0_5tupleIJffEEENS0_10empty_typeEEEZNS1_10merge_implIS3_NS0_12zip_iteratorINS5_IJN6thrust23THRUST_200600_302600_NS6detail15normal_iteratorINSC_10device_ptrIKfEEEESI_EEEEESK_NSA_INS5_IJNSC_16discard_iteratorINSC_11use_defaultEEESN_EEEEEPS7_SQ_SQ_NSC_11hip_rocprim7__merge17predicate_wrapperIffNSC_4lessIfEEEEEE10hipError_tPvRmT0_T1_T2_T3_T4_T5_mmT6_P12ihipStream_tbEUlT_E0_NS1_11comp_targetILNS1_3genE2ELNS1_11target_archE906ELNS1_3gpuE6ELNS1_3repE0EEENS1_30default_config_static_selectorELNS0_4arch9wavefront6targetE0EEEvS11_
		.amdhsa_group_segment_fixed_size 0
		.amdhsa_private_segment_fixed_size 0
		.amdhsa_kernarg_size 128
		.amdhsa_user_sgpr_count 6
		.amdhsa_user_sgpr_private_segment_buffer 1
		.amdhsa_user_sgpr_dispatch_ptr 0
		.amdhsa_user_sgpr_queue_ptr 0
		.amdhsa_user_sgpr_kernarg_segment_ptr 1
		.amdhsa_user_sgpr_dispatch_id 0
		.amdhsa_user_sgpr_flat_scratch_init 0
		.amdhsa_user_sgpr_private_segment_size 0
		.amdhsa_wavefront_size32 1
		.amdhsa_uses_dynamic_stack 0
		.amdhsa_system_sgpr_private_segment_wavefront_offset 0
		.amdhsa_system_sgpr_workgroup_id_x 1
		.amdhsa_system_sgpr_workgroup_id_y 0
		.amdhsa_system_sgpr_workgroup_id_z 0
		.amdhsa_system_sgpr_workgroup_info 0
		.amdhsa_system_vgpr_workitem_id 0
		.amdhsa_next_free_vgpr 1
		.amdhsa_next_free_sgpr 1
		.amdhsa_reserve_vcc 0
		.amdhsa_reserve_flat_scratch 0
		.amdhsa_float_round_mode_32 0
		.amdhsa_float_round_mode_16_64 0
		.amdhsa_float_denorm_mode_32 3
		.amdhsa_float_denorm_mode_16_64 3
		.amdhsa_dx10_clamp 1
		.amdhsa_ieee_mode 1
		.amdhsa_fp16_overflow 0
		.amdhsa_workgroup_processor_mode 1
		.amdhsa_memory_ordered 1
		.amdhsa_forward_progress 1
		.amdhsa_shared_vgpr_count 0
		.amdhsa_exception_fp_ieee_invalid_op 0
		.amdhsa_exception_fp_denorm_src 0
		.amdhsa_exception_fp_ieee_div_zero 0
		.amdhsa_exception_fp_ieee_overflow 0
		.amdhsa_exception_fp_ieee_underflow 0
		.amdhsa_exception_fp_ieee_inexact 0
		.amdhsa_exception_int_div_zero 0
	.end_amdhsa_kernel
	.section	.text._ZN7rocprim17ROCPRIM_400000_NS6detail17trampoline_kernelINS0_14default_configENS1_21merge_config_selectorINS0_5tupleIJffEEENS0_10empty_typeEEEZNS1_10merge_implIS3_NS0_12zip_iteratorINS5_IJN6thrust23THRUST_200600_302600_NS6detail15normal_iteratorINSC_10device_ptrIKfEEEESI_EEEEESK_NSA_INS5_IJNSC_16discard_iteratorINSC_11use_defaultEEESN_EEEEEPS7_SQ_SQ_NSC_11hip_rocprim7__merge17predicate_wrapperIffNSC_4lessIfEEEEEE10hipError_tPvRmT0_T1_T2_T3_T4_T5_mmT6_P12ihipStream_tbEUlT_E0_NS1_11comp_targetILNS1_3genE2ELNS1_11target_archE906ELNS1_3gpuE6ELNS1_3repE0EEENS1_30default_config_static_selectorELNS0_4arch9wavefront6targetE0EEEvS11_,"axG",@progbits,_ZN7rocprim17ROCPRIM_400000_NS6detail17trampoline_kernelINS0_14default_configENS1_21merge_config_selectorINS0_5tupleIJffEEENS0_10empty_typeEEEZNS1_10merge_implIS3_NS0_12zip_iteratorINS5_IJN6thrust23THRUST_200600_302600_NS6detail15normal_iteratorINSC_10device_ptrIKfEEEESI_EEEEESK_NSA_INS5_IJNSC_16discard_iteratorINSC_11use_defaultEEESN_EEEEEPS7_SQ_SQ_NSC_11hip_rocprim7__merge17predicate_wrapperIffNSC_4lessIfEEEEEE10hipError_tPvRmT0_T1_T2_T3_T4_T5_mmT6_P12ihipStream_tbEUlT_E0_NS1_11comp_targetILNS1_3genE2ELNS1_11target_archE906ELNS1_3gpuE6ELNS1_3repE0EEENS1_30default_config_static_selectorELNS0_4arch9wavefront6targetE0EEEvS11_,comdat
.Lfunc_end510:
	.size	_ZN7rocprim17ROCPRIM_400000_NS6detail17trampoline_kernelINS0_14default_configENS1_21merge_config_selectorINS0_5tupleIJffEEENS0_10empty_typeEEEZNS1_10merge_implIS3_NS0_12zip_iteratorINS5_IJN6thrust23THRUST_200600_302600_NS6detail15normal_iteratorINSC_10device_ptrIKfEEEESI_EEEEESK_NSA_INS5_IJNSC_16discard_iteratorINSC_11use_defaultEEESN_EEEEEPS7_SQ_SQ_NSC_11hip_rocprim7__merge17predicate_wrapperIffNSC_4lessIfEEEEEE10hipError_tPvRmT0_T1_T2_T3_T4_T5_mmT6_P12ihipStream_tbEUlT_E0_NS1_11comp_targetILNS1_3genE2ELNS1_11target_archE906ELNS1_3gpuE6ELNS1_3repE0EEENS1_30default_config_static_selectorELNS0_4arch9wavefront6targetE0EEEvS11_, .Lfunc_end510-_ZN7rocprim17ROCPRIM_400000_NS6detail17trampoline_kernelINS0_14default_configENS1_21merge_config_selectorINS0_5tupleIJffEEENS0_10empty_typeEEEZNS1_10merge_implIS3_NS0_12zip_iteratorINS5_IJN6thrust23THRUST_200600_302600_NS6detail15normal_iteratorINSC_10device_ptrIKfEEEESI_EEEEESK_NSA_INS5_IJNSC_16discard_iteratorINSC_11use_defaultEEESN_EEEEEPS7_SQ_SQ_NSC_11hip_rocprim7__merge17predicate_wrapperIffNSC_4lessIfEEEEEE10hipError_tPvRmT0_T1_T2_T3_T4_T5_mmT6_P12ihipStream_tbEUlT_E0_NS1_11comp_targetILNS1_3genE2ELNS1_11target_archE906ELNS1_3gpuE6ELNS1_3repE0EEENS1_30default_config_static_selectorELNS0_4arch9wavefront6targetE0EEEvS11_
                                        ; -- End function
	.set _ZN7rocprim17ROCPRIM_400000_NS6detail17trampoline_kernelINS0_14default_configENS1_21merge_config_selectorINS0_5tupleIJffEEENS0_10empty_typeEEEZNS1_10merge_implIS3_NS0_12zip_iteratorINS5_IJN6thrust23THRUST_200600_302600_NS6detail15normal_iteratorINSC_10device_ptrIKfEEEESI_EEEEESK_NSA_INS5_IJNSC_16discard_iteratorINSC_11use_defaultEEESN_EEEEEPS7_SQ_SQ_NSC_11hip_rocprim7__merge17predicate_wrapperIffNSC_4lessIfEEEEEE10hipError_tPvRmT0_T1_T2_T3_T4_T5_mmT6_P12ihipStream_tbEUlT_E0_NS1_11comp_targetILNS1_3genE2ELNS1_11target_archE906ELNS1_3gpuE6ELNS1_3repE0EEENS1_30default_config_static_selectorELNS0_4arch9wavefront6targetE0EEEvS11_.num_vgpr, 0
	.set _ZN7rocprim17ROCPRIM_400000_NS6detail17trampoline_kernelINS0_14default_configENS1_21merge_config_selectorINS0_5tupleIJffEEENS0_10empty_typeEEEZNS1_10merge_implIS3_NS0_12zip_iteratorINS5_IJN6thrust23THRUST_200600_302600_NS6detail15normal_iteratorINSC_10device_ptrIKfEEEESI_EEEEESK_NSA_INS5_IJNSC_16discard_iteratorINSC_11use_defaultEEESN_EEEEEPS7_SQ_SQ_NSC_11hip_rocprim7__merge17predicate_wrapperIffNSC_4lessIfEEEEEE10hipError_tPvRmT0_T1_T2_T3_T4_T5_mmT6_P12ihipStream_tbEUlT_E0_NS1_11comp_targetILNS1_3genE2ELNS1_11target_archE906ELNS1_3gpuE6ELNS1_3repE0EEENS1_30default_config_static_selectorELNS0_4arch9wavefront6targetE0EEEvS11_.num_agpr, 0
	.set _ZN7rocprim17ROCPRIM_400000_NS6detail17trampoline_kernelINS0_14default_configENS1_21merge_config_selectorINS0_5tupleIJffEEENS0_10empty_typeEEEZNS1_10merge_implIS3_NS0_12zip_iteratorINS5_IJN6thrust23THRUST_200600_302600_NS6detail15normal_iteratorINSC_10device_ptrIKfEEEESI_EEEEESK_NSA_INS5_IJNSC_16discard_iteratorINSC_11use_defaultEEESN_EEEEEPS7_SQ_SQ_NSC_11hip_rocprim7__merge17predicate_wrapperIffNSC_4lessIfEEEEEE10hipError_tPvRmT0_T1_T2_T3_T4_T5_mmT6_P12ihipStream_tbEUlT_E0_NS1_11comp_targetILNS1_3genE2ELNS1_11target_archE906ELNS1_3gpuE6ELNS1_3repE0EEENS1_30default_config_static_selectorELNS0_4arch9wavefront6targetE0EEEvS11_.numbered_sgpr, 0
	.set _ZN7rocprim17ROCPRIM_400000_NS6detail17trampoline_kernelINS0_14default_configENS1_21merge_config_selectorINS0_5tupleIJffEEENS0_10empty_typeEEEZNS1_10merge_implIS3_NS0_12zip_iteratorINS5_IJN6thrust23THRUST_200600_302600_NS6detail15normal_iteratorINSC_10device_ptrIKfEEEESI_EEEEESK_NSA_INS5_IJNSC_16discard_iteratorINSC_11use_defaultEEESN_EEEEEPS7_SQ_SQ_NSC_11hip_rocprim7__merge17predicate_wrapperIffNSC_4lessIfEEEEEE10hipError_tPvRmT0_T1_T2_T3_T4_T5_mmT6_P12ihipStream_tbEUlT_E0_NS1_11comp_targetILNS1_3genE2ELNS1_11target_archE906ELNS1_3gpuE6ELNS1_3repE0EEENS1_30default_config_static_selectorELNS0_4arch9wavefront6targetE0EEEvS11_.num_named_barrier, 0
	.set _ZN7rocprim17ROCPRIM_400000_NS6detail17trampoline_kernelINS0_14default_configENS1_21merge_config_selectorINS0_5tupleIJffEEENS0_10empty_typeEEEZNS1_10merge_implIS3_NS0_12zip_iteratorINS5_IJN6thrust23THRUST_200600_302600_NS6detail15normal_iteratorINSC_10device_ptrIKfEEEESI_EEEEESK_NSA_INS5_IJNSC_16discard_iteratorINSC_11use_defaultEEESN_EEEEEPS7_SQ_SQ_NSC_11hip_rocprim7__merge17predicate_wrapperIffNSC_4lessIfEEEEEE10hipError_tPvRmT0_T1_T2_T3_T4_T5_mmT6_P12ihipStream_tbEUlT_E0_NS1_11comp_targetILNS1_3genE2ELNS1_11target_archE906ELNS1_3gpuE6ELNS1_3repE0EEENS1_30default_config_static_selectorELNS0_4arch9wavefront6targetE0EEEvS11_.private_seg_size, 0
	.set _ZN7rocprim17ROCPRIM_400000_NS6detail17trampoline_kernelINS0_14default_configENS1_21merge_config_selectorINS0_5tupleIJffEEENS0_10empty_typeEEEZNS1_10merge_implIS3_NS0_12zip_iteratorINS5_IJN6thrust23THRUST_200600_302600_NS6detail15normal_iteratorINSC_10device_ptrIKfEEEESI_EEEEESK_NSA_INS5_IJNSC_16discard_iteratorINSC_11use_defaultEEESN_EEEEEPS7_SQ_SQ_NSC_11hip_rocprim7__merge17predicate_wrapperIffNSC_4lessIfEEEEEE10hipError_tPvRmT0_T1_T2_T3_T4_T5_mmT6_P12ihipStream_tbEUlT_E0_NS1_11comp_targetILNS1_3genE2ELNS1_11target_archE906ELNS1_3gpuE6ELNS1_3repE0EEENS1_30default_config_static_selectorELNS0_4arch9wavefront6targetE0EEEvS11_.uses_vcc, 0
	.set _ZN7rocprim17ROCPRIM_400000_NS6detail17trampoline_kernelINS0_14default_configENS1_21merge_config_selectorINS0_5tupleIJffEEENS0_10empty_typeEEEZNS1_10merge_implIS3_NS0_12zip_iteratorINS5_IJN6thrust23THRUST_200600_302600_NS6detail15normal_iteratorINSC_10device_ptrIKfEEEESI_EEEEESK_NSA_INS5_IJNSC_16discard_iteratorINSC_11use_defaultEEESN_EEEEEPS7_SQ_SQ_NSC_11hip_rocprim7__merge17predicate_wrapperIffNSC_4lessIfEEEEEE10hipError_tPvRmT0_T1_T2_T3_T4_T5_mmT6_P12ihipStream_tbEUlT_E0_NS1_11comp_targetILNS1_3genE2ELNS1_11target_archE906ELNS1_3gpuE6ELNS1_3repE0EEENS1_30default_config_static_selectorELNS0_4arch9wavefront6targetE0EEEvS11_.uses_flat_scratch, 0
	.set _ZN7rocprim17ROCPRIM_400000_NS6detail17trampoline_kernelINS0_14default_configENS1_21merge_config_selectorINS0_5tupleIJffEEENS0_10empty_typeEEEZNS1_10merge_implIS3_NS0_12zip_iteratorINS5_IJN6thrust23THRUST_200600_302600_NS6detail15normal_iteratorINSC_10device_ptrIKfEEEESI_EEEEESK_NSA_INS5_IJNSC_16discard_iteratorINSC_11use_defaultEEESN_EEEEEPS7_SQ_SQ_NSC_11hip_rocprim7__merge17predicate_wrapperIffNSC_4lessIfEEEEEE10hipError_tPvRmT0_T1_T2_T3_T4_T5_mmT6_P12ihipStream_tbEUlT_E0_NS1_11comp_targetILNS1_3genE2ELNS1_11target_archE906ELNS1_3gpuE6ELNS1_3repE0EEENS1_30default_config_static_selectorELNS0_4arch9wavefront6targetE0EEEvS11_.has_dyn_sized_stack, 0
	.set _ZN7rocprim17ROCPRIM_400000_NS6detail17trampoline_kernelINS0_14default_configENS1_21merge_config_selectorINS0_5tupleIJffEEENS0_10empty_typeEEEZNS1_10merge_implIS3_NS0_12zip_iteratorINS5_IJN6thrust23THRUST_200600_302600_NS6detail15normal_iteratorINSC_10device_ptrIKfEEEESI_EEEEESK_NSA_INS5_IJNSC_16discard_iteratorINSC_11use_defaultEEESN_EEEEEPS7_SQ_SQ_NSC_11hip_rocprim7__merge17predicate_wrapperIffNSC_4lessIfEEEEEE10hipError_tPvRmT0_T1_T2_T3_T4_T5_mmT6_P12ihipStream_tbEUlT_E0_NS1_11comp_targetILNS1_3genE2ELNS1_11target_archE906ELNS1_3gpuE6ELNS1_3repE0EEENS1_30default_config_static_selectorELNS0_4arch9wavefront6targetE0EEEvS11_.has_recursion, 0
	.set _ZN7rocprim17ROCPRIM_400000_NS6detail17trampoline_kernelINS0_14default_configENS1_21merge_config_selectorINS0_5tupleIJffEEENS0_10empty_typeEEEZNS1_10merge_implIS3_NS0_12zip_iteratorINS5_IJN6thrust23THRUST_200600_302600_NS6detail15normal_iteratorINSC_10device_ptrIKfEEEESI_EEEEESK_NSA_INS5_IJNSC_16discard_iteratorINSC_11use_defaultEEESN_EEEEEPS7_SQ_SQ_NSC_11hip_rocprim7__merge17predicate_wrapperIffNSC_4lessIfEEEEEE10hipError_tPvRmT0_T1_T2_T3_T4_T5_mmT6_P12ihipStream_tbEUlT_E0_NS1_11comp_targetILNS1_3genE2ELNS1_11target_archE906ELNS1_3gpuE6ELNS1_3repE0EEENS1_30default_config_static_selectorELNS0_4arch9wavefront6targetE0EEEvS11_.has_indirect_call, 0
	.section	.AMDGPU.csdata,"",@progbits
; Kernel info:
; codeLenInByte = 0
; TotalNumSgprs: 0
; NumVgprs: 0
; ScratchSize: 0
; MemoryBound: 0
; FloatMode: 240
; IeeeMode: 1
; LDSByteSize: 0 bytes/workgroup (compile time only)
; SGPRBlocks: 0
; VGPRBlocks: 0
; NumSGPRsForWavesPerEU: 1
; NumVGPRsForWavesPerEU: 1
; Occupancy: 16
; WaveLimiterHint : 0
; COMPUTE_PGM_RSRC2:SCRATCH_EN: 0
; COMPUTE_PGM_RSRC2:USER_SGPR: 6
; COMPUTE_PGM_RSRC2:TRAP_HANDLER: 0
; COMPUTE_PGM_RSRC2:TGID_X_EN: 1
; COMPUTE_PGM_RSRC2:TGID_Y_EN: 0
; COMPUTE_PGM_RSRC2:TGID_Z_EN: 0
; COMPUTE_PGM_RSRC2:TIDIG_COMP_CNT: 0
	.section	.text._ZN7rocprim17ROCPRIM_400000_NS6detail17trampoline_kernelINS0_14default_configENS1_21merge_config_selectorINS0_5tupleIJffEEENS0_10empty_typeEEEZNS1_10merge_implIS3_NS0_12zip_iteratorINS5_IJN6thrust23THRUST_200600_302600_NS6detail15normal_iteratorINSC_10device_ptrIKfEEEESI_EEEEESK_NSA_INS5_IJNSC_16discard_iteratorINSC_11use_defaultEEESN_EEEEEPS7_SQ_SQ_NSC_11hip_rocprim7__merge17predicate_wrapperIffNSC_4lessIfEEEEEE10hipError_tPvRmT0_T1_T2_T3_T4_T5_mmT6_P12ihipStream_tbEUlT_E0_NS1_11comp_targetILNS1_3genE10ELNS1_11target_archE1201ELNS1_3gpuE5ELNS1_3repE0EEENS1_30default_config_static_selectorELNS0_4arch9wavefront6targetE0EEEvS11_,"axG",@progbits,_ZN7rocprim17ROCPRIM_400000_NS6detail17trampoline_kernelINS0_14default_configENS1_21merge_config_selectorINS0_5tupleIJffEEENS0_10empty_typeEEEZNS1_10merge_implIS3_NS0_12zip_iteratorINS5_IJN6thrust23THRUST_200600_302600_NS6detail15normal_iteratorINSC_10device_ptrIKfEEEESI_EEEEESK_NSA_INS5_IJNSC_16discard_iteratorINSC_11use_defaultEEESN_EEEEEPS7_SQ_SQ_NSC_11hip_rocprim7__merge17predicate_wrapperIffNSC_4lessIfEEEEEE10hipError_tPvRmT0_T1_T2_T3_T4_T5_mmT6_P12ihipStream_tbEUlT_E0_NS1_11comp_targetILNS1_3genE10ELNS1_11target_archE1201ELNS1_3gpuE5ELNS1_3repE0EEENS1_30default_config_static_selectorELNS0_4arch9wavefront6targetE0EEEvS11_,comdat
	.protected	_ZN7rocprim17ROCPRIM_400000_NS6detail17trampoline_kernelINS0_14default_configENS1_21merge_config_selectorINS0_5tupleIJffEEENS0_10empty_typeEEEZNS1_10merge_implIS3_NS0_12zip_iteratorINS5_IJN6thrust23THRUST_200600_302600_NS6detail15normal_iteratorINSC_10device_ptrIKfEEEESI_EEEEESK_NSA_INS5_IJNSC_16discard_iteratorINSC_11use_defaultEEESN_EEEEEPS7_SQ_SQ_NSC_11hip_rocprim7__merge17predicate_wrapperIffNSC_4lessIfEEEEEE10hipError_tPvRmT0_T1_T2_T3_T4_T5_mmT6_P12ihipStream_tbEUlT_E0_NS1_11comp_targetILNS1_3genE10ELNS1_11target_archE1201ELNS1_3gpuE5ELNS1_3repE0EEENS1_30default_config_static_selectorELNS0_4arch9wavefront6targetE0EEEvS11_ ; -- Begin function _ZN7rocprim17ROCPRIM_400000_NS6detail17trampoline_kernelINS0_14default_configENS1_21merge_config_selectorINS0_5tupleIJffEEENS0_10empty_typeEEEZNS1_10merge_implIS3_NS0_12zip_iteratorINS5_IJN6thrust23THRUST_200600_302600_NS6detail15normal_iteratorINSC_10device_ptrIKfEEEESI_EEEEESK_NSA_INS5_IJNSC_16discard_iteratorINSC_11use_defaultEEESN_EEEEEPS7_SQ_SQ_NSC_11hip_rocprim7__merge17predicate_wrapperIffNSC_4lessIfEEEEEE10hipError_tPvRmT0_T1_T2_T3_T4_T5_mmT6_P12ihipStream_tbEUlT_E0_NS1_11comp_targetILNS1_3genE10ELNS1_11target_archE1201ELNS1_3gpuE5ELNS1_3repE0EEENS1_30default_config_static_selectorELNS0_4arch9wavefront6targetE0EEEvS11_
	.globl	_ZN7rocprim17ROCPRIM_400000_NS6detail17trampoline_kernelINS0_14default_configENS1_21merge_config_selectorINS0_5tupleIJffEEENS0_10empty_typeEEEZNS1_10merge_implIS3_NS0_12zip_iteratorINS5_IJN6thrust23THRUST_200600_302600_NS6detail15normal_iteratorINSC_10device_ptrIKfEEEESI_EEEEESK_NSA_INS5_IJNSC_16discard_iteratorINSC_11use_defaultEEESN_EEEEEPS7_SQ_SQ_NSC_11hip_rocprim7__merge17predicate_wrapperIffNSC_4lessIfEEEEEE10hipError_tPvRmT0_T1_T2_T3_T4_T5_mmT6_P12ihipStream_tbEUlT_E0_NS1_11comp_targetILNS1_3genE10ELNS1_11target_archE1201ELNS1_3gpuE5ELNS1_3repE0EEENS1_30default_config_static_selectorELNS0_4arch9wavefront6targetE0EEEvS11_
	.p2align	8
	.type	_ZN7rocprim17ROCPRIM_400000_NS6detail17trampoline_kernelINS0_14default_configENS1_21merge_config_selectorINS0_5tupleIJffEEENS0_10empty_typeEEEZNS1_10merge_implIS3_NS0_12zip_iteratorINS5_IJN6thrust23THRUST_200600_302600_NS6detail15normal_iteratorINSC_10device_ptrIKfEEEESI_EEEEESK_NSA_INS5_IJNSC_16discard_iteratorINSC_11use_defaultEEESN_EEEEEPS7_SQ_SQ_NSC_11hip_rocprim7__merge17predicate_wrapperIffNSC_4lessIfEEEEEE10hipError_tPvRmT0_T1_T2_T3_T4_T5_mmT6_P12ihipStream_tbEUlT_E0_NS1_11comp_targetILNS1_3genE10ELNS1_11target_archE1201ELNS1_3gpuE5ELNS1_3repE0EEENS1_30default_config_static_selectorELNS0_4arch9wavefront6targetE0EEEvS11_,@function
_ZN7rocprim17ROCPRIM_400000_NS6detail17trampoline_kernelINS0_14default_configENS1_21merge_config_selectorINS0_5tupleIJffEEENS0_10empty_typeEEEZNS1_10merge_implIS3_NS0_12zip_iteratorINS5_IJN6thrust23THRUST_200600_302600_NS6detail15normal_iteratorINSC_10device_ptrIKfEEEESI_EEEEESK_NSA_INS5_IJNSC_16discard_iteratorINSC_11use_defaultEEESN_EEEEEPS7_SQ_SQ_NSC_11hip_rocprim7__merge17predicate_wrapperIffNSC_4lessIfEEEEEE10hipError_tPvRmT0_T1_T2_T3_T4_T5_mmT6_P12ihipStream_tbEUlT_E0_NS1_11comp_targetILNS1_3genE10ELNS1_11target_archE1201ELNS1_3gpuE5ELNS1_3repE0EEENS1_30default_config_static_selectorELNS0_4arch9wavefront6targetE0EEEvS11_: ; @_ZN7rocprim17ROCPRIM_400000_NS6detail17trampoline_kernelINS0_14default_configENS1_21merge_config_selectorINS0_5tupleIJffEEENS0_10empty_typeEEEZNS1_10merge_implIS3_NS0_12zip_iteratorINS5_IJN6thrust23THRUST_200600_302600_NS6detail15normal_iteratorINSC_10device_ptrIKfEEEESI_EEEEESK_NSA_INS5_IJNSC_16discard_iteratorINSC_11use_defaultEEESN_EEEEEPS7_SQ_SQ_NSC_11hip_rocprim7__merge17predicate_wrapperIffNSC_4lessIfEEEEEE10hipError_tPvRmT0_T1_T2_T3_T4_T5_mmT6_P12ihipStream_tbEUlT_E0_NS1_11comp_targetILNS1_3genE10ELNS1_11target_archE1201ELNS1_3gpuE5ELNS1_3repE0EEENS1_30default_config_static_selectorELNS0_4arch9wavefront6targetE0EEEvS11_
; %bb.0:
	.section	.rodata,"a",@progbits
	.p2align	6, 0x0
	.amdhsa_kernel _ZN7rocprim17ROCPRIM_400000_NS6detail17trampoline_kernelINS0_14default_configENS1_21merge_config_selectorINS0_5tupleIJffEEENS0_10empty_typeEEEZNS1_10merge_implIS3_NS0_12zip_iteratorINS5_IJN6thrust23THRUST_200600_302600_NS6detail15normal_iteratorINSC_10device_ptrIKfEEEESI_EEEEESK_NSA_INS5_IJNSC_16discard_iteratorINSC_11use_defaultEEESN_EEEEEPS7_SQ_SQ_NSC_11hip_rocprim7__merge17predicate_wrapperIffNSC_4lessIfEEEEEE10hipError_tPvRmT0_T1_T2_T3_T4_T5_mmT6_P12ihipStream_tbEUlT_E0_NS1_11comp_targetILNS1_3genE10ELNS1_11target_archE1201ELNS1_3gpuE5ELNS1_3repE0EEENS1_30default_config_static_selectorELNS0_4arch9wavefront6targetE0EEEvS11_
		.amdhsa_group_segment_fixed_size 0
		.amdhsa_private_segment_fixed_size 0
		.amdhsa_kernarg_size 128
		.amdhsa_user_sgpr_count 6
		.amdhsa_user_sgpr_private_segment_buffer 1
		.amdhsa_user_sgpr_dispatch_ptr 0
		.amdhsa_user_sgpr_queue_ptr 0
		.amdhsa_user_sgpr_kernarg_segment_ptr 1
		.amdhsa_user_sgpr_dispatch_id 0
		.amdhsa_user_sgpr_flat_scratch_init 0
		.amdhsa_user_sgpr_private_segment_size 0
		.amdhsa_wavefront_size32 1
		.amdhsa_uses_dynamic_stack 0
		.amdhsa_system_sgpr_private_segment_wavefront_offset 0
		.amdhsa_system_sgpr_workgroup_id_x 1
		.amdhsa_system_sgpr_workgroup_id_y 0
		.amdhsa_system_sgpr_workgroup_id_z 0
		.amdhsa_system_sgpr_workgroup_info 0
		.amdhsa_system_vgpr_workitem_id 0
		.amdhsa_next_free_vgpr 1
		.amdhsa_next_free_sgpr 1
		.amdhsa_reserve_vcc 0
		.amdhsa_reserve_flat_scratch 0
		.amdhsa_float_round_mode_32 0
		.amdhsa_float_round_mode_16_64 0
		.amdhsa_float_denorm_mode_32 3
		.amdhsa_float_denorm_mode_16_64 3
		.amdhsa_dx10_clamp 1
		.amdhsa_ieee_mode 1
		.amdhsa_fp16_overflow 0
		.amdhsa_workgroup_processor_mode 1
		.amdhsa_memory_ordered 1
		.amdhsa_forward_progress 1
		.amdhsa_shared_vgpr_count 0
		.amdhsa_exception_fp_ieee_invalid_op 0
		.amdhsa_exception_fp_denorm_src 0
		.amdhsa_exception_fp_ieee_div_zero 0
		.amdhsa_exception_fp_ieee_overflow 0
		.amdhsa_exception_fp_ieee_underflow 0
		.amdhsa_exception_fp_ieee_inexact 0
		.amdhsa_exception_int_div_zero 0
	.end_amdhsa_kernel
	.section	.text._ZN7rocprim17ROCPRIM_400000_NS6detail17trampoline_kernelINS0_14default_configENS1_21merge_config_selectorINS0_5tupleIJffEEENS0_10empty_typeEEEZNS1_10merge_implIS3_NS0_12zip_iteratorINS5_IJN6thrust23THRUST_200600_302600_NS6detail15normal_iteratorINSC_10device_ptrIKfEEEESI_EEEEESK_NSA_INS5_IJNSC_16discard_iteratorINSC_11use_defaultEEESN_EEEEEPS7_SQ_SQ_NSC_11hip_rocprim7__merge17predicate_wrapperIffNSC_4lessIfEEEEEE10hipError_tPvRmT0_T1_T2_T3_T4_T5_mmT6_P12ihipStream_tbEUlT_E0_NS1_11comp_targetILNS1_3genE10ELNS1_11target_archE1201ELNS1_3gpuE5ELNS1_3repE0EEENS1_30default_config_static_selectorELNS0_4arch9wavefront6targetE0EEEvS11_,"axG",@progbits,_ZN7rocprim17ROCPRIM_400000_NS6detail17trampoline_kernelINS0_14default_configENS1_21merge_config_selectorINS0_5tupleIJffEEENS0_10empty_typeEEEZNS1_10merge_implIS3_NS0_12zip_iteratorINS5_IJN6thrust23THRUST_200600_302600_NS6detail15normal_iteratorINSC_10device_ptrIKfEEEESI_EEEEESK_NSA_INS5_IJNSC_16discard_iteratorINSC_11use_defaultEEESN_EEEEEPS7_SQ_SQ_NSC_11hip_rocprim7__merge17predicate_wrapperIffNSC_4lessIfEEEEEE10hipError_tPvRmT0_T1_T2_T3_T4_T5_mmT6_P12ihipStream_tbEUlT_E0_NS1_11comp_targetILNS1_3genE10ELNS1_11target_archE1201ELNS1_3gpuE5ELNS1_3repE0EEENS1_30default_config_static_selectorELNS0_4arch9wavefront6targetE0EEEvS11_,comdat
.Lfunc_end511:
	.size	_ZN7rocprim17ROCPRIM_400000_NS6detail17trampoline_kernelINS0_14default_configENS1_21merge_config_selectorINS0_5tupleIJffEEENS0_10empty_typeEEEZNS1_10merge_implIS3_NS0_12zip_iteratorINS5_IJN6thrust23THRUST_200600_302600_NS6detail15normal_iteratorINSC_10device_ptrIKfEEEESI_EEEEESK_NSA_INS5_IJNSC_16discard_iteratorINSC_11use_defaultEEESN_EEEEEPS7_SQ_SQ_NSC_11hip_rocprim7__merge17predicate_wrapperIffNSC_4lessIfEEEEEE10hipError_tPvRmT0_T1_T2_T3_T4_T5_mmT6_P12ihipStream_tbEUlT_E0_NS1_11comp_targetILNS1_3genE10ELNS1_11target_archE1201ELNS1_3gpuE5ELNS1_3repE0EEENS1_30default_config_static_selectorELNS0_4arch9wavefront6targetE0EEEvS11_, .Lfunc_end511-_ZN7rocprim17ROCPRIM_400000_NS6detail17trampoline_kernelINS0_14default_configENS1_21merge_config_selectorINS0_5tupleIJffEEENS0_10empty_typeEEEZNS1_10merge_implIS3_NS0_12zip_iteratorINS5_IJN6thrust23THRUST_200600_302600_NS6detail15normal_iteratorINSC_10device_ptrIKfEEEESI_EEEEESK_NSA_INS5_IJNSC_16discard_iteratorINSC_11use_defaultEEESN_EEEEEPS7_SQ_SQ_NSC_11hip_rocprim7__merge17predicate_wrapperIffNSC_4lessIfEEEEEE10hipError_tPvRmT0_T1_T2_T3_T4_T5_mmT6_P12ihipStream_tbEUlT_E0_NS1_11comp_targetILNS1_3genE10ELNS1_11target_archE1201ELNS1_3gpuE5ELNS1_3repE0EEENS1_30default_config_static_selectorELNS0_4arch9wavefront6targetE0EEEvS11_
                                        ; -- End function
	.set _ZN7rocprim17ROCPRIM_400000_NS6detail17trampoline_kernelINS0_14default_configENS1_21merge_config_selectorINS0_5tupleIJffEEENS0_10empty_typeEEEZNS1_10merge_implIS3_NS0_12zip_iteratorINS5_IJN6thrust23THRUST_200600_302600_NS6detail15normal_iteratorINSC_10device_ptrIKfEEEESI_EEEEESK_NSA_INS5_IJNSC_16discard_iteratorINSC_11use_defaultEEESN_EEEEEPS7_SQ_SQ_NSC_11hip_rocprim7__merge17predicate_wrapperIffNSC_4lessIfEEEEEE10hipError_tPvRmT0_T1_T2_T3_T4_T5_mmT6_P12ihipStream_tbEUlT_E0_NS1_11comp_targetILNS1_3genE10ELNS1_11target_archE1201ELNS1_3gpuE5ELNS1_3repE0EEENS1_30default_config_static_selectorELNS0_4arch9wavefront6targetE0EEEvS11_.num_vgpr, 0
	.set _ZN7rocprim17ROCPRIM_400000_NS6detail17trampoline_kernelINS0_14default_configENS1_21merge_config_selectorINS0_5tupleIJffEEENS0_10empty_typeEEEZNS1_10merge_implIS3_NS0_12zip_iteratorINS5_IJN6thrust23THRUST_200600_302600_NS6detail15normal_iteratorINSC_10device_ptrIKfEEEESI_EEEEESK_NSA_INS5_IJNSC_16discard_iteratorINSC_11use_defaultEEESN_EEEEEPS7_SQ_SQ_NSC_11hip_rocprim7__merge17predicate_wrapperIffNSC_4lessIfEEEEEE10hipError_tPvRmT0_T1_T2_T3_T4_T5_mmT6_P12ihipStream_tbEUlT_E0_NS1_11comp_targetILNS1_3genE10ELNS1_11target_archE1201ELNS1_3gpuE5ELNS1_3repE0EEENS1_30default_config_static_selectorELNS0_4arch9wavefront6targetE0EEEvS11_.num_agpr, 0
	.set _ZN7rocprim17ROCPRIM_400000_NS6detail17trampoline_kernelINS0_14default_configENS1_21merge_config_selectorINS0_5tupleIJffEEENS0_10empty_typeEEEZNS1_10merge_implIS3_NS0_12zip_iteratorINS5_IJN6thrust23THRUST_200600_302600_NS6detail15normal_iteratorINSC_10device_ptrIKfEEEESI_EEEEESK_NSA_INS5_IJNSC_16discard_iteratorINSC_11use_defaultEEESN_EEEEEPS7_SQ_SQ_NSC_11hip_rocprim7__merge17predicate_wrapperIffNSC_4lessIfEEEEEE10hipError_tPvRmT0_T1_T2_T3_T4_T5_mmT6_P12ihipStream_tbEUlT_E0_NS1_11comp_targetILNS1_3genE10ELNS1_11target_archE1201ELNS1_3gpuE5ELNS1_3repE0EEENS1_30default_config_static_selectorELNS0_4arch9wavefront6targetE0EEEvS11_.numbered_sgpr, 0
	.set _ZN7rocprim17ROCPRIM_400000_NS6detail17trampoline_kernelINS0_14default_configENS1_21merge_config_selectorINS0_5tupleIJffEEENS0_10empty_typeEEEZNS1_10merge_implIS3_NS0_12zip_iteratorINS5_IJN6thrust23THRUST_200600_302600_NS6detail15normal_iteratorINSC_10device_ptrIKfEEEESI_EEEEESK_NSA_INS5_IJNSC_16discard_iteratorINSC_11use_defaultEEESN_EEEEEPS7_SQ_SQ_NSC_11hip_rocprim7__merge17predicate_wrapperIffNSC_4lessIfEEEEEE10hipError_tPvRmT0_T1_T2_T3_T4_T5_mmT6_P12ihipStream_tbEUlT_E0_NS1_11comp_targetILNS1_3genE10ELNS1_11target_archE1201ELNS1_3gpuE5ELNS1_3repE0EEENS1_30default_config_static_selectorELNS0_4arch9wavefront6targetE0EEEvS11_.num_named_barrier, 0
	.set _ZN7rocprim17ROCPRIM_400000_NS6detail17trampoline_kernelINS0_14default_configENS1_21merge_config_selectorINS0_5tupleIJffEEENS0_10empty_typeEEEZNS1_10merge_implIS3_NS0_12zip_iteratorINS5_IJN6thrust23THRUST_200600_302600_NS6detail15normal_iteratorINSC_10device_ptrIKfEEEESI_EEEEESK_NSA_INS5_IJNSC_16discard_iteratorINSC_11use_defaultEEESN_EEEEEPS7_SQ_SQ_NSC_11hip_rocprim7__merge17predicate_wrapperIffNSC_4lessIfEEEEEE10hipError_tPvRmT0_T1_T2_T3_T4_T5_mmT6_P12ihipStream_tbEUlT_E0_NS1_11comp_targetILNS1_3genE10ELNS1_11target_archE1201ELNS1_3gpuE5ELNS1_3repE0EEENS1_30default_config_static_selectorELNS0_4arch9wavefront6targetE0EEEvS11_.private_seg_size, 0
	.set _ZN7rocprim17ROCPRIM_400000_NS6detail17trampoline_kernelINS0_14default_configENS1_21merge_config_selectorINS0_5tupleIJffEEENS0_10empty_typeEEEZNS1_10merge_implIS3_NS0_12zip_iteratorINS5_IJN6thrust23THRUST_200600_302600_NS6detail15normal_iteratorINSC_10device_ptrIKfEEEESI_EEEEESK_NSA_INS5_IJNSC_16discard_iteratorINSC_11use_defaultEEESN_EEEEEPS7_SQ_SQ_NSC_11hip_rocprim7__merge17predicate_wrapperIffNSC_4lessIfEEEEEE10hipError_tPvRmT0_T1_T2_T3_T4_T5_mmT6_P12ihipStream_tbEUlT_E0_NS1_11comp_targetILNS1_3genE10ELNS1_11target_archE1201ELNS1_3gpuE5ELNS1_3repE0EEENS1_30default_config_static_selectorELNS0_4arch9wavefront6targetE0EEEvS11_.uses_vcc, 0
	.set _ZN7rocprim17ROCPRIM_400000_NS6detail17trampoline_kernelINS0_14default_configENS1_21merge_config_selectorINS0_5tupleIJffEEENS0_10empty_typeEEEZNS1_10merge_implIS3_NS0_12zip_iteratorINS5_IJN6thrust23THRUST_200600_302600_NS6detail15normal_iteratorINSC_10device_ptrIKfEEEESI_EEEEESK_NSA_INS5_IJNSC_16discard_iteratorINSC_11use_defaultEEESN_EEEEEPS7_SQ_SQ_NSC_11hip_rocprim7__merge17predicate_wrapperIffNSC_4lessIfEEEEEE10hipError_tPvRmT0_T1_T2_T3_T4_T5_mmT6_P12ihipStream_tbEUlT_E0_NS1_11comp_targetILNS1_3genE10ELNS1_11target_archE1201ELNS1_3gpuE5ELNS1_3repE0EEENS1_30default_config_static_selectorELNS0_4arch9wavefront6targetE0EEEvS11_.uses_flat_scratch, 0
	.set _ZN7rocprim17ROCPRIM_400000_NS6detail17trampoline_kernelINS0_14default_configENS1_21merge_config_selectorINS0_5tupleIJffEEENS0_10empty_typeEEEZNS1_10merge_implIS3_NS0_12zip_iteratorINS5_IJN6thrust23THRUST_200600_302600_NS6detail15normal_iteratorINSC_10device_ptrIKfEEEESI_EEEEESK_NSA_INS5_IJNSC_16discard_iteratorINSC_11use_defaultEEESN_EEEEEPS7_SQ_SQ_NSC_11hip_rocprim7__merge17predicate_wrapperIffNSC_4lessIfEEEEEE10hipError_tPvRmT0_T1_T2_T3_T4_T5_mmT6_P12ihipStream_tbEUlT_E0_NS1_11comp_targetILNS1_3genE10ELNS1_11target_archE1201ELNS1_3gpuE5ELNS1_3repE0EEENS1_30default_config_static_selectorELNS0_4arch9wavefront6targetE0EEEvS11_.has_dyn_sized_stack, 0
	.set _ZN7rocprim17ROCPRIM_400000_NS6detail17trampoline_kernelINS0_14default_configENS1_21merge_config_selectorINS0_5tupleIJffEEENS0_10empty_typeEEEZNS1_10merge_implIS3_NS0_12zip_iteratorINS5_IJN6thrust23THRUST_200600_302600_NS6detail15normal_iteratorINSC_10device_ptrIKfEEEESI_EEEEESK_NSA_INS5_IJNSC_16discard_iteratorINSC_11use_defaultEEESN_EEEEEPS7_SQ_SQ_NSC_11hip_rocprim7__merge17predicate_wrapperIffNSC_4lessIfEEEEEE10hipError_tPvRmT0_T1_T2_T3_T4_T5_mmT6_P12ihipStream_tbEUlT_E0_NS1_11comp_targetILNS1_3genE10ELNS1_11target_archE1201ELNS1_3gpuE5ELNS1_3repE0EEENS1_30default_config_static_selectorELNS0_4arch9wavefront6targetE0EEEvS11_.has_recursion, 0
	.set _ZN7rocprim17ROCPRIM_400000_NS6detail17trampoline_kernelINS0_14default_configENS1_21merge_config_selectorINS0_5tupleIJffEEENS0_10empty_typeEEEZNS1_10merge_implIS3_NS0_12zip_iteratorINS5_IJN6thrust23THRUST_200600_302600_NS6detail15normal_iteratorINSC_10device_ptrIKfEEEESI_EEEEESK_NSA_INS5_IJNSC_16discard_iteratorINSC_11use_defaultEEESN_EEEEEPS7_SQ_SQ_NSC_11hip_rocprim7__merge17predicate_wrapperIffNSC_4lessIfEEEEEE10hipError_tPvRmT0_T1_T2_T3_T4_T5_mmT6_P12ihipStream_tbEUlT_E0_NS1_11comp_targetILNS1_3genE10ELNS1_11target_archE1201ELNS1_3gpuE5ELNS1_3repE0EEENS1_30default_config_static_selectorELNS0_4arch9wavefront6targetE0EEEvS11_.has_indirect_call, 0
	.section	.AMDGPU.csdata,"",@progbits
; Kernel info:
; codeLenInByte = 0
; TotalNumSgprs: 0
; NumVgprs: 0
; ScratchSize: 0
; MemoryBound: 0
; FloatMode: 240
; IeeeMode: 1
; LDSByteSize: 0 bytes/workgroup (compile time only)
; SGPRBlocks: 0
; VGPRBlocks: 0
; NumSGPRsForWavesPerEU: 1
; NumVGPRsForWavesPerEU: 1
; Occupancy: 16
; WaveLimiterHint : 0
; COMPUTE_PGM_RSRC2:SCRATCH_EN: 0
; COMPUTE_PGM_RSRC2:USER_SGPR: 6
; COMPUTE_PGM_RSRC2:TRAP_HANDLER: 0
; COMPUTE_PGM_RSRC2:TGID_X_EN: 1
; COMPUTE_PGM_RSRC2:TGID_Y_EN: 0
; COMPUTE_PGM_RSRC2:TGID_Z_EN: 0
; COMPUTE_PGM_RSRC2:TIDIG_COMP_CNT: 0
	.section	.text._ZN7rocprim17ROCPRIM_400000_NS6detail17trampoline_kernelINS0_14default_configENS1_21merge_config_selectorINS0_5tupleIJffEEENS0_10empty_typeEEEZNS1_10merge_implIS3_NS0_12zip_iteratorINS5_IJN6thrust23THRUST_200600_302600_NS6detail15normal_iteratorINSC_10device_ptrIKfEEEESI_EEEEESK_NSA_INS5_IJNSC_16discard_iteratorINSC_11use_defaultEEESN_EEEEEPS7_SQ_SQ_NSC_11hip_rocprim7__merge17predicate_wrapperIffNSC_4lessIfEEEEEE10hipError_tPvRmT0_T1_T2_T3_T4_T5_mmT6_P12ihipStream_tbEUlT_E0_NS1_11comp_targetILNS1_3genE10ELNS1_11target_archE1200ELNS1_3gpuE4ELNS1_3repE0EEENS1_30default_config_static_selectorELNS0_4arch9wavefront6targetE0EEEvS11_,"axG",@progbits,_ZN7rocprim17ROCPRIM_400000_NS6detail17trampoline_kernelINS0_14default_configENS1_21merge_config_selectorINS0_5tupleIJffEEENS0_10empty_typeEEEZNS1_10merge_implIS3_NS0_12zip_iteratorINS5_IJN6thrust23THRUST_200600_302600_NS6detail15normal_iteratorINSC_10device_ptrIKfEEEESI_EEEEESK_NSA_INS5_IJNSC_16discard_iteratorINSC_11use_defaultEEESN_EEEEEPS7_SQ_SQ_NSC_11hip_rocprim7__merge17predicate_wrapperIffNSC_4lessIfEEEEEE10hipError_tPvRmT0_T1_T2_T3_T4_T5_mmT6_P12ihipStream_tbEUlT_E0_NS1_11comp_targetILNS1_3genE10ELNS1_11target_archE1200ELNS1_3gpuE4ELNS1_3repE0EEENS1_30default_config_static_selectorELNS0_4arch9wavefront6targetE0EEEvS11_,comdat
	.protected	_ZN7rocprim17ROCPRIM_400000_NS6detail17trampoline_kernelINS0_14default_configENS1_21merge_config_selectorINS0_5tupleIJffEEENS0_10empty_typeEEEZNS1_10merge_implIS3_NS0_12zip_iteratorINS5_IJN6thrust23THRUST_200600_302600_NS6detail15normal_iteratorINSC_10device_ptrIKfEEEESI_EEEEESK_NSA_INS5_IJNSC_16discard_iteratorINSC_11use_defaultEEESN_EEEEEPS7_SQ_SQ_NSC_11hip_rocprim7__merge17predicate_wrapperIffNSC_4lessIfEEEEEE10hipError_tPvRmT0_T1_T2_T3_T4_T5_mmT6_P12ihipStream_tbEUlT_E0_NS1_11comp_targetILNS1_3genE10ELNS1_11target_archE1200ELNS1_3gpuE4ELNS1_3repE0EEENS1_30default_config_static_selectorELNS0_4arch9wavefront6targetE0EEEvS11_ ; -- Begin function _ZN7rocprim17ROCPRIM_400000_NS6detail17trampoline_kernelINS0_14default_configENS1_21merge_config_selectorINS0_5tupleIJffEEENS0_10empty_typeEEEZNS1_10merge_implIS3_NS0_12zip_iteratorINS5_IJN6thrust23THRUST_200600_302600_NS6detail15normal_iteratorINSC_10device_ptrIKfEEEESI_EEEEESK_NSA_INS5_IJNSC_16discard_iteratorINSC_11use_defaultEEESN_EEEEEPS7_SQ_SQ_NSC_11hip_rocprim7__merge17predicate_wrapperIffNSC_4lessIfEEEEEE10hipError_tPvRmT0_T1_T2_T3_T4_T5_mmT6_P12ihipStream_tbEUlT_E0_NS1_11comp_targetILNS1_3genE10ELNS1_11target_archE1200ELNS1_3gpuE4ELNS1_3repE0EEENS1_30default_config_static_selectorELNS0_4arch9wavefront6targetE0EEEvS11_
	.globl	_ZN7rocprim17ROCPRIM_400000_NS6detail17trampoline_kernelINS0_14default_configENS1_21merge_config_selectorINS0_5tupleIJffEEENS0_10empty_typeEEEZNS1_10merge_implIS3_NS0_12zip_iteratorINS5_IJN6thrust23THRUST_200600_302600_NS6detail15normal_iteratorINSC_10device_ptrIKfEEEESI_EEEEESK_NSA_INS5_IJNSC_16discard_iteratorINSC_11use_defaultEEESN_EEEEEPS7_SQ_SQ_NSC_11hip_rocprim7__merge17predicate_wrapperIffNSC_4lessIfEEEEEE10hipError_tPvRmT0_T1_T2_T3_T4_T5_mmT6_P12ihipStream_tbEUlT_E0_NS1_11comp_targetILNS1_3genE10ELNS1_11target_archE1200ELNS1_3gpuE4ELNS1_3repE0EEENS1_30default_config_static_selectorELNS0_4arch9wavefront6targetE0EEEvS11_
	.p2align	8
	.type	_ZN7rocprim17ROCPRIM_400000_NS6detail17trampoline_kernelINS0_14default_configENS1_21merge_config_selectorINS0_5tupleIJffEEENS0_10empty_typeEEEZNS1_10merge_implIS3_NS0_12zip_iteratorINS5_IJN6thrust23THRUST_200600_302600_NS6detail15normal_iteratorINSC_10device_ptrIKfEEEESI_EEEEESK_NSA_INS5_IJNSC_16discard_iteratorINSC_11use_defaultEEESN_EEEEEPS7_SQ_SQ_NSC_11hip_rocprim7__merge17predicate_wrapperIffNSC_4lessIfEEEEEE10hipError_tPvRmT0_T1_T2_T3_T4_T5_mmT6_P12ihipStream_tbEUlT_E0_NS1_11comp_targetILNS1_3genE10ELNS1_11target_archE1200ELNS1_3gpuE4ELNS1_3repE0EEENS1_30default_config_static_selectorELNS0_4arch9wavefront6targetE0EEEvS11_,@function
_ZN7rocprim17ROCPRIM_400000_NS6detail17trampoline_kernelINS0_14default_configENS1_21merge_config_selectorINS0_5tupleIJffEEENS0_10empty_typeEEEZNS1_10merge_implIS3_NS0_12zip_iteratorINS5_IJN6thrust23THRUST_200600_302600_NS6detail15normal_iteratorINSC_10device_ptrIKfEEEESI_EEEEESK_NSA_INS5_IJNSC_16discard_iteratorINSC_11use_defaultEEESN_EEEEEPS7_SQ_SQ_NSC_11hip_rocprim7__merge17predicate_wrapperIffNSC_4lessIfEEEEEE10hipError_tPvRmT0_T1_T2_T3_T4_T5_mmT6_P12ihipStream_tbEUlT_E0_NS1_11comp_targetILNS1_3genE10ELNS1_11target_archE1200ELNS1_3gpuE4ELNS1_3repE0EEENS1_30default_config_static_selectorELNS0_4arch9wavefront6targetE0EEEvS11_: ; @_ZN7rocprim17ROCPRIM_400000_NS6detail17trampoline_kernelINS0_14default_configENS1_21merge_config_selectorINS0_5tupleIJffEEENS0_10empty_typeEEEZNS1_10merge_implIS3_NS0_12zip_iteratorINS5_IJN6thrust23THRUST_200600_302600_NS6detail15normal_iteratorINSC_10device_ptrIKfEEEESI_EEEEESK_NSA_INS5_IJNSC_16discard_iteratorINSC_11use_defaultEEESN_EEEEEPS7_SQ_SQ_NSC_11hip_rocprim7__merge17predicate_wrapperIffNSC_4lessIfEEEEEE10hipError_tPvRmT0_T1_T2_T3_T4_T5_mmT6_P12ihipStream_tbEUlT_E0_NS1_11comp_targetILNS1_3genE10ELNS1_11target_archE1200ELNS1_3gpuE4ELNS1_3repE0EEENS1_30default_config_static_selectorELNS0_4arch9wavefront6targetE0EEEvS11_
; %bb.0:
	.section	.rodata,"a",@progbits
	.p2align	6, 0x0
	.amdhsa_kernel _ZN7rocprim17ROCPRIM_400000_NS6detail17trampoline_kernelINS0_14default_configENS1_21merge_config_selectorINS0_5tupleIJffEEENS0_10empty_typeEEEZNS1_10merge_implIS3_NS0_12zip_iteratorINS5_IJN6thrust23THRUST_200600_302600_NS6detail15normal_iteratorINSC_10device_ptrIKfEEEESI_EEEEESK_NSA_INS5_IJNSC_16discard_iteratorINSC_11use_defaultEEESN_EEEEEPS7_SQ_SQ_NSC_11hip_rocprim7__merge17predicate_wrapperIffNSC_4lessIfEEEEEE10hipError_tPvRmT0_T1_T2_T3_T4_T5_mmT6_P12ihipStream_tbEUlT_E0_NS1_11comp_targetILNS1_3genE10ELNS1_11target_archE1200ELNS1_3gpuE4ELNS1_3repE0EEENS1_30default_config_static_selectorELNS0_4arch9wavefront6targetE0EEEvS11_
		.amdhsa_group_segment_fixed_size 0
		.amdhsa_private_segment_fixed_size 0
		.amdhsa_kernarg_size 128
		.amdhsa_user_sgpr_count 6
		.amdhsa_user_sgpr_private_segment_buffer 1
		.amdhsa_user_sgpr_dispatch_ptr 0
		.amdhsa_user_sgpr_queue_ptr 0
		.amdhsa_user_sgpr_kernarg_segment_ptr 1
		.amdhsa_user_sgpr_dispatch_id 0
		.amdhsa_user_sgpr_flat_scratch_init 0
		.amdhsa_user_sgpr_private_segment_size 0
		.amdhsa_wavefront_size32 1
		.amdhsa_uses_dynamic_stack 0
		.amdhsa_system_sgpr_private_segment_wavefront_offset 0
		.amdhsa_system_sgpr_workgroup_id_x 1
		.amdhsa_system_sgpr_workgroup_id_y 0
		.amdhsa_system_sgpr_workgroup_id_z 0
		.amdhsa_system_sgpr_workgroup_info 0
		.amdhsa_system_vgpr_workitem_id 0
		.amdhsa_next_free_vgpr 1
		.amdhsa_next_free_sgpr 1
		.amdhsa_reserve_vcc 0
		.amdhsa_reserve_flat_scratch 0
		.amdhsa_float_round_mode_32 0
		.amdhsa_float_round_mode_16_64 0
		.amdhsa_float_denorm_mode_32 3
		.amdhsa_float_denorm_mode_16_64 3
		.amdhsa_dx10_clamp 1
		.amdhsa_ieee_mode 1
		.amdhsa_fp16_overflow 0
		.amdhsa_workgroup_processor_mode 1
		.amdhsa_memory_ordered 1
		.amdhsa_forward_progress 1
		.amdhsa_shared_vgpr_count 0
		.amdhsa_exception_fp_ieee_invalid_op 0
		.amdhsa_exception_fp_denorm_src 0
		.amdhsa_exception_fp_ieee_div_zero 0
		.amdhsa_exception_fp_ieee_overflow 0
		.amdhsa_exception_fp_ieee_underflow 0
		.amdhsa_exception_fp_ieee_inexact 0
		.amdhsa_exception_int_div_zero 0
	.end_amdhsa_kernel
	.section	.text._ZN7rocprim17ROCPRIM_400000_NS6detail17trampoline_kernelINS0_14default_configENS1_21merge_config_selectorINS0_5tupleIJffEEENS0_10empty_typeEEEZNS1_10merge_implIS3_NS0_12zip_iteratorINS5_IJN6thrust23THRUST_200600_302600_NS6detail15normal_iteratorINSC_10device_ptrIKfEEEESI_EEEEESK_NSA_INS5_IJNSC_16discard_iteratorINSC_11use_defaultEEESN_EEEEEPS7_SQ_SQ_NSC_11hip_rocprim7__merge17predicate_wrapperIffNSC_4lessIfEEEEEE10hipError_tPvRmT0_T1_T2_T3_T4_T5_mmT6_P12ihipStream_tbEUlT_E0_NS1_11comp_targetILNS1_3genE10ELNS1_11target_archE1200ELNS1_3gpuE4ELNS1_3repE0EEENS1_30default_config_static_selectorELNS0_4arch9wavefront6targetE0EEEvS11_,"axG",@progbits,_ZN7rocprim17ROCPRIM_400000_NS6detail17trampoline_kernelINS0_14default_configENS1_21merge_config_selectorINS0_5tupleIJffEEENS0_10empty_typeEEEZNS1_10merge_implIS3_NS0_12zip_iteratorINS5_IJN6thrust23THRUST_200600_302600_NS6detail15normal_iteratorINSC_10device_ptrIKfEEEESI_EEEEESK_NSA_INS5_IJNSC_16discard_iteratorINSC_11use_defaultEEESN_EEEEEPS7_SQ_SQ_NSC_11hip_rocprim7__merge17predicate_wrapperIffNSC_4lessIfEEEEEE10hipError_tPvRmT0_T1_T2_T3_T4_T5_mmT6_P12ihipStream_tbEUlT_E0_NS1_11comp_targetILNS1_3genE10ELNS1_11target_archE1200ELNS1_3gpuE4ELNS1_3repE0EEENS1_30default_config_static_selectorELNS0_4arch9wavefront6targetE0EEEvS11_,comdat
.Lfunc_end512:
	.size	_ZN7rocprim17ROCPRIM_400000_NS6detail17trampoline_kernelINS0_14default_configENS1_21merge_config_selectorINS0_5tupleIJffEEENS0_10empty_typeEEEZNS1_10merge_implIS3_NS0_12zip_iteratorINS5_IJN6thrust23THRUST_200600_302600_NS6detail15normal_iteratorINSC_10device_ptrIKfEEEESI_EEEEESK_NSA_INS5_IJNSC_16discard_iteratorINSC_11use_defaultEEESN_EEEEEPS7_SQ_SQ_NSC_11hip_rocprim7__merge17predicate_wrapperIffNSC_4lessIfEEEEEE10hipError_tPvRmT0_T1_T2_T3_T4_T5_mmT6_P12ihipStream_tbEUlT_E0_NS1_11comp_targetILNS1_3genE10ELNS1_11target_archE1200ELNS1_3gpuE4ELNS1_3repE0EEENS1_30default_config_static_selectorELNS0_4arch9wavefront6targetE0EEEvS11_, .Lfunc_end512-_ZN7rocprim17ROCPRIM_400000_NS6detail17trampoline_kernelINS0_14default_configENS1_21merge_config_selectorINS0_5tupleIJffEEENS0_10empty_typeEEEZNS1_10merge_implIS3_NS0_12zip_iteratorINS5_IJN6thrust23THRUST_200600_302600_NS6detail15normal_iteratorINSC_10device_ptrIKfEEEESI_EEEEESK_NSA_INS5_IJNSC_16discard_iteratorINSC_11use_defaultEEESN_EEEEEPS7_SQ_SQ_NSC_11hip_rocprim7__merge17predicate_wrapperIffNSC_4lessIfEEEEEE10hipError_tPvRmT0_T1_T2_T3_T4_T5_mmT6_P12ihipStream_tbEUlT_E0_NS1_11comp_targetILNS1_3genE10ELNS1_11target_archE1200ELNS1_3gpuE4ELNS1_3repE0EEENS1_30default_config_static_selectorELNS0_4arch9wavefront6targetE0EEEvS11_
                                        ; -- End function
	.set _ZN7rocprim17ROCPRIM_400000_NS6detail17trampoline_kernelINS0_14default_configENS1_21merge_config_selectorINS0_5tupleIJffEEENS0_10empty_typeEEEZNS1_10merge_implIS3_NS0_12zip_iteratorINS5_IJN6thrust23THRUST_200600_302600_NS6detail15normal_iteratorINSC_10device_ptrIKfEEEESI_EEEEESK_NSA_INS5_IJNSC_16discard_iteratorINSC_11use_defaultEEESN_EEEEEPS7_SQ_SQ_NSC_11hip_rocprim7__merge17predicate_wrapperIffNSC_4lessIfEEEEEE10hipError_tPvRmT0_T1_T2_T3_T4_T5_mmT6_P12ihipStream_tbEUlT_E0_NS1_11comp_targetILNS1_3genE10ELNS1_11target_archE1200ELNS1_3gpuE4ELNS1_3repE0EEENS1_30default_config_static_selectorELNS0_4arch9wavefront6targetE0EEEvS11_.num_vgpr, 0
	.set _ZN7rocprim17ROCPRIM_400000_NS6detail17trampoline_kernelINS0_14default_configENS1_21merge_config_selectorINS0_5tupleIJffEEENS0_10empty_typeEEEZNS1_10merge_implIS3_NS0_12zip_iteratorINS5_IJN6thrust23THRUST_200600_302600_NS6detail15normal_iteratorINSC_10device_ptrIKfEEEESI_EEEEESK_NSA_INS5_IJNSC_16discard_iteratorINSC_11use_defaultEEESN_EEEEEPS7_SQ_SQ_NSC_11hip_rocprim7__merge17predicate_wrapperIffNSC_4lessIfEEEEEE10hipError_tPvRmT0_T1_T2_T3_T4_T5_mmT6_P12ihipStream_tbEUlT_E0_NS1_11comp_targetILNS1_3genE10ELNS1_11target_archE1200ELNS1_3gpuE4ELNS1_3repE0EEENS1_30default_config_static_selectorELNS0_4arch9wavefront6targetE0EEEvS11_.num_agpr, 0
	.set _ZN7rocprim17ROCPRIM_400000_NS6detail17trampoline_kernelINS0_14default_configENS1_21merge_config_selectorINS0_5tupleIJffEEENS0_10empty_typeEEEZNS1_10merge_implIS3_NS0_12zip_iteratorINS5_IJN6thrust23THRUST_200600_302600_NS6detail15normal_iteratorINSC_10device_ptrIKfEEEESI_EEEEESK_NSA_INS5_IJNSC_16discard_iteratorINSC_11use_defaultEEESN_EEEEEPS7_SQ_SQ_NSC_11hip_rocprim7__merge17predicate_wrapperIffNSC_4lessIfEEEEEE10hipError_tPvRmT0_T1_T2_T3_T4_T5_mmT6_P12ihipStream_tbEUlT_E0_NS1_11comp_targetILNS1_3genE10ELNS1_11target_archE1200ELNS1_3gpuE4ELNS1_3repE0EEENS1_30default_config_static_selectorELNS0_4arch9wavefront6targetE0EEEvS11_.numbered_sgpr, 0
	.set _ZN7rocprim17ROCPRIM_400000_NS6detail17trampoline_kernelINS0_14default_configENS1_21merge_config_selectorINS0_5tupleIJffEEENS0_10empty_typeEEEZNS1_10merge_implIS3_NS0_12zip_iteratorINS5_IJN6thrust23THRUST_200600_302600_NS6detail15normal_iteratorINSC_10device_ptrIKfEEEESI_EEEEESK_NSA_INS5_IJNSC_16discard_iteratorINSC_11use_defaultEEESN_EEEEEPS7_SQ_SQ_NSC_11hip_rocprim7__merge17predicate_wrapperIffNSC_4lessIfEEEEEE10hipError_tPvRmT0_T1_T2_T3_T4_T5_mmT6_P12ihipStream_tbEUlT_E0_NS1_11comp_targetILNS1_3genE10ELNS1_11target_archE1200ELNS1_3gpuE4ELNS1_3repE0EEENS1_30default_config_static_selectorELNS0_4arch9wavefront6targetE0EEEvS11_.num_named_barrier, 0
	.set _ZN7rocprim17ROCPRIM_400000_NS6detail17trampoline_kernelINS0_14default_configENS1_21merge_config_selectorINS0_5tupleIJffEEENS0_10empty_typeEEEZNS1_10merge_implIS3_NS0_12zip_iteratorINS5_IJN6thrust23THRUST_200600_302600_NS6detail15normal_iteratorINSC_10device_ptrIKfEEEESI_EEEEESK_NSA_INS5_IJNSC_16discard_iteratorINSC_11use_defaultEEESN_EEEEEPS7_SQ_SQ_NSC_11hip_rocprim7__merge17predicate_wrapperIffNSC_4lessIfEEEEEE10hipError_tPvRmT0_T1_T2_T3_T4_T5_mmT6_P12ihipStream_tbEUlT_E0_NS1_11comp_targetILNS1_3genE10ELNS1_11target_archE1200ELNS1_3gpuE4ELNS1_3repE0EEENS1_30default_config_static_selectorELNS0_4arch9wavefront6targetE0EEEvS11_.private_seg_size, 0
	.set _ZN7rocprim17ROCPRIM_400000_NS6detail17trampoline_kernelINS0_14default_configENS1_21merge_config_selectorINS0_5tupleIJffEEENS0_10empty_typeEEEZNS1_10merge_implIS3_NS0_12zip_iteratorINS5_IJN6thrust23THRUST_200600_302600_NS6detail15normal_iteratorINSC_10device_ptrIKfEEEESI_EEEEESK_NSA_INS5_IJNSC_16discard_iteratorINSC_11use_defaultEEESN_EEEEEPS7_SQ_SQ_NSC_11hip_rocprim7__merge17predicate_wrapperIffNSC_4lessIfEEEEEE10hipError_tPvRmT0_T1_T2_T3_T4_T5_mmT6_P12ihipStream_tbEUlT_E0_NS1_11comp_targetILNS1_3genE10ELNS1_11target_archE1200ELNS1_3gpuE4ELNS1_3repE0EEENS1_30default_config_static_selectorELNS0_4arch9wavefront6targetE0EEEvS11_.uses_vcc, 0
	.set _ZN7rocprim17ROCPRIM_400000_NS6detail17trampoline_kernelINS0_14default_configENS1_21merge_config_selectorINS0_5tupleIJffEEENS0_10empty_typeEEEZNS1_10merge_implIS3_NS0_12zip_iteratorINS5_IJN6thrust23THRUST_200600_302600_NS6detail15normal_iteratorINSC_10device_ptrIKfEEEESI_EEEEESK_NSA_INS5_IJNSC_16discard_iteratorINSC_11use_defaultEEESN_EEEEEPS7_SQ_SQ_NSC_11hip_rocprim7__merge17predicate_wrapperIffNSC_4lessIfEEEEEE10hipError_tPvRmT0_T1_T2_T3_T4_T5_mmT6_P12ihipStream_tbEUlT_E0_NS1_11comp_targetILNS1_3genE10ELNS1_11target_archE1200ELNS1_3gpuE4ELNS1_3repE0EEENS1_30default_config_static_selectorELNS0_4arch9wavefront6targetE0EEEvS11_.uses_flat_scratch, 0
	.set _ZN7rocprim17ROCPRIM_400000_NS6detail17trampoline_kernelINS0_14default_configENS1_21merge_config_selectorINS0_5tupleIJffEEENS0_10empty_typeEEEZNS1_10merge_implIS3_NS0_12zip_iteratorINS5_IJN6thrust23THRUST_200600_302600_NS6detail15normal_iteratorINSC_10device_ptrIKfEEEESI_EEEEESK_NSA_INS5_IJNSC_16discard_iteratorINSC_11use_defaultEEESN_EEEEEPS7_SQ_SQ_NSC_11hip_rocprim7__merge17predicate_wrapperIffNSC_4lessIfEEEEEE10hipError_tPvRmT0_T1_T2_T3_T4_T5_mmT6_P12ihipStream_tbEUlT_E0_NS1_11comp_targetILNS1_3genE10ELNS1_11target_archE1200ELNS1_3gpuE4ELNS1_3repE0EEENS1_30default_config_static_selectorELNS0_4arch9wavefront6targetE0EEEvS11_.has_dyn_sized_stack, 0
	.set _ZN7rocprim17ROCPRIM_400000_NS6detail17trampoline_kernelINS0_14default_configENS1_21merge_config_selectorINS0_5tupleIJffEEENS0_10empty_typeEEEZNS1_10merge_implIS3_NS0_12zip_iteratorINS5_IJN6thrust23THRUST_200600_302600_NS6detail15normal_iteratorINSC_10device_ptrIKfEEEESI_EEEEESK_NSA_INS5_IJNSC_16discard_iteratorINSC_11use_defaultEEESN_EEEEEPS7_SQ_SQ_NSC_11hip_rocprim7__merge17predicate_wrapperIffNSC_4lessIfEEEEEE10hipError_tPvRmT0_T1_T2_T3_T4_T5_mmT6_P12ihipStream_tbEUlT_E0_NS1_11comp_targetILNS1_3genE10ELNS1_11target_archE1200ELNS1_3gpuE4ELNS1_3repE0EEENS1_30default_config_static_selectorELNS0_4arch9wavefront6targetE0EEEvS11_.has_recursion, 0
	.set _ZN7rocprim17ROCPRIM_400000_NS6detail17trampoline_kernelINS0_14default_configENS1_21merge_config_selectorINS0_5tupleIJffEEENS0_10empty_typeEEEZNS1_10merge_implIS3_NS0_12zip_iteratorINS5_IJN6thrust23THRUST_200600_302600_NS6detail15normal_iteratorINSC_10device_ptrIKfEEEESI_EEEEESK_NSA_INS5_IJNSC_16discard_iteratorINSC_11use_defaultEEESN_EEEEEPS7_SQ_SQ_NSC_11hip_rocprim7__merge17predicate_wrapperIffNSC_4lessIfEEEEEE10hipError_tPvRmT0_T1_T2_T3_T4_T5_mmT6_P12ihipStream_tbEUlT_E0_NS1_11comp_targetILNS1_3genE10ELNS1_11target_archE1200ELNS1_3gpuE4ELNS1_3repE0EEENS1_30default_config_static_selectorELNS0_4arch9wavefront6targetE0EEEvS11_.has_indirect_call, 0
	.section	.AMDGPU.csdata,"",@progbits
; Kernel info:
; codeLenInByte = 0
; TotalNumSgprs: 0
; NumVgprs: 0
; ScratchSize: 0
; MemoryBound: 0
; FloatMode: 240
; IeeeMode: 1
; LDSByteSize: 0 bytes/workgroup (compile time only)
; SGPRBlocks: 0
; VGPRBlocks: 0
; NumSGPRsForWavesPerEU: 1
; NumVGPRsForWavesPerEU: 1
; Occupancy: 16
; WaveLimiterHint : 0
; COMPUTE_PGM_RSRC2:SCRATCH_EN: 0
; COMPUTE_PGM_RSRC2:USER_SGPR: 6
; COMPUTE_PGM_RSRC2:TRAP_HANDLER: 0
; COMPUTE_PGM_RSRC2:TGID_X_EN: 1
; COMPUTE_PGM_RSRC2:TGID_Y_EN: 0
; COMPUTE_PGM_RSRC2:TGID_Z_EN: 0
; COMPUTE_PGM_RSRC2:TIDIG_COMP_CNT: 0
	.section	.text._ZN7rocprim17ROCPRIM_400000_NS6detail17trampoline_kernelINS0_14default_configENS1_21merge_config_selectorINS0_5tupleIJffEEENS0_10empty_typeEEEZNS1_10merge_implIS3_NS0_12zip_iteratorINS5_IJN6thrust23THRUST_200600_302600_NS6detail15normal_iteratorINSC_10device_ptrIKfEEEESI_EEEEESK_NSA_INS5_IJNSC_16discard_iteratorINSC_11use_defaultEEESN_EEEEEPS7_SQ_SQ_NSC_11hip_rocprim7__merge17predicate_wrapperIffNSC_4lessIfEEEEEE10hipError_tPvRmT0_T1_T2_T3_T4_T5_mmT6_P12ihipStream_tbEUlT_E0_NS1_11comp_targetILNS1_3genE9ELNS1_11target_archE1100ELNS1_3gpuE3ELNS1_3repE0EEENS1_30default_config_static_selectorELNS0_4arch9wavefront6targetE0EEEvS11_,"axG",@progbits,_ZN7rocprim17ROCPRIM_400000_NS6detail17trampoline_kernelINS0_14default_configENS1_21merge_config_selectorINS0_5tupleIJffEEENS0_10empty_typeEEEZNS1_10merge_implIS3_NS0_12zip_iteratorINS5_IJN6thrust23THRUST_200600_302600_NS6detail15normal_iteratorINSC_10device_ptrIKfEEEESI_EEEEESK_NSA_INS5_IJNSC_16discard_iteratorINSC_11use_defaultEEESN_EEEEEPS7_SQ_SQ_NSC_11hip_rocprim7__merge17predicate_wrapperIffNSC_4lessIfEEEEEE10hipError_tPvRmT0_T1_T2_T3_T4_T5_mmT6_P12ihipStream_tbEUlT_E0_NS1_11comp_targetILNS1_3genE9ELNS1_11target_archE1100ELNS1_3gpuE3ELNS1_3repE0EEENS1_30default_config_static_selectorELNS0_4arch9wavefront6targetE0EEEvS11_,comdat
	.protected	_ZN7rocprim17ROCPRIM_400000_NS6detail17trampoline_kernelINS0_14default_configENS1_21merge_config_selectorINS0_5tupleIJffEEENS0_10empty_typeEEEZNS1_10merge_implIS3_NS0_12zip_iteratorINS5_IJN6thrust23THRUST_200600_302600_NS6detail15normal_iteratorINSC_10device_ptrIKfEEEESI_EEEEESK_NSA_INS5_IJNSC_16discard_iteratorINSC_11use_defaultEEESN_EEEEEPS7_SQ_SQ_NSC_11hip_rocprim7__merge17predicate_wrapperIffNSC_4lessIfEEEEEE10hipError_tPvRmT0_T1_T2_T3_T4_T5_mmT6_P12ihipStream_tbEUlT_E0_NS1_11comp_targetILNS1_3genE9ELNS1_11target_archE1100ELNS1_3gpuE3ELNS1_3repE0EEENS1_30default_config_static_selectorELNS0_4arch9wavefront6targetE0EEEvS11_ ; -- Begin function _ZN7rocprim17ROCPRIM_400000_NS6detail17trampoline_kernelINS0_14default_configENS1_21merge_config_selectorINS0_5tupleIJffEEENS0_10empty_typeEEEZNS1_10merge_implIS3_NS0_12zip_iteratorINS5_IJN6thrust23THRUST_200600_302600_NS6detail15normal_iteratorINSC_10device_ptrIKfEEEESI_EEEEESK_NSA_INS5_IJNSC_16discard_iteratorINSC_11use_defaultEEESN_EEEEEPS7_SQ_SQ_NSC_11hip_rocprim7__merge17predicate_wrapperIffNSC_4lessIfEEEEEE10hipError_tPvRmT0_T1_T2_T3_T4_T5_mmT6_P12ihipStream_tbEUlT_E0_NS1_11comp_targetILNS1_3genE9ELNS1_11target_archE1100ELNS1_3gpuE3ELNS1_3repE0EEENS1_30default_config_static_selectorELNS0_4arch9wavefront6targetE0EEEvS11_
	.globl	_ZN7rocprim17ROCPRIM_400000_NS6detail17trampoline_kernelINS0_14default_configENS1_21merge_config_selectorINS0_5tupleIJffEEENS0_10empty_typeEEEZNS1_10merge_implIS3_NS0_12zip_iteratorINS5_IJN6thrust23THRUST_200600_302600_NS6detail15normal_iteratorINSC_10device_ptrIKfEEEESI_EEEEESK_NSA_INS5_IJNSC_16discard_iteratorINSC_11use_defaultEEESN_EEEEEPS7_SQ_SQ_NSC_11hip_rocprim7__merge17predicate_wrapperIffNSC_4lessIfEEEEEE10hipError_tPvRmT0_T1_T2_T3_T4_T5_mmT6_P12ihipStream_tbEUlT_E0_NS1_11comp_targetILNS1_3genE9ELNS1_11target_archE1100ELNS1_3gpuE3ELNS1_3repE0EEENS1_30default_config_static_selectorELNS0_4arch9wavefront6targetE0EEEvS11_
	.p2align	8
	.type	_ZN7rocprim17ROCPRIM_400000_NS6detail17trampoline_kernelINS0_14default_configENS1_21merge_config_selectorINS0_5tupleIJffEEENS0_10empty_typeEEEZNS1_10merge_implIS3_NS0_12zip_iteratorINS5_IJN6thrust23THRUST_200600_302600_NS6detail15normal_iteratorINSC_10device_ptrIKfEEEESI_EEEEESK_NSA_INS5_IJNSC_16discard_iteratorINSC_11use_defaultEEESN_EEEEEPS7_SQ_SQ_NSC_11hip_rocprim7__merge17predicate_wrapperIffNSC_4lessIfEEEEEE10hipError_tPvRmT0_T1_T2_T3_T4_T5_mmT6_P12ihipStream_tbEUlT_E0_NS1_11comp_targetILNS1_3genE9ELNS1_11target_archE1100ELNS1_3gpuE3ELNS1_3repE0EEENS1_30default_config_static_selectorELNS0_4arch9wavefront6targetE0EEEvS11_,@function
_ZN7rocprim17ROCPRIM_400000_NS6detail17trampoline_kernelINS0_14default_configENS1_21merge_config_selectorINS0_5tupleIJffEEENS0_10empty_typeEEEZNS1_10merge_implIS3_NS0_12zip_iteratorINS5_IJN6thrust23THRUST_200600_302600_NS6detail15normal_iteratorINSC_10device_ptrIKfEEEESI_EEEEESK_NSA_INS5_IJNSC_16discard_iteratorINSC_11use_defaultEEESN_EEEEEPS7_SQ_SQ_NSC_11hip_rocprim7__merge17predicate_wrapperIffNSC_4lessIfEEEEEE10hipError_tPvRmT0_T1_T2_T3_T4_T5_mmT6_P12ihipStream_tbEUlT_E0_NS1_11comp_targetILNS1_3genE9ELNS1_11target_archE1100ELNS1_3gpuE3ELNS1_3repE0EEENS1_30default_config_static_selectorELNS0_4arch9wavefront6targetE0EEEvS11_: ; @_ZN7rocprim17ROCPRIM_400000_NS6detail17trampoline_kernelINS0_14default_configENS1_21merge_config_selectorINS0_5tupleIJffEEENS0_10empty_typeEEEZNS1_10merge_implIS3_NS0_12zip_iteratorINS5_IJN6thrust23THRUST_200600_302600_NS6detail15normal_iteratorINSC_10device_ptrIKfEEEESI_EEEEESK_NSA_INS5_IJNSC_16discard_iteratorINSC_11use_defaultEEESN_EEEEEPS7_SQ_SQ_NSC_11hip_rocprim7__merge17predicate_wrapperIffNSC_4lessIfEEEEEE10hipError_tPvRmT0_T1_T2_T3_T4_T5_mmT6_P12ihipStream_tbEUlT_E0_NS1_11comp_targetILNS1_3genE9ELNS1_11target_archE1100ELNS1_3gpuE3ELNS1_3repE0EEENS1_30default_config_static_selectorELNS0_4arch9wavefront6targetE0EEEvS11_
; %bb.0:
	.section	.rodata,"a",@progbits
	.p2align	6, 0x0
	.amdhsa_kernel _ZN7rocprim17ROCPRIM_400000_NS6detail17trampoline_kernelINS0_14default_configENS1_21merge_config_selectorINS0_5tupleIJffEEENS0_10empty_typeEEEZNS1_10merge_implIS3_NS0_12zip_iteratorINS5_IJN6thrust23THRUST_200600_302600_NS6detail15normal_iteratorINSC_10device_ptrIKfEEEESI_EEEEESK_NSA_INS5_IJNSC_16discard_iteratorINSC_11use_defaultEEESN_EEEEEPS7_SQ_SQ_NSC_11hip_rocprim7__merge17predicate_wrapperIffNSC_4lessIfEEEEEE10hipError_tPvRmT0_T1_T2_T3_T4_T5_mmT6_P12ihipStream_tbEUlT_E0_NS1_11comp_targetILNS1_3genE9ELNS1_11target_archE1100ELNS1_3gpuE3ELNS1_3repE0EEENS1_30default_config_static_selectorELNS0_4arch9wavefront6targetE0EEEvS11_
		.amdhsa_group_segment_fixed_size 0
		.amdhsa_private_segment_fixed_size 0
		.amdhsa_kernarg_size 128
		.amdhsa_user_sgpr_count 6
		.amdhsa_user_sgpr_private_segment_buffer 1
		.amdhsa_user_sgpr_dispatch_ptr 0
		.amdhsa_user_sgpr_queue_ptr 0
		.amdhsa_user_sgpr_kernarg_segment_ptr 1
		.amdhsa_user_sgpr_dispatch_id 0
		.amdhsa_user_sgpr_flat_scratch_init 0
		.amdhsa_user_sgpr_private_segment_size 0
		.amdhsa_wavefront_size32 1
		.amdhsa_uses_dynamic_stack 0
		.amdhsa_system_sgpr_private_segment_wavefront_offset 0
		.amdhsa_system_sgpr_workgroup_id_x 1
		.amdhsa_system_sgpr_workgroup_id_y 0
		.amdhsa_system_sgpr_workgroup_id_z 0
		.amdhsa_system_sgpr_workgroup_info 0
		.amdhsa_system_vgpr_workitem_id 0
		.amdhsa_next_free_vgpr 1
		.amdhsa_next_free_sgpr 1
		.amdhsa_reserve_vcc 0
		.amdhsa_reserve_flat_scratch 0
		.amdhsa_float_round_mode_32 0
		.amdhsa_float_round_mode_16_64 0
		.amdhsa_float_denorm_mode_32 3
		.amdhsa_float_denorm_mode_16_64 3
		.amdhsa_dx10_clamp 1
		.amdhsa_ieee_mode 1
		.amdhsa_fp16_overflow 0
		.amdhsa_workgroup_processor_mode 1
		.amdhsa_memory_ordered 1
		.amdhsa_forward_progress 1
		.amdhsa_shared_vgpr_count 0
		.amdhsa_exception_fp_ieee_invalid_op 0
		.amdhsa_exception_fp_denorm_src 0
		.amdhsa_exception_fp_ieee_div_zero 0
		.amdhsa_exception_fp_ieee_overflow 0
		.amdhsa_exception_fp_ieee_underflow 0
		.amdhsa_exception_fp_ieee_inexact 0
		.amdhsa_exception_int_div_zero 0
	.end_amdhsa_kernel
	.section	.text._ZN7rocprim17ROCPRIM_400000_NS6detail17trampoline_kernelINS0_14default_configENS1_21merge_config_selectorINS0_5tupleIJffEEENS0_10empty_typeEEEZNS1_10merge_implIS3_NS0_12zip_iteratorINS5_IJN6thrust23THRUST_200600_302600_NS6detail15normal_iteratorINSC_10device_ptrIKfEEEESI_EEEEESK_NSA_INS5_IJNSC_16discard_iteratorINSC_11use_defaultEEESN_EEEEEPS7_SQ_SQ_NSC_11hip_rocprim7__merge17predicate_wrapperIffNSC_4lessIfEEEEEE10hipError_tPvRmT0_T1_T2_T3_T4_T5_mmT6_P12ihipStream_tbEUlT_E0_NS1_11comp_targetILNS1_3genE9ELNS1_11target_archE1100ELNS1_3gpuE3ELNS1_3repE0EEENS1_30default_config_static_selectorELNS0_4arch9wavefront6targetE0EEEvS11_,"axG",@progbits,_ZN7rocprim17ROCPRIM_400000_NS6detail17trampoline_kernelINS0_14default_configENS1_21merge_config_selectorINS0_5tupleIJffEEENS0_10empty_typeEEEZNS1_10merge_implIS3_NS0_12zip_iteratorINS5_IJN6thrust23THRUST_200600_302600_NS6detail15normal_iteratorINSC_10device_ptrIKfEEEESI_EEEEESK_NSA_INS5_IJNSC_16discard_iteratorINSC_11use_defaultEEESN_EEEEEPS7_SQ_SQ_NSC_11hip_rocprim7__merge17predicate_wrapperIffNSC_4lessIfEEEEEE10hipError_tPvRmT0_T1_T2_T3_T4_T5_mmT6_P12ihipStream_tbEUlT_E0_NS1_11comp_targetILNS1_3genE9ELNS1_11target_archE1100ELNS1_3gpuE3ELNS1_3repE0EEENS1_30default_config_static_selectorELNS0_4arch9wavefront6targetE0EEEvS11_,comdat
.Lfunc_end513:
	.size	_ZN7rocprim17ROCPRIM_400000_NS6detail17trampoline_kernelINS0_14default_configENS1_21merge_config_selectorINS0_5tupleIJffEEENS0_10empty_typeEEEZNS1_10merge_implIS3_NS0_12zip_iteratorINS5_IJN6thrust23THRUST_200600_302600_NS6detail15normal_iteratorINSC_10device_ptrIKfEEEESI_EEEEESK_NSA_INS5_IJNSC_16discard_iteratorINSC_11use_defaultEEESN_EEEEEPS7_SQ_SQ_NSC_11hip_rocprim7__merge17predicate_wrapperIffNSC_4lessIfEEEEEE10hipError_tPvRmT0_T1_T2_T3_T4_T5_mmT6_P12ihipStream_tbEUlT_E0_NS1_11comp_targetILNS1_3genE9ELNS1_11target_archE1100ELNS1_3gpuE3ELNS1_3repE0EEENS1_30default_config_static_selectorELNS0_4arch9wavefront6targetE0EEEvS11_, .Lfunc_end513-_ZN7rocprim17ROCPRIM_400000_NS6detail17trampoline_kernelINS0_14default_configENS1_21merge_config_selectorINS0_5tupleIJffEEENS0_10empty_typeEEEZNS1_10merge_implIS3_NS0_12zip_iteratorINS5_IJN6thrust23THRUST_200600_302600_NS6detail15normal_iteratorINSC_10device_ptrIKfEEEESI_EEEEESK_NSA_INS5_IJNSC_16discard_iteratorINSC_11use_defaultEEESN_EEEEEPS7_SQ_SQ_NSC_11hip_rocprim7__merge17predicate_wrapperIffNSC_4lessIfEEEEEE10hipError_tPvRmT0_T1_T2_T3_T4_T5_mmT6_P12ihipStream_tbEUlT_E0_NS1_11comp_targetILNS1_3genE9ELNS1_11target_archE1100ELNS1_3gpuE3ELNS1_3repE0EEENS1_30default_config_static_selectorELNS0_4arch9wavefront6targetE0EEEvS11_
                                        ; -- End function
	.set _ZN7rocprim17ROCPRIM_400000_NS6detail17trampoline_kernelINS0_14default_configENS1_21merge_config_selectorINS0_5tupleIJffEEENS0_10empty_typeEEEZNS1_10merge_implIS3_NS0_12zip_iteratorINS5_IJN6thrust23THRUST_200600_302600_NS6detail15normal_iteratorINSC_10device_ptrIKfEEEESI_EEEEESK_NSA_INS5_IJNSC_16discard_iteratorINSC_11use_defaultEEESN_EEEEEPS7_SQ_SQ_NSC_11hip_rocprim7__merge17predicate_wrapperIffNSC_4lessIfEEEEEE10hipError_tPvRmT0_T1_T2_T3_T4_T5_mmT6_P12ihipStream_tbEUlT_E0_NS1_11comp_targetILNS1_3genE9ELNS1_11target_archE1100ELNS1_3gpuE3ELNS1_3repE0EEENS1_30default_config_static_selectorELNS0_4arch9wavefront6targetE0EEEvS11_.num_vgpr, 0
	.set _ZN7rocprim17ROCPRIM_400000_NS6detail17trampoline_kernelINS0_14default_configENS1_21merge_config_selectorINS0_5tupleIJffEEENS0_10empty_typeEEEZNS1_10merge_implIS3_NS0_12zip_iteratorINS5_IJN6thrust23THRUST_200600_302600_NS6detail15normal_iteratorINSC_10device_ptrIKfEEEESI_EEEEESK_NSA_INS5_IJNSC_16discard_iteratorINSC_11use_defaultEEESN_EEEEEPS7_SQ_SQ_NSC_11hip_rocprim7__merge17predicate_wrapperIffNSC_4lessIfEEEEEE10hipError_tPvRmT0_T1_T2_T3_T4_T5_mmT6_P12ihipStream_tbEUlT_E0_NS1_11comp_targetILNS1_3genE9ELNS1_11target_archE1100ELNS1_3gpuE3ELNS1_3repE0EEENS1_30default_config_static_selectorELNS0_4arch9wavefront6targetE0EEEvS11_.num_agpr, 0
	.set _ZN7rocprim17ROCPRIM_400000_NS6detail17trampoline_kernelINS0_14default_configENS1_21merge_config_selectorINS0_5tupleIJffEEENS0_10empty_typeEEEZNS1_10merge_implIS3_NS0_12zip_iteratorINS5_IJN6thrust23THRUST_200600_302600_NS6detail15normal_iteratorINSC_10device_ptrIKfEEEESI_EEEEESK_NSA_INS5_IJNSC_16discard_iteratorINSC_11use_defaultEEESN_EEEEEPS7_SQ_SQ_NSC_11hip_rocprim7__merge17predicate_wrapperIffNSC_4lessIfEEEEEE10hipError_tPvRmT0_T1_T2_T3_T4_T5_mmT6_P12ihipStream_tbEUlT_E0_NS1_11comp_targetILNS1_3genE9ELNS1_11target_archE1100ELNS1_3gpuE3ELNS1_3repE0EEENS1_30default_config_static_selectorELNS0_4arch9wavefront6targetE0EEEvS11_.numbered_sgpr, 0
	.set _ZN7rocprim17ROCPRIM_400000_NS6detail17trampoline_kernelINS0_14default_configENS1_21merge_config_selectorINS0_5tupleIJffEEENS0_10empty_typeEEEZNS1_10merge_implIS3_NS0_12zip_iteratorINS5_IJN6thrust23THRUST_200600_302600_NS6detail15normal_iteratorINSC_10device_ptrIKfEEEESI_EEEEESK_NSA_INS5_IJNSC_16discard_iteratorINSC_11use_defaultEEESN_EEEEEPS7_SQ_SQ_NSC_11hip_rocprim7__merge17predicate_wrapperIffNSC_4lessIfEEEEEE10hipError_tPvRmT0_T1_T2_T3_T4_T5_mmT6_P12ihipStream_tbEUlT_E0_NS1_11comp_targetILNS1_3genE9ELNS1_11target_archE1100ELNS1_3gpuE3ELNS1_3repE0EEENS1_30default_config_static_selectorELNS0_4arch9wavefront6targetE0EEEvS11_.num_named_barrier, 0
	.set _ZN7rocprim17ROCPRIM_400000_NS6detail17trampoline_kernelINS0_14default_configENS1_21merge_config_selectorINS0_5tupleIJffEEENS0_10empty_typeEEEZNS1_10merge_implIS3_NS0_12zip_iteratorINS5_IJN6thrust23THRUST_200600_302600_NS6detail15normal_iteratorINSC_10device_ptrIKfEEEESI_EEEEESK_NSA_INS5_IJNSC_16discard_iteratorINSC_11use_defaultEEESN_EEEEEPS7_SQ_SQ_NSC_11hip_rocprim7__merge17predicate_wrapperIffNSC_4lessIfEEEEEE10hipError_tPvRmT0_T1_T2_T3_T4_T5_mmT6_P12ihipStream_tbEUlT_E0_NS1_11comp_targetILNS1_3genE9ELNS1_11target_archE1100ELNS1_3gpuE3ELNS1_3repE0EEENS1_30default_config_static_selectorELNS0_4arch9wavefront6targetE0EEEvS11_.private_seg_size, 0
	.set _ZN7rocprim17ROCPRIM_400000_NS6detail17trampoline_kernelINS0_14default_configENS1_21merge_config_selectorINS0_5tupleIJffEEENS0_10empty_typeEEEZNS1_10merge_implIS3_NS0_12zip_iteratorINS5_IJN6thrust23THRUST_200600_302600_NS6detail15normal_iteratorINSC_10device_ptrIKfEEEESI_EEEEESK_NSA_INS5_IJNSC_16discard_iteratorINSC_11use_defaultEEESN_EEEEEPS7_SQ_SQ_NSC_11hip_rocprim7__merge17predicate_wrapperIffNSC_4lessIfEEEEEE10hipError_tPvRmT0_T1_T2_T3_T4_T5_mmT6_P12ihipStream_tbEUlT_E0_NS1_11comp_targetILNS1_3genE9ELNS1_11target_archE1100ELNS1_3gpuE3ELNS1_3repE0EEENS1_30default_config_static_selectorELNS0_4arch9wavefront6targetE0EEEvS11_.uses_vcc, 0
	.set _ZN7rocprim17ROCPRIM_400000_NS6detail17trampoline_kernelINS0_14default_configENS1_21merge_config_selectorINS0_5tupleIJffEEENS0_10empty_typeEEEZNS1_10merge_implIS3_NS0_12zip_iteratorINS5_IJN6thrust23THRUST_200600_302600_NS6detail15normal_iteratorINSC_10device_ptrIKfEEEESI_EEEEESK_NSA_INS5_IJNSC_16discard_iteratorINSC_11use_defaultEEESN_EEEEEPS7_SQ_SQ_NSC_11hip_rocprim7__merge17predicate_wrapperIffNSC_4lessIfEEEEEE10hipError_tPvRmT0_T1_T2_T3_T4_T5_mmT6_P12ihipStream_tbEUlT_E0_NS1_11comp_targetILNS1_3genE9ELNS1_11target_archE1100ELNS1_3gpuE3ELNS1_3repE0EEENS1_30default_config_static_selectorELNS0_4arch9wavefront6targetE0EEEvS11_.uses_flat_scratch, 0
	.set _ZN7rocprim17ROCPRIM_400000_NS6detail17trampoline_kernelINS0_14default_configENS1_21merge_config_selectorINS0_5tupleIJffEEENS0_10empty_typeEEEZNS1_10merge_implIS3_NS0_12zip_iteratorINS5_IJN6thrust23THRUST_200600_302600_NS6detail15normal_iteratorINSC_10device_ptrIKfEEEESI_EEEEESK_NSA_INS5_IJNSC_16discard_iteratorINSC_11use_defaultEEESN_EEEEEPS7_SQ_SQ_NSC_11hip_rocprim7__merge17predicate_wrapperIffNSC_4lessIfEEEEEE10hipError_tPvRmT0_T1_T2_T3_T4_T5_mmT6_P12ihipStream_tbEUlT_E0_NS1_11comp_targetILNS1_3genE9ELNS1_11target_archE1100ELNS1_3gpuE3ELNS1_3repE0EEENS1_30default_config_static_selectorELNS0_4arch9wavefront6targetE0EEEvS11_.has_dyn_sized_stack, 0
	.set _ZN7rocprim17ROCPRIM_400000_NS6detail17trampoline_kernelINS0_14default_configENS1_21merge_config_selectorINS0_5tupleIJffEEENS0_10empty_typeEEEZNS1_10merge_implIS3_NS0_12zip_iteratorINS5_IJN6thrust23THRUST_200600_302600_NS6detail15normal_iteratorINSC_10device_ptrIKfEEEESI_EEEEESK_NSA_INS5_IJNSC_16discard_iteratorINSC_11use_defaultEEESN_EEEEEPS7_SQ_SQ_NSC_11hip_rocprim7__merge17predicate_wrapperIffNSC_4lessIfEEEEEE10hipError_tPvRmT0_T1_T2_T3_T4_T5_mmT6_P12ihipStream_tbEUlT_E0_NS1_11comp_targetILNS1_3genE9ELNS1_11target_archE1100ELNS1_3gpuE3ELNS1_3repE0EEENS1_30default_config_static_selectorELNS0_4arch9wavefront6targetE0EEEvS11_.has_recursion, 0
	.set _ZN7rocprim17ROCPRIM_400000_NS6detail17trampoline_kernelINS0_14default_configENS1_21merge_config_selectorINS0_5tupleIJffEEENS0_10empty_typeEEEZNS1_10merge_implIS3_NS0_12zip_iteratorINS5_IJN6thrust23THRUST_200600_302600_NS6detail15normal_iteratorINSC_10device_ptrIKfEEEESI_EEEEESK_NSA_INS5_IJNSC_16discard_iteratorINSC_11use_defaultEEESN_EEEEEPS7_SQ_SQ_NSC_11hip_rocprim7__merge17predicate_wrapperIffNSC_4lessIfEEEEEE10hipError_tPvRmT0_T1_T2_T3_T4_T5_mmT6_P12ihipStream_tbEUlT_E0_NS1_11comp_targetILNS1_3genE9ELNS1_11target_archE1100ELNS1_3gpuE3ELNS1_3repE0EEENS1_30default_config_static_selectorELNS0_4arch9wavefront6targetE0EEEvS11_.has_indirect_call, 0
	.section	.AMDGPU.csdata,"",@progbits
; Kernel info:
; codeLenInByte = 0
; TotalNumSgprs: 0
; NumVgprs: 0
; ScratchSize: 0
; MemoryBound: 0
; FloatMode: 240
; IeeeMode: 1
; LDSByteSize: 0 bytes/workgroup (compile time only)
; SGPRBlocks: 0
; VGPRBlocks: 0
; NumSGPRsForWavesPerEU: 1
; NumVGPRsForWavesPerEU: 1
; Occupancy: 16
; WaveLimiterHint : 0
; COMPUTE_PGM_RSRC2:SCRATCH_EN: 0
; COMPUTE_PGM_RSRC2:USER_SGPR: 6
; COMPUTE_PGM_RSRC2:TRAP_HANDLER: 0
; COMPUTE_PGM_RSRC2:TGID_X_EN: 1
; COMPUTE_PGM_RSRC2:TGID_Y_EN: 0
; COMPUTE_PGM_RSRC2:TGID_Z_EN: 0
; COMPUTE_PGM_RSRC2:TIDIG_COMP_CNT: 0
	.section	.text._ZN7rocprim17ROCPRIM_400000_NS6detail17trampoline_kernelINS0_14default_configENS1_21merge_config_selectorINS0_5tupleIJffEEENS0_10empty_typeEEEZNS1_10merge_implIS3_NS0_12zip_iteratorINS5_IJN6thrust23THRUST_200600_302600_NS6detail15normal_iteratorINSC_10device_ptrIKfEEEESI_EEEEESK_NSA_INS5_IJNSC_16discard_iteratorINSC_11use_defaultEEESN_EEEEEPS7_SQ_SQ_NSC_11hip_rocprim7__merge17predicate_wrapperIffNSC_4lessIfEEEEEE10hipError_tPvRmT0_T1_T2_T3_T4_T5_mmT6_P12ihipStream_tbEUlT_E0_NS1_11comp_targetILNS1_3genE8ELNS1_11target_archE1030ELNS1_3gpuE2ELNS1_3repE0EEENS1_30default_config_static_selectorELNS0_4arch9wavefront6targetE0EEEvS11_,"axG",@progbits,_ZN7rocprim17ROCPRIM_400000_NS6detail17trampoline_kernelINS0_14default_configENS1_21merge_config_selectorINS0_5tupleIJffEEENS0_10empty_typeEEEZNS1_10merge_implIS3_NS0_12zip_iteratorINS5_IJN6thrust23THRUST_200600_302600_NS6detail15normal_iteratorINSC_10device_ptrIKfEEEESI_EEEEESK_NSA_INS5_IJNSC_16discard_iteratorINSC_11use_defaultEEESN_EEEEEPS7_SQ_SQ_NSC_11hip_rocprim7__merge17predicate_wrapperIffNSC_4lessIfEEEEEE10hipError_tPvRmT0_T1_T2_T3_T4_T5_mmT6_P12ihipStream_tbEUlT_E0_NS1_11comp_targetILNS1_3genE8ELNS1_11target_archE1030ELNS1_3gpuE2ELNS1_3repE0EEENS1_30default_config_static_selectorELNS0_4arch9wavefront6targetE0EEEvS11_,comdat
	.protected	_ZN7rocprim17ROCPRIM_400000_NS6detail17trampoline_kernelINS0_14default_configENS1_21merge_config_selectorINS0_5tupleIJffEEENS0_10empty_typeEEEZNS1_10merge_implIS3_NS0_12zip_iteratorINS5_IJN6thrust23THRUST_200600_302600_NS6detail15normal_iteratorINSC_10device_ptrIKfEEEESI_EEEEESK_NSA_INS5_IJNSC_16discard_iteratorINSC_11use_defaultEEESN_EEEEEPS7_SQ_SQ_NSC_11hip_rocprim7__merge17predicate_wrapperIffNSC_4lessIfEEEEEE10hipError_tPvRmT0_T1_T2_T3_T4_T5_mmT6_P12ihipStream_tbEUlT_E0_NS1_11comp_targetILNS1_3genE8ELNS1_11target_archE1030ELNS1_3gpuE2ELNS1_3repE0EEENS1_30default_config_static_selectorELNS0_4arch9wavefront6targetE0EEEvS11_ ; -- Begin function _ZN7rocprim17ROCPRIM_400000_NS6detail17trampoline_kernelINS0_14default_configENS1_21merge_config_selectorINS0_5tupleIJffEEENS0_10empty_typeEEEZNS1_10merge_implIS3_NS0_12zip_iteratorINS5_IJN6thrust23THRUST_200600_302600_NS6detail15normal_iteratorINSC_10device_ptrIKfEEEESI_EEEEESK_NSA_INS5_IJNSC_16discard_iteratorINSC_11use_defaultEEESN_EEEEEPS7_SQ_SQ_NSC_11hip_rocprim7__merge17predicate_wrapperIffNSC_4lessIfEEEEEE10hipError_tPvRmT0_T1_T2_T3_T4_T5_mmT6_P12ihipStream_tbEUlT_E0_NS1_11comp_targetILNS1_3genE8ELNS1_11target_archE1030ELNS1_3gpuE2ELNS1_3repE0EEENS1_30default_config_static_selectorELNS0_4arch9wavefront6targetE0EEEvS11_
	.globl	_ZN7rocprim17ROCPRIM_400000_NS6detail17trampoline_kernelINS0_14default_configENS1_21merge_config_selectorINS0_5tupleIJffEEENS0_10empty_typeEEEZNS1_10merge_implIS3_NS0_12zip_iteratorINS5_IJN6thrust23THRUST_200600_302600_NS6detail15normal_iteratorINSC_10device_ptrIKfEEEESI_EEEEESK_NSA_INS5_IJNSC_16discard_iteratorINSC_11use_defaultEEESN_EEEEEPS7_SQ_SQ_NSC_11hip_rocprim7__merge17predicate_wrapperIffNSC_4lessIfEEEEEE10hipError_tPvRmT0_T1_T2_T3_T4_T5_mmT6_P12ihipStream_tbEUlT_E0_NS1_11comp_targetILNS1_3genE8ELNS1_11target_archE1030ELNS1_3gpuE2ELNS1_3repE0EEENS1_30default_config_static_selectorELNS0_4arch9wavefront6targetE0EEEvS11_
	.p2align	8
	.type	_ZN7rocprim17ROCPRIM_400000_NS6detail17trampoline_kernelINS0_14default_configENS1_21merge_config_selectorINS0_5tupleIJffEEENS0_10empty_typeEEEZNS1_10merge_implIS3_NS0_12zip_iteratorINS5_IJN6thrust23THRUST_200600_302600_NS6detail15normal_iteratorINSC_10device_ptrIKfEEEESI_EEEEESK_NSA_INS5_IJNSC_16discard_iteratorINSC_11use_defaultEEESN_EEEEEPS7_SQ_SQ_NSC_11hip_rocprim7__merge17predicate_wrapperIffNSC_4lessIfEEEEEE10hipError_tPvRmT0_T1_T2_T3_T4_T5_mmT6_P12ihipStream_tbEUlT_E0_NS1_11comp_targetILNS1_3genE8ELNS1_11target_archE1030ELNS1_3gpuE2ELNS1_3repE0EEENS1_30default_config_static_selectorELNS0_4arch9wavefront6targetE0EEEvS11_,@function
_ZN7rocprim17ROCPRIM_400000_NS6detail17trampoline_kernelINS0_14default_configENS1_21merge_config_selectorINS0_5tupleIJffEEENS0_10empty_typeEEEZNS1_10merge_implIS3_NS0_12zip_iteratorINS5_IJN6thrust23THRUST_200600_302600_NS6detail15normal_iteratorINSC_10device_ptrIKfEEEESI_EEEEESK_NSA_INS5_IJNSC_16discard_iteratorINSC_11use_defaultEEESN_EEEEEPS7_SQ_SQ_NSC_11hip_rocprim7__merge17predicate_wrapperIffNSC_4lessIfEEEEEE10hipError_tPvRmT0_T1_T2_T3_T4_T5_mmT6_P12ihipStream_tbEUlT_E0_NS1_11comp_targetILNS1_3genE8ELNS1_11target_archE1030ELNS1_3gpuE2ELNS1_3repE0EEENS1_30default_config_static_selectorELNS0_4arch9wavefront6targetE0EEEvS11_: ; @_ZN7rocprim17ROCPRIM_400000_NS6detail17trampoline_kernelINS0_14default_configENS1_21merge_config_selectorINS0_5tupleIJffEEENS0_10empty_typeEEEZNS1_10merge_implIS3_NS0_12zip_iteratorINS5_IJN6thrust23THRUST_200600_302600_NS6detail15normal_iteratorINSC_10device_ptrIKfEEEESI_EEEEESK_NSA_INS5_IJNSC_16discard_iteratorINSC_11use_defaultEEESN_EEEEEPS7_SQ_SQ_NSC_11hip_rocprim7__merge17predicate_wrapperIffNSC_4lessIfEEEEEE10hipError_tPvRmT0_T1_T2_T3_T4_T5_mmT6_P12ihipStream_tbEUlT_E0_NS1_11comp_targetILNS1_3genE8ELNS1_11target_archE1030ELNS1_3gpuE2ELNS1_3repE0EEENS1_30default_config_static_selectorELNS0_4arch9wavefront6targetE0EEEvS11_
; %bb.0:
	s_clause 0x2
	s_load_dwordx4 s[0:3], s[4:5], 0x68
	s_load_dwordx8 s[8:15], s[4:5], 0x8
	s_load_dwordx2 s[20:21], s[4:5], 0x28
	s_lshl_b32 s17, s6, 12
	s_mov_b32 s19, 0
	v_mov_b32_e32 v1, 0
	s_waitcnt lgkmcnt(0)
	s_add_i32 s16, s2, s0
	s_add_i32 s0, s16, 0xfff
	s_lshr_b32 s0, s0, 12
	s_min_u32 s1, s6, s0
	s_lshl_b32 s1, s1, 2
	s_load_dword s18, s[8:9], s1 offset:0x0
	s_add_i32 s1, s6, 1
	s_min_u32 s0, s1, s0
	s_lshl_b32 s0, s0, 2
	s_load_dword s22, s[8:9], s0 offset:0x0
	s_add_i32 s0, s17, 0x1000
	s_mov_b32 s9, s19
	s_min_u32 s23, s16, s0
	s_waitcnt lgkmcnt(0)
	s_lshl_b64 s[2:3], s[18:19], 2
	s_sub_i32 s8, s17, s18
	s_add_u32 s0, s10, s2
	s_addc_u32 s1, s11, s3
	s_add_u32 s2, s12, s2
	s_addc_u32 s3, s13, s3
	s_lshl_b64 s[6:7], s[8:9], 2
	s_mov_b32 s11, exec_lo
	s_add_u32 s4, s14, s6
	s_addc_u32 s5, s15, s7
	s_add_u32 s6, s20, s6
	s_addc_u32 s7, s21, s7
	s_add_i32 s8, s8, s22
	s_sub_i32 s15, s22, s18
	s_sub_i32 s10, s23, s8
	s_add_u32 s8, s10, s15
	s_addc_u32 s9, 0, 0
	v_cmpx_le_u32_e64 s15, v0
	s_xor_b32 s11, exec_lo, s11
	s_cbranch_execz .LBB514_4
; %bb.1:
	s_mov_b32 s12, exec_lo
	v_cmpx_gt_u64_e64 s[8:9], v[0:1]
	s_cbranch_execz .LBB514_3
; %bb.2:
	v_subrev_nc_u32_e32 v1, s15, v0
	v_lshlrev_b32_e32 v3, 3, v0
	v_lshlrev_b32_e32 v2, 2, v1
	s_clause 0x1
	global_load_dword v1, v2, s[4:5]
	global_load_dword v2, v2, s[6:7]
	s_waitcnt vmcnt(0)
	ds_write_b64 v3, v[1:2]
.LBB514_3:
	s_or_b32 exec_lo, exec_lo, s12
.LBB514_4:
	s_or_saveexec_b32 s11, s11
	v_lshlrev_b32_e32 v32, 2, v0
	v_lshlrev_b32_e32 v3, 3, v0
	s_xor_b32 exec_lo, exec_lo, s11
	s_cbranch_execz .LBB514_6
; %bb.5:
	s_clause 0x1
	global_load_dword v1, v32, s[0:1]
	global_load_dword v2, v32, s[2:3]
	s_waitcnt vmcnt(0)
	ds_write_b64 v3, v[1:2]
.LBB514_6:
	s_or_b32 exec_lo, exec_lo, s11
	v_or_b32_e32 v1, 0x100, v0
	s_mov_b32 s11, exec_lo
	v_cmpx_le_u32_e64 s15, v1
	s_xor_b32 s11, exec_lo, s11
	s_cbranch_execz .LBB514_10
; %bb.7:
	v_mov_b32_e32 v2, 0
	s_mov_b32 s12, exec_lo
	v_cmpx_gt_u64_e64 s[8:9], v[1:2]
	s_cbranch_execz .LBB514_9
; %bb.8:
	v_sub_co_u32 v1, s13, v0, s15
	v_sub_co_ci_u32_e64 v2, null, 0, 0, s13
	v_lshlrev_b64 v[1:2], 2, v[1:2]
	v_add_co_u32 v4, vcc_lo, s4, v1
	v_add_co_ci_u32_e64 v5, null, s5, v2, vcc_lo
	v_add_co_u32 v1, vcc_lo, s6, v1
	v_add_co_ci_u32_e64 v2, null, s7, v2, vcc_lo
	global_load_dword v4, v[4:5], off offset:1024
	global_load_dword v5, v[1:2], off offset:1024
	s_waitcnt vmcnt(0)
	ds_write_b64 v3, v[4:5] offset:2048
.LBB514_9:
	s_or_b32 exec_lo, exec_lo, s12
.LBB514_10:
	s_andn2_saveexec_b32 s11, s11
	s_cbranch_execz .LBB514_12
; %bb.11:
	s_clause 0x1
	global_load_dword v1, v32, s[0:1] offset:1024
	global_load_dword v2, v32, s[2:3] offset:1024
	s_waitcnt vmcnt(0)
	ds_write_b64 v3, v[1:2] offset:2048
.LBB514_12:
	s_or_b32 exec_lo, exec_lo, s11
	v_or_b32_e32 v1, 0x200, v0
	v_mov_b32_e32 v2, 0
	s_mov_b32 s11, exec_lo
	v_cmpx_le_u32_e64 s15, v1
	s_xor_b32 s11, exec_lo, s11
	s_cbranch_execz .LBB514_16
; %bb.13:
	s_mov_b32 s12, exec_lo
	v_cmpx_gt_u64_e64 s[8:9], v[1:2]
	s_cbranch_execz .LBB514_15
; %bb.14:
	v_subrev_nc_u32_e32 v1, s15, v1
	v_lshlrev_b32_e32 v2, 2, v1
	s_clause 0x1
	global_load_dword v1, v2, s[4:5]
	global_load_dword v2, v2, s[6:7]
	s_waitcnt vmcnt(0)
	ds_write_b64 v3, v[1:2] offset:4096
.LBB514_15:
	s_or_b32 exec_lo, exec_lo, s12
                                        ; implicit-def: $vgpr1_vgpr2
.LBB514_16:
	s_andn2_saveexec_b32 s11, s11
	s_cbranch_execz .LBB514_18
; %bb.17:
	v_lshlrev_b32_e32 v2, 2, v1
	s_clause 0x1
	global_load_dword v1, v2, s[0:1]
	global_load_dword v2, v2, s[2:3]
	s_waitcnt vmcnt(0)
	ds_write_b64 v3, v[1:2] offset:4096
.LBB514_18:
	s_or_b32 exec_lo, exec_lo, s11
	v_or_b32_e32 v1, 0x300, v0
	v_mov_b32_e32 v2, 0
	s_mov_b32 s11, exec_lo
	v_cmpx_le_u32_e64 s15, v1
	s_xor_b32 s11, exec_lo, s11
	s_cbranch_execz .LBB514_22
; %bb.19:
	s_mov_b32 s12, exec_lo
	v_cmpx_gt_u64_e64 s[8:9], v[1:2]
	s_cbranch_execz .LBB514_21
; %bb.20:
	v_subrev_nc_u32_e32 v1, s15, v1
	v_lshlrev_b32_e32 v2, 2, v1
	s_clause 0x1
	global_load_dword v1, v2, s[4:5]
	global_load_dword v2, v2, s[6:7]
	s_waitcnt vmcnt(0)
	ds_write_b64 v3, v[1:2] offset:6144
.LBB514_21:
	s_or_b32 exec_lo, exec_lo, s12
                                        ; implicit-def: $vgpr1_vgpr2
.LBB514_22:
	s_andn2_saveexec_b32 s11, s11
	s_cbranch_execz .LBB514_24
; %bb.23:
	v_lshlrev_b32_e32 v2, 2, v1
	s_clause 0x1
	global_load_dword v1, v2, s[0:1]
	global_load_dword v2, v2, s[2:3]
	s_waitcnt vmcnt(0)
	ds_write_b64 v3, v[1:2] offset:6144
.LBB514_24:
	;; [unrolled: 33-line block ×13, first 2 shown]
	s_or_b32 exec_lo, exec_lo, s11
	v_or_b32_e32 v1, 0xf00, v0
	v_mov_b32_e32 v2, 0
	s_mov_b32 s11, exec_lo
	v_cmpx_le_u32_e64 s15, v1
	s_xor_b32 s11, exec_lo, s11
	s_cbranch_execz .LBB514_94
; %bb.91:
	v_cmp_gt_u64_e32 vcc_lo, s[8:9], v[1:2]
	s_and_saveexec_b32 s8, vcc_lo
	s_cbranch_execz .LBB514_93
; %bb.92:
	v_subrev_nc_u32_e32 v1, s15, v1
	v_lshlrev_b32_e32 v2, 2, v1
	s_clause 0x1
	global_load_dword v1, v2, s[4:5]
	global_load_dword v2, v2, s[6:7]
	s_waitcnt vmcnt(0)
	ds_write_b64 v3, v[1:2] offset:30720
.LBB514_93:
	s_or_b32 exec_lo, exec_lo, s8
                                        ; implicit-def: $vgpr1_vgpr2
                                        ; implicit-def: $vgpr3
.LBB514_94:
	s_andn2_saveexec_b32 s4, s11
	s_cbranch_execz .LBB514_96
; %bb.95:
	v_lshlrev_b32_e32 v2, 2, v1
	s_clause 0x1
	global_load_dword v1, v2, s[0:1]
	global_load_dword v2, v2, s[2:3]
	s_waitcnt vmcnt(0)
	ds_write_b64 v3, v[1:2] offset:30720
.LBB514_96:
	s_or_b32 exec_lo, exec_lo, s4
	v_lshlrev_b32_e32 v33, 4, v0
	s_mov_b32 s0, exec_lo
	s_waitcnt lgkmcnt(0)
	s_barrier
	buffer_gl0_inv
	v_sub_nc_u32_e64 v34, v33, s10 clamp
	v_min_u32_e32 v0, s15, v33
	v_cmpx_lt_u32_e64 v34, v0
	s_cbranch_execz .LBB514_100
; %bb.97:
	v_lshlrev_b32_e32 v1, 3, v33
	s_mov_b32 s1, 0
	v_lshl_add_u32 v1, s15, 3, v1
	.p2align	6
.LBB514_98:                             ; =>This Inner Loop Header: Depth=1
	v_add_nc_u32_e32 v2, v0, v34
	v_lshrrev_b32_e32 v2, 1, v2
	v_not_b32_e32 v3, v2
	v_lshlrev_b32_e32 v4, 3, v2
	v_add_nc_u32_e32 v5, 1, v2
	v_lshl_add_u32 v3, v3, 3, v1
	ds_read_b32 v4, v4
	ds_read_b32 v3, v3
	s_waitcnt lgkmcnt(0)
	v_cmp_lt_f32_e32 vcc_lo, v3, v4
	v_cndmask_b32_e32 v0, v0, v2, vcc_lo
	v_cndmask_b32_e32 v34, v5, v34, vcc_lo
	v_cmp_ge_u32_e32 vcc_lo, v34, v0
	s_or_b32 s1, vcc_lo, s1
	s_andn2_b32 exec_lo, exec_lo, s1
	s_cbranch_execnz .LBB514_98
; %bb.99:
	s_or_b32 exec_lo, exec_lo, s1
.LBB514_100:
	s_or_b32 exec_lo, exec_lo, s0
	v_add_nc_u32_e32 v0, s15, v33
	s_add_i32 s19, s10, s15
	v_cmp_ge_u32_e32 vcc_lo, s15, v34
	v_mov_b32_e32 v30, 0
	v_mov_b32_e32 v31, 0
	v_sub_nc_u32_e32 v35, v0, v34
	v_mov_b32_e32 v28, 0
	v_mov_b32_e32 v29, 0
	;; [unrolled: 1-line block ×4, first 2 shown]
	v_cmp_ge_u32_e64 s0, s19, v35
	v_mov_b32_e32 v12, 0
	v_mov_b32_e32 v13, 0
	;; [unrolled: 1-line block ×26, first 2 shown]
	s_or_b32 s0, vcc_lo, s0
	s_and_saveexec_b32 s18, s0
	s_cbranch_execz .LBB514_106
; %bb.101:
	v_cmp_gt_u32_e32 vcc_lo, s15, v34
	v_mov_b32_e32 v0, 0
	v_mov_b32_e32 v2, 0
	;; [unrolled: 1-line block ×3, first 2 shown]
	s_and_saveexec_b32 s0, vcc_lo
; %bb.102:
	v_lshlrev_b32_e32 v1, 3, v34
	ds_read_b64 v[2:3], v1
; %bb.103:
	s_or_b32 exec_lo, exec_lo, s0
	v_cmp_le_u32_e64 s0, s19, v35
	v_mov_b32_e32 v1, 0
	s_mov_b32 s2, exec_lo
	v_cmpx_gt_u32_e64 s19, v35
; %bb.104:
	v_lshlrev_b32_e32 v0, 3, v35
	ds_read_b64 v[0:1], v0
; %bb.105:
	s_or_b32 exec_lo, exec_lo, s2
	s_waitcnt lgkmcnt(0)
	v_cmp_nlt_f32_e64 s1, v0, v2
	v_mov_b32_e32 v22, s15
	s_and_b32 s1, vcc_lo, s1
	s_or_b32 vcc_lo, s0, s1
	v_cndmask_b32_e32 v4, v35, v34, vcc_lo
	v_cndmask_b32_e32 v5, s19, v22, vcc_lo
	v_add_nc_u32_e32 v6, 1, v4
	v_add_nc_u32_e32 v4, -1, v5
	v_cndmask_b32_e32 v8, v34, v6, vcc_lo
	v_min_u32_e32 v4, v6, v4
	v_cmp_gt_u32_e64 s0, s15, v8
	v_lshlrev_b32_e32 v4, 3, v4
	ds_read_b64 v[4:5], v4
	s_waitcnt lgkmcnt(0)
	v_cndmask_b32_e32 v25, v4, v0, vcc_lo
	v_cndmask_b32_e32 v26, v2, v4, vcc_lo
	;; [unrolled: 1-line block ×4, first 2 shown]
	v_cmp_nlt_f32_e64 s1, v25, v26
	v_cmp_le_u32_e64 s2, s19, v4
	s_and_b32 s0, s0, s1
	s_or_b32 s0, s2, s0
	v_cndmask_b32_e64 v6, v4, v8, s0
	v_cndmask_b32_e64 v7, s19, v22, s0
	v_add_nc_u32_e32 v9, 1, v6
	v_add_nc_u32_e32 v6, -1, v7
	v_cndmask_b32_e64 v10, v8, v9, s0
	v_min_u32_e32 v6, v9, v6
	v_cndmask_b32_e64 v4, v9, v4, s0
	v_cmp_gt_u32_e64 s1, s15, v10
	v_lshlrev_b32_e32 v6, 3, v6
	v_cmp_le_u32_e64 s3, s19, v4
	ds_read_b64 v[6:7], v6
	s_waitcnt lgkmcnt(0)
	v_cndmask_b32_e64 v31, v6, v25, s0
	v_cndmask_b32_e64 v38, v26, v6, s0
	;; [unrolled: 1-line block ×3, first 2 shown]
	v_cmp_nlt_f32_e64 s2, v31, v38
	s_and_b32 s1, s1, s2
	s_or_b32 s1, s3, s1
	v_cndmask_b32_e64 v6, v4, v10, s1
	v_cndmask_b32_e64 v8, s19, v22, s1
	v_add_nc_u32_e32 v6, 1, v6
	v_add_nc_u32_e32 v8, -1, v8
	v_cndmask_b32_e64 v12, v10, v6, s1
	v_min_u32_e32 v8, v6, v8
	v_cndmask_b32_e64 v4, v6, v4, s1
	v_cmp_gt_u32_e64 s2, s15, v12
	v_lshlrev_b32_e32 v8, 3, v8
	v_cmp_le_u32_e64 s4, s19, v4
	ds_read_b64 v[8:9], v8
	s_waitcnt lgkmcnt(0)
	v_cndmask_b32_e64 v39, v8, v31, s1
	v_cndmask_b32_e64 v8, v38, v8, s1
	v_cmp_nlt_f32_e64 s3, v39, v8
	s_and_b32 s2, s2, s3
	s_or_b32 s2, s4, s2
	v_cndmask_b32_e64 v6, v4, v12, s2
	v_cndmask_b32_e64 v10, s19, v22, s2
	v_add_nc_u32_e32 v6, 1, v6
	v_add_nc_u32_e32 v10, -1, v10
	v_cndmask_b32_e64 v14, v12, v6, s2
	v_min_u32_e32 v10, v6, v10
	v_cndmask_b32_e64 v4, v6, v4, s2
	v_cmp_gt_u32_e64 s3, s15, v14
	v_lshlrev_b32_e32 v10, 3, v10
	v_cmp_le_u32_e64 s5, s19, v4
	ds_read_b64 v[10:11], v10
	s_waitcnt lgkmcnt(0)
	v_cndmask_b32_e64 v40, v10, v39, s2
	v_cndmask_b32_e64 v10, v8, v10, s2
	;; [unrolled: 17-line block ×5, first 2 shown]
	v_cmp_nlt_f32_e64 s7, v43, v44
	s_and_b32 s6, s6, s7
	s_or_b32 s6, s8, s6
	v_cndmask_b32_e64 v6, v4, v20, s6
	v_cndmask_b32_e64 v16, s19, v22, s6
	v_add_nc_u32_e32 v6, 1, v6
	v_add_nc_u32_e32 v16, -1, v16
	v_cndmask_b32_e64 v4, v6, v4, s6
	v_min_u32_e32 v16, v6, v16
	v_cmp_le_u32_e64 s9, s19, v4
	v_lshlrev_b32_e32 v16, 3, v16
	ds_read_b64 v[18:19], v16
	v_cndmask_b32_e64 v16, v20, v6, s6
	v_cmp_gt_u32_e64 s7, s15, v16
	s_waitcnt lgkmcnt(0)
	v_cndmask_b32_e64 v45, v18, v43, s6
	v_cndmask_b32_e64 v18, v44, v18, s6
	v_cmp_nlt_f32_e64 s8, v45, v18
	s_and_b32 s7, s7, s8
	s_or_b32 s7, s9, s7
	v_cndmask_b32_e64 v6, v4, v16, s7
	v_cndmask_b32_e64 v20, s19, v22, s7
	v_add_nc_u32_e32 v6, 1, v6
	v_add_nc_u32_e32 v20, -1, v20
	v_cndmask_b32_e64 v16, v16, v6, s7
	v_min_u32_e32 v20, v6, v20
	v_cndmask_b32_e64 v4, v6, v4, s7
	v_cmp_gt_u32_e64 s8, s15, v16
	v_lshlrev_b32_e32 v20, 3, v20
	v_cmp_le_u32_e64 s10, s19, v4
	ds_read_b64 v[20:21], v20
	s_waitcnt lgkmcnt(0)
	v_cndmask_b32_e64 v46, v20, v45, s7
	v_cndmask_b32_e64 v47, v18, v20, s7
	v_cmp_nlt_f32_e64 s9, v46, v47
	s_and_b32 s8, s8, s9
	s_or_b32 s8, s10, s8
	v_cndmask_b32_e64 v6, v4, v16, s8
	v_cndmask_b32_e64 v20, s19, v22, s8
	v_add_nc_u32_e32 v6, 1, v6
	v_add_nc_u32_e32 v20, -1, v20
	v_cndmask_b32_e64 v16, v16, v6, s8
	v_min_u32_e32 v20, v6, v20
	v_cndmask_b32_e64 v4, v6, v4, s8
	v_cmp_gt_u32_e64 s9, s15, v16
	v_lshlrev_b32_e32 v20, 3, v20
	v_cmp_le_u32_e64 s11, s19, v4
	ds_read_b64 v[23:24], v20
	;; [unrolled: 17-line block ×3, first 2 shown]
	s_waitcnt lgkmcnt(0)
	v_cndmask_b32_e64 v50, v27, v48, s9
	v_cndmask_b32_e64 v51, v49, v27, s9
	v_cndmask_b32_e32 v27, v5, v1, vcc_lo
	v_cndmask_b32_e32 v5, v1, v3, vcc_lo
	v_cmp_nlt_f32_e64 s11, v50, v51
	v_cndmask_b32_e64 v55, v7, v27, s0
	v_cndmask_b32_e64 v7, v27, v54, s0
	s_and_b32 s10, s10, s11
	v_cndmask_b32_e64 v1, v55, v56, s1
	s_or_b32 s10, s12, s10
	v_cndmask_b32_e64 v6, v4, v16, s10
	v_cndmask_b32_e64 v20, s19, v22, s10
	v_add_nc_u32_e32 v6, 1, v6
	v_add_nc_u32_e32 v20, -1, v20
	v_cndmask_b32_e64 v16, v16, v6, s10
	v_min_u32_e32 v20, v6, v20
	v_cndmask_b32_e64 v4, v6, v4, s10
	v_cmp_gt_u32_e64 s11, s15, v16
	v_lshlrev_b32_e32 v20, 3, v20
	v_cmp_le_u32_e64 s13, s19, v4
	ds_read_b64 v[29:30], v20
	s_waitcnt lgkmcnt(0)
	v_cndmask_b32_e64 v52, v29, v50, s10
	v_cndmask_b32_e64 v29, v51, v29, s10
	v_cmp_nlt_f32_e64 s12, v52, v29
	s_and_b32 s11, s11, s12
	s_or_b32 s11, s13, s11
	v_cndmask_b32_e64 v6, v4, v16, s11
	v_cndmask_b32_e64 v20, s19, v22, s11
	v_add_nc_u32_e32 v6, 1, v6
	v_add_nc_u32_e32 v20, -1, v20
	v_cndmask_b32_e64 v16, v16, v6, s11
	v_min_u32_e32 v20, v6, v20
	v_cmp_gt_u32_e64 s12, s15, v16
	v_lshlrev_b32_e32 v20, 3, v20
	ds_read_b64 v[34:35], v20
	v_cndmask_b32_e64 v20, v6, v4, s11
	v_cmp_le_u32_e64 s14, s19, v20
	s_waitcnt lgkmcnt(0)
	v_cndmask_b32_e64 v53, v34, v52, s11
	v_cndmask_b32_e64 v34, v29, v34, s11
	v_cmp_nlt_f32_e64 s13, v53, v34
	s_and_b32 s12, s12, s13
	s_or_b32 s12, s14, s12
	v_cndmask_b32_e64 v4, v20, v16, s12
	v_cndmask_b32_e64 v6, s19, v22, s12
	v_add_nc_u32_e32 v23, 1, v4
	v_add_nc_u32_e32 v4, -1, v6
	v_cndmask_b32_e64 v6, v25, v26, s0
	v_cndmask_b32_e64 v25, v9, v55, s1
	;; [unrolled: 1-line block ×4, first 2 shown]
	v_min_u32_e32 v4, v23, v4
	v_cndmask_b32_e64 v26, v43, v44, s6
	v_cndmask_b32_e64 v3, v25, v9, s2
	;; [unrolled: 1-line block ×3, first 2 shown]
	v_lshlrev_b32_e32 v4, 3, v4
	v_cndmask_b32_e64 v9, v9, v11, s2
	v_cndmask_b32_e64 v11, v13, v25, s3
	ds_read_b64 v[36:37], v4
	v_cndmask_b32_e32 v4, v0, v2, vcc_lo
	v_cndmask_b32_e64 v0, v31, v38, s1
	v_cndmask_b32_e64 v31, v16, v23, s12
	v_cmp_le_u32_e64 s1, s19, v55
	v_cndmask_b32_e64 v13, v9, v13, s3
	v_cndmask_b32_e64 v2, v39, v8, s2
	;; [unrolled: 1-line block ×3, first 2 shown]
	v_cmp_gt_u32_e32 vcc_lo, s15, v31
	v_cndmask_b32_e64 v10, v15, v11, s4
	v_cndmask_b32_e64 v15, v13, v15, s4
	v_cndmask_b32_e64 v9, v25, v9, s3
	v_cndmask_b32_e64 v23, v11, v13, s4
	v_cndmask_b32_e64 v25, v17, v10, s5
	v_cndmask_b32_e64 v27, v15, v17, s5
	v_cndmask_b32_e64 v17, v10, v15, s5
	s_waitcnt lgkmcnt(0)
	v_cndmask_b32_e64 v54, v36, v53, s12
	v_cndmask_b32_e64 v36, v34, v36, s12
	v_cmp_nlt_f32_e64 s0, v54, v36
	s_and_b32 s0, vcc_lo, s0
	s_or_b32 vcc_lo, s1, s0
	v_cndmask_b32_e32 v16, v55, v31, vcc_lo
	v_cndmask_b32_e32 v20, s19, v22, vcc_lo
	v_cndmask_b32_e64 v22, v41, v12, s4
	v_cndmask_b32_e64 v12, v19, v25, s6
	;; [unrolled: 1-line block ×3, first 2 shown]
	v_add_nc_u32_e32 v40, 1, v16
	v_add_nc_u32_e32 v16, -1, v20
	v_cndmask_b32_e64 v27, v25, v27, s6
	v_cndmask_b32_e64 v13, v21, v12, s7
	;; [unrolled: 1-line block ×4, first 2 shown]
	v_min_u32_e32 v11, v40, v16
	v_cndmask_b32_e64 v16, v42, v14, s5
	v_cndmask_b32_e64 v14, v19, v21, s7
	;; [unrolled: 1-line block ×4, first 2 shown]
	v_lshlrev_b32_e32 v10, 3, v11
	v_cndmask_b32_e64 v11, v24, v13, s8
	v_cndmask_b32_e64 v15, v14, v24, s8
	;; [unrolled: 1-line block ×4, first 2 shown]
	ds_read_b64 v[38:39], v10
	v_cndmask_b32_e64 v10, v28, v11, s9
	v_cndmask_b32_e64 v28, v15, v28, s9
	;; [unrolled: 1-line block ×7, first 2 shown]
	v_cndmask_b32_e32 v28, v31, v40, vcc_lo
	v_cndmask_b32_e64 v10, v53, v34, s12
	v_cndmask_b32_e64 v41, v35, v13, s11
	;; [unrolled: 1-line block ×4, first 2 shown]
	v_cndmask_b32_e32 v34, v40, v55, vcc_lo
	v_cmp_gt_u32_e64 s0, s15, v28
	v_cndmask_b32_e64 v29, v37, v41, s12
	v_cndmask_b32_e64 v11, v41, v35, s12
	v_cndmask_b32_e64 v35, v35, v37, s12
	v_cmp_le_u32_e64 s2, s19, v34
	s_waitcnt lgkmcnt(0)
	v_cndmask_b32_e32 v30, v38, v54, vcc_lo
	v_cndmask_b32_e32 v31, v36, v38, vcc_lo
	;; [unrolled: 1-line block ×6, first 2 shown]
	v_cmp_nlt_f32_e64 s1, v30, v31
	s_and_b32 s0, s0, s1
	s_or_b32 vcc_lo, s2, s0
	v_cndmask_b32_e32 v30, v30, v31, vcc_lo
	v_cndmask_b32_e32 v31, v34, v36, vcc_lo
.LBB514_106:
	s_or_b32 exec_lo, exec_lo, s18
	v_and_b32_e32 v32, 0x3f8, v32
	s_sub_i32 s0, s16, s17
	s_cmpk_gt_u32 s0, 0xfff
	s_mov_b32 s0, -1
	v_lshl_add_u32 v32, v33, 3, v32
	s_barrier
	buffer_gl0_inv
	ds_write2_b64 v32, v[4:5], v[6:7] offset1:1
	ds_write2_b64 v32, v[0:1], v[2:3] offset0:2 offset1:3
	ds_write2_b64 v32, v[8:9], v[22:23] offset0:4 offset1:5
	;; [unrolled: 1-line block ×7, first 2 shown]
	s_waitcnt lgkmcnt(0)
	s_cbranch_scc1 .LBB514_109
; %bb.107:
	s_andn2_b32 vcc_lo, exec_lo, s0
	s_cbranch_vccz .LBB514_110
.LBB514_108:
	buffer_gl0_inv
	s_endpgm
.LBB514_109:
	s_barrier
	s_cbranch_execnz .LBB514_108
.LBB514_110:
	s_barrier
	buffer_gl0_inv
	s_endpgm
	.section	.rodata,"a",@progbits
	.p2align	6, 0x0
	.amdhsa_kernel _ZN7rocprim17ROCPRIM_400000_NS6detail17trampoline_kernelINS0_14default_configENS1_21merge_config_selectorINS0_5tupleIJffEEENS0_10empty_typeEEEZNS1_10merge_implIS3_NS0_12zip_iteratorINS5_IJN6thrust23THRUST_200600_302600_NS6detail15normal_iteratorINSC_10device_ptrIKfEEEESI_EEEEESK_NSA_INS5_IJNSC_16discard_iteratorINSC_11use_defaultEEESN_EEEEEPS7_SQ_SQ_NSC_11hip_rocprim7__merge17predicate_wrapperIffNSC_4lessIfEEEEEE10hipError_tPvRmT0_T1_T2_T3_T4_T5_mmT6_P12ihipStream_tbEUlT_E0_NS1_11comp_targetILNS1_3genE8ELNS1_11target_archE1030ELNS1_3gpuE2ELNS1_3repE0EEENS1_30default_config_static_selectorELNS0_4arch9wavefront6targetE0EEEvS11_
		.amdhsa_group_segment_fixed_size 33792
		.amdhsa_private_segment_fixed_size 0
		.amdhsa_kernarg_size 128
		.amdhsa_user_sgpr_count 6
		.amdhsa_user_sgpr_private_segment_buffer 1
		.amdhsa_user_sgpr_dispatch_ptr 0
		.amdhsa_user_sgpr_queue_ptr 0
		.amdhsa_user_sgpr_kernarg_segment_ptr 1
		.amdhsa_user_sgpr_dispatch_id 0
		.amdhsa_user_sgpr_flat_scratch_init 0
		.amdhsa_user_sgpr_private_segment_size 0
		.amdhsa_wavefront_size32 1
		.amdhsa_uses_dynamic_stack 0
		.amdhsa_system_sgpr_private_segment_wavefront_offset 0
		.amdhsa_system_sgpr_workgroup_id_x 1
		.amdhsa_system_sgpr_workgroup_id_y 0
		.amdhsa_system_sgpr_workgroup_id_z 0
		.amdhsa_system_sgpr_workgroup_info 0
		.amdhsa_system_vgpr_workitem_id 0
		.amdhsa_next_free_vgpr 145
		.amdhsa_next_free_sgpr 24
		.amdhsa_reserve_vcc 1
		.amdhsa_reserve_flat_scratch 0
		.amdhsa_float_round_mode_32 0
		.amdhsa_float_round_mode_16_64 0
		.amdhsa_float_denorm_mode_32 3
		.amdhsa_float_denorm_mode_16_64 3
		.amdhsa_dx10_clamp 1
		.amdhsa_ieee_mode 1
		.amdhsa_fp16_overflow 0
		.amdhsa_workgroup_processor_mode 1
		.amdhsa_memory_ordered 1
		.amdhsa_forward_progress 1
		.amdhsa_shared_vgpr_count 0
		.amdhsa_exception_fp_ieee_invalid_op 0
		.amdhsa_exception_fp_denorm_src 0
		.amdhsa_exception_fp_ieee_div_zero 0
		.amdhsa_exception_fp_ieee_overflow 0
		.amdhsa_exception_fp_ieee_underflow 0
		.amdhsa_exception_fp_ieee_inexact 0
		.amdhsa_exception_int_div_zero 0
	.end_amdhsa_kernel
	.section	.text._ZN7rocprim17ROCPRIM_400000_NS6detail17trampoline_kernelINS0_14default_configENS1_21merge_config_selectorINS0_5tupleIJffEEENS0_10empty_typeEEEZNS1_10merge_implIS3_NS0_12zip_iteratorINS5_IJN6thrust23THRUST_200600_302600_NS6detail15normal_iteratorINSC_10device_ptrIKfEEEESI_EEEEESK_NSA_INS5_IJNSC_16discard_iteratorINSC_11use_defaultEEESN_EEEEEPS7_SQ_SQ_NSC_11hip_rocprim7__merge17predicate_wrapperIffNSC_4lessIfEEEEEE10hipError_tPvRmT0_T1_T2_T3_T4_T5_mmT6_P12ihipStream_tbEUlT_E0_NS1_11comp_targetILNS1_3genE8ELNS1_11target_archE1030ELNS1_3gpuE2ELNS1_3repE0EEENS1_30default_config_static_selectorELNS0_4arch9wavefront6targetE0EEEvS11_,"axG",@progbits,_ZN7rocprim17ROCPRIM_400000_NS6detail17trampoline_kernelINS0_14default_configENS1_21merge_config_selectorINS0_5tupleIJffEEENS0_10empty_typeEEEZNS1_10merge_implIS3_NS0_12zip_iteratorINS5_IJN6thrust23THRUST_200600_302600_NS6detail15normal_iteratorINSC_10device_ptrIKfEEEESI_EEEEESK_NSA_INS5_IJNSC_16discard_iteratorINSC_11use_defaultEEESN_EEEEEPS7_SQ_SQ_NSC_11hip_rocprim7__merge17predicate_wrapperIffNSC_4lessIfEEEEEE10hipError_tPvRmT0_T1_T2_T3_T4_T5_mmT6_P12ihipStream_tbEUlT_E0_NS1_11comp_targetILNS1_3genE8ELNS1_11target_archE1030ELNS1_3gpuE2ELNS1_3repE0EEENS1_30default_config_static_selectorELNS0_4arch9wavefront6targetE0EEEvS11_,comdat
.Lfunc_end514:
	.size	_ZN7rocprim17ROCPRIM_400000_NS6detail17trampoline_kernelINS0_14default_configENS1_21merge_config_selectorINS0_5tupleIJffEEENS0_10empty_typeEEEZNS1_10merge_implIS3_NS0_12zip_iteratorINS5_IJN6thrust23THRUST_200600_302600_NS6detail15normal_iteratorINSC_10device_ptrIKfEEEESI_EEEEESK_NSA_INS5_IJNSC_16discard_iteratorINSC_11use_defaultEEESN_EEEEEPS7_SQ_SQ_NSC_11hip_rocprim7__merge17predicate_wrapperIffNSC_4lessIfEEEEEE10hipError_tPvRmT0_T1_T2_T3_T4_T5_mmT6_P12ihipStream_tbEUlT_E0_NS1_11comp_targetILNS1_3genE8ELNS1_11target_archE1030ELNS1_3gpuE2ELNS1_3repE0EEENS1_30default_config_static_selectorELNS0_4arch9wavefront6targetE0EEEvS11_, .Lfunc_end514-_ZN7rocprim17ROCPRIM_400000_NS6detail17trampoline_kernelINS0_14default_configENS1_21merge_config_selectorINS0_5tupleIJffEEENS0_10empty_typeEEEZNS1_10merge_implIS3_NS0_12zip_iteratorINS5_IJN6thrust23THRUST_200600_302600_NS6detail15normal_iteratorINSC_10device_ptrIKfEEEESI_EEEEESK_NSA_INS5_IJNSC_16discard_iteratorINSC_11use_defaultEEESN_EEEEEPS7_SQ_SQ_NSC_11hip_rocprim7__merge17predicate_wrapperIffNSC_4lessIfEEEEEE10hipError_tPvRmT0_T1_T2_T3_T4_T5_mmT6_P12ihipStream_tbEUlT_E0_NS1_11comp_targetILNS1_3genE8ELNS1_11target_archE1030ELNS1_3gpuE2ELNS1_3repE0EEENS1_30default_config_static_selectorELNS0_4arch9wavefront6targetE0EEEvS11_
                                        ; -- End function
	.set _ZN7rocprim17ROCPRIM_400000_NS6detail17trampoline_kernelINS0_14default_configENS1_21merge_config_selectorINS0_5tupleIJffEEENS0_10empty_typeEEEZNS1_10merge_implIS3_NS0_12zip_iteratorINS5_IJN6thrust23THRUST_200600_302600_NS6detail15normal_iteratorINSC_10device_ptrIKfEEEESI_EEEEESK_NSA_INS5_IJNSC_16discard_iteratorINSC_11use_defaultEEESN_EEEEEPS7_SQ_SQ_NSC_11hip_rocprim7__merge17predicate_wrapperIffNSC_4lessIfEEEEEE10hipError_tPvRmT0_T1_T2_T3_T4_T5_mmT6_P12ihipStream_tbEUlT_E0_NS1_11comp_targetILNS1_3genE8ELNS1_11target_archE1030ELNS1_3gpuE2ELNS1_3repE0EEENS1_30default_config_static_selectorELNS0_4arch9wavefront6targetE0EEEvS11_.num_vgpr, 57
	.set _ZN7rocprim17ROCPRIM_400000_NS6detail17trampoline_kernelINS0_14default_configENS1_21merge_config_selectorINS0_5tupleIJffEEENS0_10empty_typeEEEZNS1_10merge_implIS3_NS0_12zip_iteratorINS5_IJN6thrust23THRUST_200600_302600_NS6detail15normal_iteratorINSC_10device_ptrIKfEEEESI_EEEEESK_NSA_INS5_IJNSC_16discard_iteratorINSC_11use_defaultEEESN_EEEEEPS7_SQ_SQ_NSC_11hip_rocprim7__merge17predicate_wrapperIffNSC_4lessIfEEEEEE10hipError_tPvRmT0_T1_T2_T3_T4_T5_mmT6_P12ihipStream_tbEUlT_E0_NS1_11comp_targetILNS1_3genE8ELNS1_11target_archE1030ELNS1_3gpuE2ELNS1_3repE0EEENS1_30default_config_static_selectorELNS0_4arch9wavefront6targetE0EEEvS11_.num_agpr, 0
	.set _ZN7rocprim17ROCPRIM_400000_NS6detail17trampoline_kernelINS0_14default_configENS1_21merge_config_selectorINS0_5tupleIJffEEENS0_10empty_typeEEEZNS1_10merge_implIS3_NS0_12zip_iteratorINS5_IJN6thrust23THRUST_200600_302600_NS6detail15normal_iteratorINSC_10device_ptrIKfEEEESI_EEEEESK_NSA_INS5_IJNSC_16discard_iteratorINSC_11use_defaultEEESN_EEEEEPS7_SQ_SQ_NSC_11hip_rocprim7__merge17predicate_wrapperIffNSC_4lessIfEEEEEE10hipError_tPvRmT0_T1_T2_T3_T4_T5_mmT6_P12ihipStream_tbEUlT_E0_NS1_11comp_targetILNS1_3genE8ELNS1_11target_archE1030ELNS1_3gpuE2ELNS1_3repE0EEENS1_30default_config_static_selectorELNS0_4arch9wavefront6targetE0EEEvS11_.numbered_sgpr, 24
	.set _ZN7rocprim17ROCPRIM_400000_NS6detail17trampoline_kernelINS0_14default_configENS1_21merge_config_selectorINS0_5tupleIJffEEENS0_10empty_typeEEEZNS1_10merge_implIS3_NS0_12zip_iteratorINS5_IJN6thrust23THRUST_200600_302600_NS6detail15normal_iteratorINSC_10device_ptrIKfEEEESI_EEEEESK_NSA_INS5_IJNSC_16discard_iteratorINSC_11use_defaultEEESN_EEEEEPS7_SQ_SQ_NSC_11hip_rocprim7__merge17predicate_wrapperIffNSC_4lessIfEEEEEE10hipError_tPvRmT0_T1_T2_T3_T4_T5_mmT6_P12ihipStream_tbEUlT_E0_NS1_11comp_targetILNS1_3genE8ELNS1_11target_archE1030ELNS1_3gpuE2ELNS1_3repE0EEENS1_30default_config_static_selectorELNS0_4arch9wavefront6targetE0EEEvS11_.num_named_barrier, 0
	.set _ZN7rocprim17ROCPRIM_400000_NS6detail17trampoline_kernelINS0_14default_configENS1_21merge_config_selectorINS0_5tupleIJffEEENS0_10empty_typeEEEZNS1_10merge_implIS3_NS0_12zip_iteratorINS5_IJN6thrust23THRUST_200600_302600_NS6detail15normal_iteratorINSC_10device_ptrIKfEEEESI_EEEEESK_NSA_INS5_IJNSC_16discard_iteratorINSC_11use_defaultEEESN_EEEEEPS7_SQ_SQ_NSC_11hip_rocprim7__merge17predicate_wrapperIffNSC_4lessIfEEEEEE10hipError_tPvRmT0_T1_T2_T3_T4_T5_mmT6_P12ihipStream_tbEUlT_E0_NS1_11comp_targetILNS1_3genE8ELNS1_11target_archE1030ELNS1_3gpuE2ELNS1_3repE0EEENS1_30default_config_static_selectorELNS0_4arch9wavefront6targetE0EEEvS11_.private_seg_size, 0
	.set _ZN7rocprim17ROCPRIM_400000_NS6detail17trampoline_kernelINS0_14default_configENS1_21merge_config_selectorINS0_5tupleIJffEEENS0_10empty_typeEEEZNS1_10merge_implIS3_NS0_12zip_iteratorINS5_IJN6thrust23THRUST_200600_302600_NS6detail15normal_iteratorINSC_10device_ptrIKfEEEESI_EEEEESK_NSA_INS5_IJNSC_16discard_iteratorINSC_11use_defaultEEESN_EEEEEPS7_SQ_SQ_NSC_11hip_rocprim7__merge17predicate_wrapperIffNSC_4lessIfEEEEEE10hipError_tPvRmT0_T1_T2_T3_T4_T5_mmT6_P12ihipStream_tbEUlT_E0_NS1_11comp_targetILNS1_3genE8ELNS1_11target_archE1030ELNS1_3gpuE2ELNS1_3repE0EEENS1_30default_config_static_selectorELNS0_4arch9wavefront6targetE0EEEvS11_.uses_vcc, 1
	.set _ZN7rocprim17ROCPRIM_400000_NS6detail17trampoline_kernelINS0_14default_configENS1_21merge_config_selectorINS0_5tupleIJffEEENS0_10empty_typeEEEZNS1_10merge_implIS3_NS0_12zip_iteratorINS5_IJN6thrust23THRUST_200600_302600_NS6detail15normal_iteratorINSC_10device_ptrIKfEEEESI_EEEEESK_NSA_INS5_IJNSC_16discard_iteratorINSC_11use_defaultEEESN_EEEEEPS7_SQ_SQ_NSC_11hip_rocprim7__merge17predicate_wrapperIffNSC_4lessIfEEEEEE10hipError_tPvRmT0_T1_T2_T3_T4_T5_mmT6_P12ihipStream_tbEUlT_E0_NS1_11comp_targetILNS1_3genE8ELNS1_11target_archE1030ELNS1_3gpuE2ELNS1_3repE0EEENS1_30default_config_static_selectorELNS0_4arch9wavefront6targetE0EEEvS11_.uses_flat_scratch, 0
	.set _ZN7rocprim17ROCPRIM_400000_NS6detail17trampoline_kernelINS0_14default_configENS1_21merge_config_selectorINS0_5tupleIJffEEENS0_10empty_typeEEEZNS1_10merge_implIS3_NS0_12zip_iteratorINS5_IJN6thrust23THRUST_200600_302600_NS6detail15normal_iteratorINSC_10device_ptrIKfEEEESI_EEEEESK_NSA_INS5_IJNSC_16discard_iteratorINSC_11use_defaultEEESN_EEEEEPS7_SQ_SQ_NSC_11hip_rocprim7__merge17predicate_wrapperIffNSC_4lessIfEEEEEE10hipError_tPvRmT0_T1_T2_T3_T4_T5_mmT6_P12ihipStream_tbEUlT_E0_NS1_11comp_targetILNS1_3genE8ELNS1_11target_archE1030ELNS1_3gpuE2ELNS1_3repE0EEENS1_30default_config_static_selectorELNS0_4arch9wavefront6targetE0EEEvS11_.has_dyn_sized_stack, 0
	.set _ZN7rocprim17ROCPRIM_400000_NS6detail17trampoline_kernelINS0_14default_configENS1_21merge_config_selectorINS0_5tupleIJffEEENS0_10empty_typeEEEZNS1_10merge_implIS3_NS0_12zip_iteratorINS5_IJN6thrust23THRUST_200600_302600_NS6detail15normal_iteratorINSC_10device_ptrIKfEEEESI_EEEEESK_NSA_INS5_IJNSC_16discard_iteratorINSC_11use_defaultEEESN_EEEEEPS7_SQ_SQ_NSC_11hip_rocprim7__merge17predicate_wrapperIffNSC_4lessIfEEEEEE10hipError_tPvRmT0_T1_T2_T3_T4_T5_mmT6_P12ihipStream_tbEUlT_E0_NS1_11comp_targetILNS1_3genE8ELNS1_11target_archE1030ELNS1_3gpuE2ELNS1_3repE0EEENS1_30default_config_static_selectorELNS0_4arch9wavefront6targetE0EEEvS11_.has_recursion, 0
	.set _ZN7rocprim17ROCPRIM_400000_NS6detail17trampoline_kernelINS0_14default_configENS1_21merge_config_selectorINS0_5tupleIJffEEENS0_10empty_typeEEEZNS1_10merge_implIS3_NS0_12zip_iteratorINS5_IJN6thrust23THRUST_200600_302600_NS6detail15normal_iteratorINSC_10device_ptrIKfEEEESI_EEEEESK_NSA_INS5_IJNSC_16discard_iteratorINSC_11use_defaultEEESN_EEEEEPS7_SQ_SQ_NSC_11hip_rocprim7__merge17predicate_wrapperIffNSC_4lessIfEEEEEE10hipError_tPvRmT0_T1_T2_T3_T4_T5_mmT6_P12ihipStream_tbEUlT_E0_NS1_11comp_targetILNS1_3genE8ELNS1_11target_archE1030ELNS1_3gpuE2ELNS1_3repE0EEENS1_30default_config_static_selectorELNS0_4arch9wavefront6targetE0EEEvS11_.has_indirect_call, 0
	.section	.AMDGPU.csdata,"",@progbits
; Kernel info:
; codeLenInByte = 5092
; TotalNumSgprs: 26
; NumVgprs: 57
; ScratchSize: 0
; MemoryBound: 0
; FloatMode: 240
; IeeeMode: 1
; LDSByteSize: 33792 bytes/workgroup (compile time only)
; SGPRBlocks: 0
; VGPRBlocks: 18
; NumSGPRsForWavesPerEU: 26
; NumVGPRsForWavesPerEU: 145
; Occupancy: 6
; WaveLimiterHint : 1
; COMPUTE_PGM_RSRC2:SCRATCH_EN: 0
; COMPUTE_PGM_RSRC2:USER_SGPR: 6
; COMPUTE_PGM_RSRC2:TRAP_HANDLER: 0
; COMPUTE_PGM_RSRC2:TGID_X_EN: 1
; COMPUTE_PGM_RSRC2:TGID_Y_EN: 0
; COMPUTE_PGM_RSRC2:TGID_Z_EN: 0
; COMPUTE_PGM_RSRC2:TIDIG_COMP_CNT: 0
	.section	.text._ZN7rocprim17ROCPRIM_400000_NS6detail17trampoline_kernelINS0_14default_configENS1_21merge_config_selectorINS0_5tupleIJyyEEENS0_10empty_typeEEEZNS1_10merge_implIS3_NS0_12zip_iteratorINS5_IJN6thrust23THRUST_200600_302600_NS6detail15normal_iteratorINSC_10device_ptrIKyEEEESI_EEEEESK_NSA_INS5_IJNSC_16discard_iteratorINSC_11use_defaultEEESN_EEEEEPS7_SQ_SQ_NSC_11hip_rocprim7__merge17predicate_wrapperIyyNSC_4lessIyEEEEEE10hipError_tPvRmT0_T1_T2_T3_T4_T5_mmT6_P12ihipStream_tbEUlT_E_NS1_11comp_targetILNS1_3genE0ELNS1_11target_archE4294967295ELNS1_3gpuE0ELNS1_3repE0EEENS1_30default_config_static_selectorELNS0_4arch9wavefront6targetE0EEEvS11_,"axG",@progbits,_ZN7rocprim17ROCPRIM_400000_NS6detail17trampoline_kernelINS0_14default_configENS1_21merge_config_selectorINS0_5tupleIJyyEEENS0_10empty_typeEEEZNS1_10merge_implIS3_NS0_12zip_iteratorINS5_IJN6thrust23THRUST_200600_302600_NS6detail15normal_iteratorINSC_10device_ptrIKyEEEESI_EEEEESK_NSA_INS5_IJNSC_16discard_iteratorINSC_11use_defaultEEESN_EEEEEPS7_SQ_SQ_NSC_11hip_rocprim7__merge17predicate_wrapperIyyNSC_4lessIyEEEEEE10hipError_tPvRmT0_T1_T2_T3_T4_T5_mmT6_P12ihipStream_tbEUlT_E_NS1_11comp_targetILNS1_3genE0ELNS1_11target_archE4294967295ELNS1_3gpuE0ELNS1_3repE0EEENS1_30default_config_static_selectorELNS0_4arch9wavefront6targetE0EEEvS11_,comdat
	.protected	_ZN7rocprim17ROCPRIM_400000_NS6detail17trampoline_kernelINS0_14default_configENS1_21merge_config_selectorINS0_5tupleIJyyEEENS0_10empty_typeEEEZNS1_10merge_implIS3_NS0_12zip_iteratorINS5_IJN6thrust23THRUST_200600_302600_NS6detail15normal_iteratorINSC_10device_ptrIKyEEEESI_EEEEESK_NSA_INS5_IJNSC_16discard_iteratorINSC_11use_defaultEEESN_EEEEEPS7_SQ_SQ_NSC_11hip_rocprim7__merge17predicate_wrapperIyyNSC_4lessIyEEEEEE10hipError_tPvRmT0_T1_T2_T3_T4_T5_mmT6_P12ihipStream_tbEUlT_E_NS1_11comp_targetILNS1_3genE0ELNS1_11target_archE4294967295ELNS1_3gpuE0ELNS1_3repE0EEENS1_30default_config_static_selectorELNS0_4arch9wavefront6targetE0EEEvS11_ ; -- Begin function _ZN7rocprim17ROCPRIM_400000_NS6detail17trampoline_kernelINS0_14default_configENS1_21merge_config_selectorINS0_5tupleIJyyEEENS0_10empty_typeEEEZNS1_10merge_implIS3_NS0_12zip_iteratorINS5_IJN6thrust23THRUST_200600_302600_NS6detail15normal_iteratorINSC_10device_ptrIKyEEEESI_EEEEESK_NSA_INS5_IJNSC_16discard_iteratorINSC_11use_defaultEEESN_EEEEEPS7_SQ_SQ_NSC_11hip_rocprim7__merge17predicate_wrapperIyyNSC_4lessIyEEEEEE10hipError_tPvRmT0_T1_T2_T3_T4_T5_mmT6_P12ihipStream_tbEUlT_E_NS1_11comp_targetILNS1_3genE0ELNS1_11target_archE4294967295ELNS1_3gpuE0ELNS1_3repE0EEENS1_30default_config_static_selectorELNS0_4arch9wavefront6targetE0EEEvS11_
	.globl	_ZN7rocprim17ROCPRIM_400000_NS6detail17trampoline_kernelINS0_14default_configENS1_21merge_config_selectorINS0_5tupleIJyyEEENS0_10empty_typeEEEZNS1_10merge_implIS3_NS0_12zip_iteratorINS5_IJN6thrust23THRUST_200600_302600_NS6detail15normal_iteratorINSC_10device_ptrIKyEEEESI_EEEEESK_NSA_INS5_IJNSC_16discard_iteratorINSC_11use_defaultEEESN_EEEEEPS7_SQ_SQ_NSC_11hip_rocprim7__merge17predicate_wrapperIyyNSC_4lessIyEEEEEE10hipError_tPvRmT0_T1_T2_T3_T4_T5_mmT6_P12ihipStream_tbEUlT_E_NS1_11comp_targetILNS1_3genE0ELNS1_11target_archE4294967295ELNS1_3gpuE0ELNS1_3repE0EEENS1_30default_config_static_selectorELNS0_4arch9wavefront6targetE0EEEvS11_
	.p2align	8
	.type	_ZN7rocprim17ROCPRIM_400000_NS6detail17trampoline_kernelINS0_14default_configENS1_21merge_config_selectorINS0_5tupleIJyyEEENS0_10empty_typeEEEZNS1_10merge_implIS3_NS0_12zip_iteratorINS5_IJN6thrust23THRUST_200600_302600_NS6detail15normal_iteratorINSC_10device_ptrIKyEEEESI_EEEEESK_NSA_INS5_IJNSC_16discard_iteratorINSC_11use_defaultEEESN_EEEEEPS7_SQ_SQ_NSC_11hip_rocprim7__merge17predicate_wrapperIyyNSC_4lessIyEEEEEE10hipError_tPvRmT0_T1_T2_T3_T4_T5_mmT6_P12ihipStream_tbEUlT_E_NS1_11comp_targetILNS1_3genE0ELNS1_11target_archE4294967295ELNS1_3gpuE0ELNS1_3repE0EEENS1_30default_config_static_selectorELNS0_4arch9wavefront6targetE0EEEvS11_,@function
_ZN7rocprim17ROCPRIM_400000_NS6detail17trampoline_kernelINS0_14default_configENS1_21merge_config_selectorINS0_5tupleIJyyEEENS0_10empty_typeEEEZNS1_10merge_implIS3_NS0_12zip_iteratorINS5_IJN6thrust23THRUST_200600_302600_NS6detail15normal_iteratorINSC_10device_ptrIKyEEEESI_EEEEESK_NSA_INS5_IJNSC_16discard_iteratorINSC_11use_defaultEEESN_EEEEEPS7_SQ_SQ_NSC_11hip_rocprim7__merge17predicate_wrapperIyyNSC_4lessIyEEEEEE10hipError_tPvRmT0_T1_T2_T3_T4_T5_mmT6_P12ihipStream_tbEUlT_E_NS1_11comp_targetILNS1_3genE0ELNS1_11target_archE4294967295ELNS1_3gpuE0ELNS1_3repE0EEENS1_30default_config_static_selectorELNS0_4arch9wavefront6targetE0EEEvS11_: ; @_ZN7rocprim17ROCPRIM_400000_NS6detail17trampoline_kernelINS0_14default_configENS1_21merge_config_selectorINS0_5tupleIJyyEEENS0_10empty_typeEEEZNS1_10merge_implIS3_NS0_12zip_iteratorINS5_IJN6thrust23THRUST_200600_302600_NS6detail15normal_iteratorINSC_10device_ptrIKyEEEESI_EEEEESK_NSA_INS5_IJNSC_16discard_iteratorINSC_11use_defaultEEESN_EEEEEPS7_SQ_SQ_NSC_11hip_rocprim7__merge17predicate_wrapperIyyNSC_4lessIyEEEEEE10hipError_tPvRmT0_T1_T2_T3_T4_T5_mmT6_P12ihipStream_tbEUlT_E_NS1_11comp_targetILNS1_3genE0ELNS1_11target_archE4294967295ELNS1_3gpuE0ELNS1_3repE0EEENS1_30default_config_static_selectorELNS0_4arch9wavefront6targetE0EEEvS11_
; %bb.0:
	.section	.rodata,"a",@progbits
	.p2align	6, 0x0
	.amdhsa_kernel _ZN7rocprim17ROCPRIM_400000_NS6detail17trampoline_kernelINS0_14default_configENS1_21merge_config_selectorINS0_5tupleIJyyEEENS0_10empty_typeEEEZNS1_10merge_implIS3_NS0_12zip_iteratorINS5_IJN6thrust23THRUST_200600_302600_NS6detail15normal_iteratorINSC_10device_ptrIKyEEEESI_EEEEESK_NSA_INS5_IJNSC_16discard_iteratorINSC_11use_defaultEEESN_EEEEEPS7_SQ_SQ_NSC_11hip_rocprim7__merge17predicate_wrapperIyyNSC_4lessIyEEEEEE10hipError_tPvRmT0_T1_T2_T3_T4_T5_mmT6_P12ihipStream_tbEUlT_E_NS1_11comp_targetILNS1_3genE0ELNS1_11target_archE4294967295ELNS1_3gpuE0ELNS1_3repE0EEENS1_30default_config_static_selectorELNS0_4arch9wavefront6targetE0EEEvS11_
		.amdhsa_group_segment_fixed_size 0
		.amdhsa_private_segment_fixed_size 0
		.amdhsa_kernarg_size 64
		.amdhsa_user_sgpr_count 6
		.amdhsa_user_sgpr_private_segment_buffer 1
		.amdhsa_user_sgpr_dispatch_ptr 0
		.amdhsa_user_sgpr_queue_ptr 0
		.amdhsa_user_sgpr_kernarg_segment_ptr 1
		.amdhsa_user_sgpr_dispatch_id 0
		.amdhsa_user_sgpr_flat_scratch_init 0
		.amdhsa_user_sgpr_private_segment_size 0
		.amdhsa_wavefront_size32 1
		.amdhsa_uses_dynamic_stack 0
		.amdhsa_system_sgpr_private_segment_wavefront_offset 0
		.amdhsa_system_sgpr_workgroup_id_x 1
		.amdhsa_system_sgpr_workgroup_id_y 0
		.amdhsa_system_sgpr_workgroup_id_z 0
		.amdhsa_system_sgpr_workgroup_info 0
		.amdhsa_system_vgpr_workitem_id 0
		.amdhsa_next_free_vgpr 1
		.amdhsa_next_free_sgpr 1
		.amdhsa_reserve_vcc 0
		.amdhsa_reserve_flat_scratch 0
		.amdhsa_float_round_mode_32 0
		.amdhsa_float_round_mode_16_64 0
		.amdhsa_float_denorm_mode_32 3
		.amdhsa_float_denorm_mode_16_64 3
		.amdhsa_dx10_clamp 1
		.amdhsa_ieee_mode 1
		.amdhsa_fp16_overflow 0
		.amdhsa_workgroup_processor_mode 1
		.amdhsa_memory_ordered 1
		.amdhsa_forward_progress 1
		.amdhsa_shared_vgpr_count 0
		.amdhsa_exception_fp_ieee_invalid_op 0
		.amdhsa_exception_fp_denorm_src 0
		.amdhsa_exception_fp_ieee_div_zero 0
		.amdhsa_exception_fp_ieee_overflow 0
		.amdhsa_exception_fp_ieee_underflow 0
		.amdhsa_exception_fp_ieee_inexact 0
		.amdhsa_exception_int_div_zero 0
	.end_amdhsa_kernel
	.section	.text._ZN7rocprim17ROCPRIM_400000_NS6detail17trampoline_kernelINS0_14default_configENS1_21merge_config_selectorINS0_5tupleIJyyEEENS0_10empty_typeEEEZNS1_10merge_implIS3_NS0_12zip_iteratorINS5_IJN6thrust23THRUST_200600_302600_NS6detail15normal_iteratorINSC_10device_ptrIKyEEEESI_EEEEESK_NSA_INS5_IJNSC_16discard_iteratorINSC_11use_defaultEEESN_EEEEEPS7_SQ_SQ_NSC_11hip_rocprim7__merge17predicate_wrapperIyyNSC_4lessIyEEEEEE10hipError_tPvRmT0_T1_T2_T3_T4_T5_mmT6_P12ihipStream_tbEUlT_E_NS1_11comp_targetILNS1_3genE0ELNS1_11target_archE4294967295ELNS1_3gpuE0ELNS1_3repE0EEENS1_30default_config_static_selectorELNS0_4arch9wavefront6targetE0EEEvS11_,"axG",@progbits,_ZN7rocprim17ROCPRIM_400000_NS6detail17trampoline_kernelINS0_14default_configENS1_21merge_config_selectorINS0_5tupleIJyyEEENS0_10empty_typeEEEZNS1_10merge_implIS3_NS0_12zip_iteratorINS5_IJN6thrust23THRUST_200600_302600_NS6detail15normal_iteratorINSC_10device_ptrIKyEEEESI_EEEEESK_NSA_INS5_IJNSC_16discard_iteratorINSC_11use_defaultEEESN_EEEEEPS7_SQ_SQ_NSC_11hip_rocprim7__merge17predicate_wrapperIyyNSC_4lessIyEEEEEE10hipError_tPvRmT0_T1_T2_T3_T4_T5_mmT6_P12ihipStream_tbEUlT_E_NS1_11comp_targetILNS1_3genE0ELNS1_11target_archE4294967295ELNS1_3gpuE0ELNS1_3repE0EEENS1_30default_config_static_selectorELNS0_4arch9wavefront6targetE0EEEvS11_,comdat
.Lfunc_end515:
	.size	_ZN7rocprim17ROCPRIM_400000_NS6detail17trampoline_kernelINS0_14default_configENS1_21merge_config_selectorINS0_5tupleIJyyEEENS0_10empty_typeEEEZNS1_10merge_implIS3_NS0_12zip_iteratorINS5_IJN6thrust23THRUST_200600_302600_NS6detail15normal_iteratorINSC_10device_ptrIKyEEEESI_EEEEESK_NSA_INS5_IJNSC_16discard_iteratorINSC_11use_defaultEEESN_EEEEEPS7_SQ_SQ_NSC_11hip_rocprim7__merge17predicate_wrapperIyyNSC_4lessIyEEEEEE10hipError_tPvRmT0_T1_T2_T3_T4_T5_mmT6_P12ihipStream_tbEUlT_E_NS1_11comp_targetILNS1_3genE0ELNS1_11target_archE4294967295ELNS1_3gpuE0ELNS1_3repE0EEENS1_30default_config_static_selectorELNS0_4arch9wavefront6targetE0EEEvS11_, .Lfunc_end515-_ZN7rocprim17ROCPRIM_400000_NS6detail17trampoline_kernelINS0_14default_configENS1_21merge_config_selectorINS0_5tupleIJyyEEENS0_10empty_typeEEEZNS1_10merge_implIS3_NS0_12zip_iteratorINS5_IJN6thrust23THRUST_200600_302600_NS6detail15normal_iteratorINSC_10device_ptrIKyEEEESI_EEEEESK_NSA_INS5_IJNSC_16discard_iteratorINSC_11use_defaultEEESN_EEEEEPS7_SQ_SQ_NSC_11hip_rocprim7__merge17predicate_wrapperIyyNSC_4lessIyEEEEEE10hipError_tPvRmT0_T1_T2_T3_T4_T5_mmT6_P12ihipStream_tbEUlT_E_NS1_11comp_targetILNS1_3genE0ELNS1_11target_archE4294967295ELNS1_3gpuE0ELNS1_3repE0EEENS1_30default_config_static_selectorELNS0_4arch9wavefront6targetE0EEEvS11_
                                        ; -- End function
	.set _ZN7rocprim17ROCPRIM_400000_NS6detail17trampoline_kernelINS0_14default_configENS1_21merge_config_selectorINS0_5tupleIJyyEEENS0_10empty_typeEEEZNS1_10merge_implIS3_NS0_12zip_iteratorINS5_IJN6thrust23THRUST_200600_302600_NS6detail15normal_iteratorINSC_10device_ptrIKyEEEESI_EEEEESK_NSA_INS5_IJNSC_16discard_iteratorINSC_11use_defaultEEESN_EEEEEPS7_SQ_SQ_NSC_11hip_rocprim7__merge17predicate_wrapperIyyNSC_4lessIyEEEEEE10hipError_tPvRmT0_T1_T2_T3_T4_T5_mmT6_P12ihipStream_tbEUlT_E_NS1_11comp_targetILNS1_3genE0ELNS1_11target_archE4294967295ELNS1_3gpuE0ELNS1_3repE0EEENS1_30default_config_static_selectorELNS0_4arch9wavefront6targetE0EEEvS11_.num_vgpr, 0
	.set _ZN7rocprim17ROCPRIM_400000_NS6detail17trampoline_kernelINS0_14default_configENS1_21merge_config_selectorINS0_5tupleIJyyEEENS0_10empty_typeEEEZNS1_10merge_implIS3_NS0_12zip_iteratorINS5_IJN6thrust23THRUST_200600_302600_NS6detail15normal_iteratorINSC_10device_ptrIKyEEEESI_EEEEESK_NSA_INS5_IJNSC_16discard_iteratorINSC_11use_defaultEEESN_EEEEEPS7_SQ_SQ_NSC_11hip_rocprim7__merge17predicate_wrapperIyyNSC_4lessIyEEEEEE10hipError_tPvRmT0_T1_T2_T3_T4_T5_mmT6_P12ihipStream_tbEUlT_E_NS1_11comp_targetILNS1_3genE0ELNS1_11target_archE4294967295ELNS1_3gpuE0ELNS1_3repE0EEENS1_30default_config_static_selectorELNS0_4arch9wavefront6targetE0EEEvS11_.num_agpr, 0
	.set _ZN7rocprim17ROCPRIM_400000_NS6detail17trampoline_kernelINS0_14default_configENS1_21merge_config_selectorINS0_5tupleIJyyEEENS0_10empty_typeEEEZNS1_10merge_implIS3_NS0_12zip_iteratorINS5_IJN6thrust23THRUST_200600_302600_NS6detail15normal_iteratorINSC_10device_ptrIKyEEEESI_EEEEESK_NSA_INS5_IJNSC_16discard_iteratorINSC_11use_defaultEEESN_EEEEEPS7_SQ_SQ_NSC_11hip_rocprim7__merge17predicate_wrapperIyyNSC_4lessIyEEEEEE10hipError_tPvRmT0_T1_T2_T3_T4_T5_mmT6_P12ihipStream_tbEUlT_E_NS1_11comp_targetILNS1_3genE0ELNS1_11target_archE4294967295ELNS1_3gpuE0ELNS1_3repE0EEENS1_30default_config_static_selectorELNS0_4arch9wavefront6targetE0EEEvS11_.numbered_sgpr, 0
	.set _ZN7rocprim17ROCPRIM_400000_NS6detail17trampoline_kernelINS0_14default_configENS1_21merge_config_selectorINS0_5tupleIJyyEEENS0_10empty_typeEEEZNS1_10merge_implIS3_NS0_12zip_iteratorINS5_IJN6thrust23THRUST_200600_302600_NS6detail15normal_iteratorINSC_10device_ptrIKyEEEESI_EEEEESK_NSA_INS5_IJNSC_16discard_iteratorINSC_11use_defaultEEESN_EEEEEPS7_SQ_SQ_NSC_11hip_rocprim7__merge17predicate_wrapperIyyNSC_4lessIyEEEEEE10hipError_tPvRmT0_T1_T2_T3_T4_T5_mmT6_P12ihipStream_tbEUlT_E_NS1_11comp_targetILNS1_3genE0ELNS1_11target_archE4294967295ELNS1_3gpuE0ELNS1_3repE0EEENS1_30default_config_static_selectorELNS0_4arch9wavefront6targetE0EEEvS11_.num_named_barrier, 0
	.set _ZN7rocprim17ROCPRIM_400000_NS6detail17trampoline_kernelINS0_14default_configENS1_21merge_config_selectorINS0_5tupleIJyyEEENS0_10empty_typeEEEZNS1_10merge_implIS3_NS0_12zip_iteratorINS5_IJN6thrust23THRUST_200600_302600_NS6detail15normal_iteratorINSC_10device_ptrIKyEEEESI_EEEEESK_NSA_INS5_IJNSC_16discard_iteratorINSC_11use_defaultEEESN_EEEEEPS7_SQ_SQ_NSC_11hip_rocprim7__merge17predicate_wrapperIyyNSC_4lessIyEEEEEE10hipError_tPvRmT0_T1_T2_T3_T4_T5_mmT6_P12ihipStream_tbEUlT_E_NS1_11comp_targetILNS1_3genE0ELNS1_11target_archE4294967295ELNS1_3gpuE0ELNS1_3repE0EEENS1_30default_config_static_selectorELNS0_4arch9wavefront6targetE0EEEvS11_.private_seg_size, 0
	.set _ZN7rocprim17ROCPRIM_400000_NS6detail17trampoline_kernelINS0_14default_configENS1_21merge_config_selectorINS0_5tupleIJyyEEENS0_10empty_typeEEEZNS1_10merge_implIS3_NS0_12zip_iteratorINS5_IJN6thrust23THRUST_200600_302600_NS6detail15normal_iteratorINSC_10device_ptrIKyEEEESI_EEEEESK_NSA_INS5_IJNSC_16discard_iteratorINSC_11use_defaultEEESN_EEEEEPS7_SQ_SQ_NSC_11hip_rocprim7__merge17predicate_wrapperIyyNSC_4lessIyEEEEEE10hipError_tPvRmT0_T1_T2_T3_T4_T5_mmT6_P12ihipStream_tbEUlT_E_NS1_11comp_targetILNS1_3genE0ELNS1_11target_archE4294967295ELNS1_3gpuE0ELNS1_3repE0EEENS1_30default_config_static_selectorELNS0_4arch9wavefront6targetE0EEEvS11_.uses_vcc, 0
	.set _ZN7rocprim17ROCPRIM_400000_NS6detail17trampoline_kernelINS0_14default_configENS1_21merge_config_selectorINS0_5tupleIJyyEEENS0_10empty_typeEEEZNS1_10merge_implIS3_NS0_12zip_iteratorINS5_IJN6thrust23THRUST_200600_302600_NS6detail15normal_iteratorINSC_10device_ptrIKyEEEESI_EEEEESK_NSA_INS5_IJNSC_16discard_iteratorINSC_11use_defaultEEESN_EEEEEPS7_SQ_SQ_NSC_11hip_rocprim7__merge17predicate_wrapperIyyNSC_4lessIyEEEEEE10hipError_tPvRmT0_T1_T2_T3_T4_T5_mmT6_P12ihipStream_tbEUlT_E_NS1_11comp_targetILNS1_3genE0ELNS1_11target_archE4294967295ELNS1_3gpuE0ELNS1_3repE0EEENS1_30default_config_static_selectorELNS0_4arch9wavefront6targetE0EEEvS11_.uses_flat_scratch, 0
	.set _ZN7rocprim17ROCPRIM_400000_NS6detail17trampoline_kernelINS0_14default_configENS1_21merge_config_selectorINS0_5tupleIJyyEEENS0_10empty_typeEEEZNS1_10merge_implIS3_NS0_12zip_iteratorINS5_IJN6thrust23THRUST_200600_302600_NS6detail15normal_iteratorINSC_10device_ptrIKyEEEESI_EEEEESK_NSA_INS5_IJNSC_16discard_iteratorINSC_11use_defaultEEESN_EEEEEPS7_SQ_SQ_NSC_11hip_rocprim7__merge17predicate_wrapperIyyNSC_4lessIyEEEEEE10hipError_tPvRmT0_T1_T2_T3_T4_T5_mmT6_P12ihipStream_tbEUlT_E_NS1_11comp_targetILNS1_3genE0ELNS1_11target_archE4294967295ELNS1_3gpuE0ELNS1_3repE0EEENS1_30default_config_static_selectorELNS0_4arch9wavefront6targetE0EEEvS11_.has_dyn_sized_stack, 0
	.set _ZN7rocprim17ROCPRIM_400000_NS6detail17trampoline_kernelINS0_14default_configENS1_21merge_config_selectorINS0_5tupleIJyyEEENS0_10empty_typeEEEZNS1_10merge_implIS3_NS0_12zip_iteratorINS5_IJN6thrust23THRUST_200600_302600_NS6detail15normal_iteratorINSC_10device_ptrIKyEEEESI_EEEEESK_NSA_INS5_IJNSC_16discard_iteratorINSC_11use_defaultEEESN_EEEEEPS7_SQ_SQ_NSC_11hip_rocprim7__merge17predicate_wrapperIyyNSC_4lessIyEEEEEE10hipError_tPvRmT0_T1_T2_T3_T4_T5_mmT6_P12ihipStream_tbEUlT_E_NS1_11comp_targetILNS1_3genE0ELNS1_11target_archE4294967295ELNS1_3gpuE0ELNS1_3repE0EEENS1_30default_config_static_selectorELNS0_4arch9wavefront6targetE0EEEvS11_.has_recursion, 0
	.set _ZN7rocprim17ROCPRIM_400000_NS6detail17trampoline_kernelINS0_14default_configENS1_21merge_config_selectorINS0_5tupleIJyyEEENS0_10empty_typeEEEZNS1_10merge_implIS3_NS0_12zip_iteratorINS5_IJN6thrust23THRUST_200600_302600_NS6detail15normal_iteratorINSC_10device_ptrIKyEEEESI_EEEEESK_NSA_INS5_IJNSC_16discard_iteratorINSC_11use_defaultEEESN_EEEEEPS7_SQ_SQ_NSC_11hip_rocprim7__merge17predicate_wrapperIyyNSC_4lessIyEEEEEE10hipError_tPvRmT0_T1_T2_T3_T4_T5_mmT6_P12ihipStream_tbEUlT_E_NS1_11comp_targetILNS1_3genE0ELNS1_11target_archE4294967295ELNS1_3gpuE0ELNS1_3repE0EEENS1_30default_config_static_selectorELNS0_4arch9wavefront6targetE0EEEvS11_.has_indirect_call, 0
	.section	.AMDGPU.csdata,"",@progbits
; Kernel info:
; codeLenInByte = 0
; TotalNumSgprs: 0
; NumVgprs: 0
; ScratchSize: 0
; MemoryBound: 0
; FloatMode: 240
; IeeeMode: 1
; LDSByteSize: 0 bytes/workgroup (compile time only)
; SGPRBlocks: 0
; VGPRBlocks: 0
; NumSGPRsForWavesPerEU: 1
; NumVGPRsForWavesPerEU: 1
; Occupancy: 16
; WaveLimiterHint : 0
; COMPUTE_PGM_RSRC2:SCRATCH_EN: 0
; COMPUTE_PGM_RSRC2:USER_SGPR: 6
; COMPUTE_PGM_RSRC2:TRAP_HANDLER: 0
; COMPUTE_PGM_RSRC2:TGID_X_EN: 1
; COMPUTE_PGM_RSRC2:TGID_Y_EN: 0
; COMPUTE_PGM_RSRC2:TGID_Z_EN: 0
; COMPUTE_PGM_RSRC2:TIDIG_COMP_CNT: 0
	.section	.text._ZN7rocprim17ROCPRIM_400000_NS6detail17trampoline_kernelINS0_14default_configENS1_21merge_config_selectorINS0_5tupleIJyyEEENS0_10empty_typeEEEZNS1_10merge_implIS3_NS0_12zip_iteratorINS5_IJN6thrust23THRUST_200600_302600_NS6detail15normal_iteratorINSC_10device_ptrIKyEEEESI_EEEEESK_NSA_INS5_IJNSC_16discard_iteratorINSC_11use_defaultEEESN_EEEEEPS7_SQ_SQ_NSC_11hip_rocprim7__merge17predicate_wrapperIyyNSC_4lessIyEEEEEE10hipError_tPvRmT0_T1_T2_T3_T4_T5_mmT6_P12ihipStream_tbEUlT_E_NS1_11comp_targetILNS1_3genE5ELNS1_11target_archE942ELNS1_3gpuE9ELNS1_3repE0EEENS1_30default_config_static_selectorELNS0_4arch9wavefront6targetE0EEEvS11_,"axG",@progbits,_ZN7rocprim17ROCPRIM_400000_NS6detail17trampoline_kernelINS0_14default_configENS1_21merge_config_selectorINS0_5tupleIJyyEEENS0_10empty_typeEEEZNS1_10merge_implIS3_NS0_12zip_iteratorINS5_IJN6thrust23THRUST_200600_302600_NS6detail15normal_iteratorINSC_10device_ptrIKyEEEESI_EEEEESK_NSA_INS5_IJNSC_16discard_iteratorINSC_11use_defaultEEESN_EEEEEPS7_SQ_SQ_NSC_11hip_rocprim7__merge17predicate_wrapperIyyNSC_4lessIyEEEEEE10hipError_tPvRmT0_T1_T2_T3_T4_T5_mmT6_P12ihipStream_tbEUlT_E_NS1_11comp_targetILNS1_3genE5ELNS1_11target_archE942ELNS1_3gpuE9ELNS1_3repE0EEENS1_30default_config_static_selectorELNS0_4arch9wavefront6targetE0EEEvS11_,comdat
	.protected	_ZN7rocprim17ROCPRIM_400000_NS6detail17trampoline_kernelINS0_14default_configENS1_21merge_config_selectorINS0_5tupleIJyyEEENS0_10empty_typeEEEZNS1_10merge_implIS3_NS0_12zip_iteratorINS5_IJN6thrust23THRUST_200600_302600_NS6detail15normal_iteratorINSC_10device_ptrIKyEEEESI_EEEEESK_NSA_INS5_IJNSC_16discard_iteratorINSC_11use_defaultEEESN_EEEEEPS7_SQ_SQ_NSC_11hip_rocprim7__merge17predicate_wrapperIyyNSC_4lessIyEEEEEE10hipError_tPvRmT0_T1_T2_T3_T4_T5_mmT6_P12ihipStream_tbEUlT_E_NS1_11comp_targetILNS1_3genE5ELNS1_11target_archE942ELNS1_3gpuE9ELNS1_3repE0EEENS1_30default_config_static_selectorELNS0_4arch9wavefront6targetE0EEEvS11_ ; -- Begin function _ZN7rocprim17ROCPRIM_400000_NS6detail17trampoline_kernelINS0_14default_configENS1_21merge_config_selectorINS0_5tupleIJyyEEENS0_10empty_typeEEEZNS1_10merge_implIS3_NS0_12zip_iteratorINS5_IJN6thrust23THRUST_200600_302600_NS6detail15normal_iteratorINSC_10device_ptrIKyEEEESI_EEEEESK_NSA_INS5_IJNSC_16discard_iteratorINSC_11use_defaultEEESN_EEEEEPS7_SQ_SQ_NSC_11hip_rocprim7__merge17predicate_wrapperIyyNSC_4lessIyEEEEEE10hipError_tPvRmT0_T1_T2_T3_T4_T5_mmT6_P12ihipStream_tbEUlT_E_NS1_11comp_targetILNS1_3genE5ELNS1_11target_archE942ELNS1_3gpuE9ELNS1_3repE0EEENS1_30default_config_static_selectorELNS0_4arch9wavefront6targetE0EEEvS11_
	.globl	_ZN7rocprim17ROCPRIM_400000_NS6detail17trampoline_kernelINS0_14default_configENS1_21merge_config_selectorINS0_5tupleIJyyEEENS0_10empty_typeEEEZNS1_10merge_implIS3_NS0_12zip_iteratorINS5_IJN6thrust23THRUST_200600_302600_NS6detail15normal_iteratorINSC_10device_ptrIKyEEEESI_EEEEESK_NSA_INS5_IJNSC_16discard_iteratorINSC_11use_defaultEEESN_EEEEEPS7_SQ_SQ_NSC_11hip_rocprim7__merge17predicate_wrapperIyyNSC_4lessIyEEEEEE10hipError_tPvRmT0_T1_T2_T3_T4_T5_mmT6_P12ihipStream_tbEUlT_E_NS1_11comp_targetILNS1_3genE5ELNS1_11target_archE942ELNS1_3gpuE9ELNS1_3repE0EEENS1_30default_config_static_selectorELNS0_4arch9wavefront6targetE0EEEvS11_
	.p2align	8
	.type	_ZN7rocprim17ROCPRIM_400000_NS6detail17trampoline_kernelINS0_14default_configENS1_21merge_config_selectorINS0_5tupleIJyyEEENS0_10empty_typeEEEZNS1_10merge_implIS3_NS0_12zip_iteratorINS5_IJN6thrust23THRUST_200600_302600_NS6detail15normal_iteratorINSC_10device_ptrIKyEEEESI_EEEEESK_NSA_INS5_IJNSC_16discard_iteratorINSC_11use_defaultEEESN_EEEEEPS7_SQ_SQ_NSC_11hip_rocprim7__merge17predicate_wrapperIyyNSC_4lessIyEEEEEE10hipError_tPvRmT0_T1_T2_T3_T4_T5_mmT6_P12ihipStream_tbEUlT_E_NS1_11comp_targetILNS1_3genE5ELNS1_11target_archE942ELNS1_3gpuE9ELNS1_3repE0EEENS1_30default_config_static_selectorELNS0_4arch9wavefront6targetE0EEEvS11_,@function
_ZN7rocprim17ROCPRIM_400000_NS6detail17trampoline_kernelINS0_14default_configENS1_21merge_config_selectorINS0_5tupleIJyyEEENS0_10empty_typeEEEZNS1_10merge_implIS3_NS0_12zip_iteratorINS5_IJN6thrust23THRUST_200600_302600_NS6detail15normal_iteratorINSC_10device_ptrIKyEEEESI_EEEEESK_NSA_INS5_IJNSC_16discard_iteratorINSC_11use_defaultEEESN_EEEEEPS7_SQ_SQ_NSC_11hip_rocprim7__merge17predicate_wrapperIyyNSC_4lessIyEEEEEE10hipError_tPvRmT0_T1_T2_T3_T4_T5_mmT6_P12ihipStream_tbEUlT_E_NS1_11comp_targetILNS1_3genE5ELNS1_11target_archE942ELNS1_3gpuE9ELNS1_3repE0EEENS1_30default_config_static_selectorELNS0_4arch9wavefront6targetE0EEEvS11_: ; @_ZN7rocprim17ROCPRIM_400000_NS6detail17trampoline_kernelINS0_14default_configENS1_21merge_config_selectorINS0_5tupleIJyyEEENS0_10empty_typeEEEZNS1_10merge_implIS3_NS0_12zip_iteratorINS5_IJN6thrust23THRUST_200600_302600_NS6detail15normal_iteratorINSC_10device_ptrIKyEEEESI_EEEEESK_NSA_INS5_IJNSC_16discard_iteratorINSC_11use_defaultEEESN_EEEEEPS7_SQ_SQ_NSC_11hip_rocprim7__merge17predicate_wrapperIyyNSC_4lessIyEEEEEE10hipError_tPvRmT0_T1_T2_T3_T4_T5_mmT6_P12ihipStream_tbEUlT_E_NS1_11comp_targetILNS1_3genE5ELNS1_11target_archE942ELNS1_3gpuE9ELNS1_3repE0EEENS1_30default_config_static_selectorELNS0_4arch9wavefront6targetE0EEEvS11_
; %bb.0:
	.section	.rodata,"a",@progbits
	.p2align	6, 0x0
	.amdhsa_kernel _ZN7rocprim17ROCPRIM_400000_NS6detail17trampoline_kernelINS0_14default_configENS1_21merge_config_selectorINS0_5tupleIJyyEEENS0_10empty_typeEEEZNS1_10merge_implIS3_NS0_12zip_iteratorINS5_IJN6thrust23THRUST_200600_302600_NS6detail15normal_iteratorINSC_10device_ptrIKyEEEESI_EEEEESK_NSA_INS5_IJNSC_16discard_iteratorINSC_11use_defaultEEESN_EEEEEPS7_SQ_SQ_NSC_11hip_rocprim7__merge17predicate_wrapperIyyNSC_4lessIyEEEEEE10hipError_tPvRmT0_T1_T2_T3_T4_T5_mmT6_P12ihipStream_tbEUlT_E_NS1_11comp_targetILNS1_3genE5ELNS1_11target_archE942ELNS1_3gpuE9ELNS1_3repE0EEENS1_30default_config_static_selectorELNS0_4arch9wavefront6targetE0EEEvS11_
		.amdhsa_group_segment_fixed_size 0
		.amdhsa_private_segment_fixed_size 0
		.amdhsa_kernarg_size 64
		.amdhsa_user_sgpr_count 6
		.amdhsa_user_sgpr_private_segment_buffer 1
		.amdhsa_user_sgpr_dispatch_ptr 0
		.amdhsa_user_sgpr_queue_ptr 0
		.amdhsa_user_sgpr_kernarg_segment_ptr 1
		.amdhsa_user_sgpr_dispatch_id 0
		.amdhsa_user_sgpr_flat_scratch_init 0
		.amdhsa_user_sgpr_private_segment_size 0
		.amdhsa_wavefront_size32 1
		.amdhsa_uses_dynamic_stack 0
		.amdhsa_system_sgpr_private_segment_wavefront_offset 0
		.amdhsa_system_sgpr_workgroup_id_x 1
		.amdhsa_system_sgpr_workgroup_id_y 0
		.amdhsa_system_sgpr_workgroup_id_z 0
		.amdhsa_system_sgpr_workgroup_info 0
		.amdhsa_system_vgpr_workitem_id 0
		.amdhsa_next_free_vgpr 1
		.amdhsa_next_free_sgpr 1
		.amdhsa_reserve_vcc 0
		.amdhsa_reserve_flat_scratch 0
		.amdhsa_float_round_mode_32 0
		.amdhsa_float_round_mode_16_64 0
		.amdhsa_float_denorm_mode_32 3
		.amdhsa_float_denorm_mode_16_64 3
		.amdhsa_dx10_clamp 1
		.amdhsa_ieee_mode 1
		.amdhsa_fp16_overflow 0
		.amdhsa_workgroup_processor_mode 1
		.amdhsa_memory_ordered 1
		.amdhsa_forward_progress 1
		.amdhsa_shared_vgpr_count 0
		.amdhsa_exception_fp_ieee_invalid_op 0
		.amdhsa_exception_fp_denorm_src 0
		.amdhsa_exception_fp_ieee_div_zero 0
		.amdhsa_exception_fp_ieee_overflow 0
		.amdhsa_exception_fp_ieee_underflow 0
		.amdhsa_exception_fp_ieee_inexact 0
		.amdhsa_exception_int_div_zero 0
	.end_amdhsa_kernel
	.section	.text._ZN7rocprim17ROCPRIM_400000_NS6detail17trampoline_kernelINS0_14default_configENS1_21merge_config_selectorINS0_5tupleIJyyEEENS0_10empty_typeEEEZNS1_10merge_implIS3_NS0_12zip_iteratorINS5_IJN6thrust23THRUST_200600_302600_NS6detail15normal_iteratorINSC_10device_ptrIKyEEEESI_EEEEESK_NSA_INS5_IJNSC_16discard_iteratorINSC_11use_defaultEEESN_EEEEEPS7_SQ_SQ_NSC_11hip_rocprim7__merge17predicate_wrapperIyyNSC_4lessIyEEEEEE10hipError_tPvRmT0_T1_T2_T3_T4_T5_mmT6_P12ihipStream_tbEUlT_E_NS1_11comp_targetILNS1_3genE5ELNS1_11target_archE942ELNS1_3gpuE9ELNS1_3repE0EEENS1_30default_config_static_selectorELNS0_4arch9wavefront6targetE0EEEvS11_,"axG",@progbits,_ZN7rocprim17ROCPRIM_400000_NS6detail17trampoline_kernelINS0_14default_configENS1_21merge_config_selectorINS0_5tupleIJyyEEENS0_10empty_typeEEEZNS1_10merge_implIS3_NS0_12zip_iteratorINS5_IJN6thrust23THRUST_200600_302600_NS6detail15normal_iteratorINSC_10device_ptrIKyEEEESI_EEEEESK_NSA_INS5_IJNSC_16discard_iteratorINSC_11use_defaultEEESN_EEEEEPS7_SQ_SQ_NSC_11hip_rocprim7__merge17predicate_wrapperIyyNSC_4lessIyEEEEEE10hipError_tPvRmT0_T1_T2_T3_T4_T5_mmT6_P12ihipStream_tbEUlT_E_NS1_11comp_targetILNS1_3genE5ELNS1_11target_archE942ELNS1_3gpuE9ELNS1_3repE0EEENS1_30default_config_static_selectorELNS0_4arch9wavefront6targetE0EEEvS11_,comdat
.Lfunc_end516:
	.size	_ZN7rocprim17ROCPRIM_400000_NS6detail17trampoline_kernelINS0_14default_configENS1_21merge_config_selectorINS0_5tupleIJyyEEENS0_10empty_typeEEEZNS1_10merge_implIS3_NS0_12zip_iteratorINS5_IJN6thrust23THRUST_200600_302600_NS6detail15normal_iteratorINSC_10device_ptrIKyEEEESI_EEEEESK_NSA_INS5_IJNSC_16discard_iteratorINSC_11use_defaultEEESN_EEEEEPS7_SQ_SQ_NSC_11hip_rocprim7__merge17predicate_wrapperIyyNSC_4lessIyEEEEEE10hipError_tPvRmT0_T1_T2_T3_T4_T5_mmT6_P12ihipStream_tbEUlT_E_NS1_11comp_targetILNS1_3genE5ELNS1_11target_archE942ELNS1_3gpuE9ELNS1_3repE0EEENS1_30default_config_static_selectorELNS0_4arch9wavefront6targetE0EEEvS11_, .Lfunc_end516-_ZN7rocprim17ROCPRIM_400000_NS6detail17trampoline_kernelINS0_14default_configENS1_21merge_config_selectorINS0_5tupleIJyyEEENS0_10empty_typeEEEZNS1_10merge_implIS3_NS0_12zip_iteratorINS5_IJN6thrust23THRUST_200600_302600_NS6detail15normal_iteratorINSC_10device_ptrIKyEEEESI_EEEEESK_NSA_INS5_IJNSC_16discard_iteratorINSC_11use_defaultEEESN_EEEEEPS7_SQ_SQ_NSC_11hip_rocprim7__merge17predicate_wrapperIyyNSC_4lessIyEEEEEE10hipError_tPvRmT0_T1_T2_T3_T4_T5_mmT6_P12ihipStream_tbEUlT_E_NS1_11comp_targetILNS1_3genE5ELNS1_11target_archE942ELNS1_3gpuE9ELNS1_3repE0EEENS1_30default_config_static_selectorELNS0_4arch9wavefront6targetE0EEEvS11_
                                        ; -- End function
	.set _ZN7rocprim17ROCPRIM_400000_NS6detail17trampoline_kernelINS0_14default_configENS1_21merge_config_selectorINS0_5tupleIJyyEEENS0_10empty_typeEEEZNS1_10merge_implIS3_NS0_12zip_iteratorINS5_IJN6thrust23THRUST_200600_302600_NS6detail15normal_iteratorINSC_10device_ptrIKyEEEESI_EEEEESK_NSA_INS5_IJNSC_16discard_iteratorINSC_11use_defaultEEESN_EEEEEPS7_SQ_SQ_NSC_11hip_rocprim7__merge17predicate_wrapperIyyNSC_4lessIyEEEEEE10hipError_tPvRmT0_T1_T2_T3_T4_T5_mmT6_P12ihipStream_tbEUlT_E_NS1_11comp_targetILNS1_3genE5ELNS1_11target_archE942ELNS1_3gpuE9ELNS1_3repE0EEENS1_30default_config_static_selectorELNS0_4arch9wavefront6targetE0EEEvS11_.num_vgpr, 0
	.set _ZN7rocprim17ROCPRIM_400000_NS6detail17trampoline_kernelINS0_14default_configENS1_21merge_config_selectorINS0_5tupleIJyyEEENS0_10empty_typeEEEZNS1_10merge_implIS3_NS0_12zip_iteratorINS5_IJN6thrust23THRUST_200600_302600_NS6detail15normal_iteratorINSC_10device_ptrIKyEEEESI_EEEEESK_NSA_INS5_IJNSC_16discard_iteratorINSC_11use_defaultEEESN_EEEEEPS7_SQ_SQ_NSC_11hip_rocprim7__merge17predicate_wrapperIyyNSC_4lessIyEEEEEE10hipError_tPvRmT0_T1_T2_T3_T4_T5_mmT6_P12ihipStream_tbEUlT_E_NS1_11comp_targetILNS1_3genE5ELNS1_11target_archE942ELNS1_3gpuE9ELNS1_3repE0EEENS1_30default_config_static_selectorELNS0_4arch9wavefront6targetE0EEEvS11_.num_agpr, 0
	.set _ZN7rocprim17ROCPRIM_400000_NS6detail17trampoline_kernelINS0_14default_configENS1_21merge_config_selectorINS0_5tupleIJyyEEENS0_10empty_typeEEEZNS1_10merge_implIS3_NS0_12zip_iteratorINS5_IJN6thrust23THRUST_200600_302600_NS6detail15normal_iteratorINSC_10device_ptrIKyEEEESI_EEEEESK_NSA_INS5_IJNSC_16discard_iteratorINSC_11use_defaultEEESN_EEEEEPS7_SQ_SQ_NSC_11hip_rocprim7__merge17predicate_wrapperIyyNSC_4lessIyEEEEEE10hipError_tPvRmT0_T1_T2_T3_T4_T5_mmT6_P12ihipStream_tbEUlT_E_NS1_11comp_targetILNS1_3genE5ELNS1_11target_archE942ELNS1_3gpuE9ELNS1_3repE0EEENS1_30default_config_static_selectorELNS0_4arch9wavefront6targetE0EEEvS11_.numbered_sgpr, 0
	.set _ZN7rocprim17ROCPRIM_400000_NS6detail17trampoline_kernelINS0_14default_configENS1_21merge_config_selectorINS0_5tupleIJyyEEENS0_10empty_typeEEEZNS1_10merge_implIS3_NS0_12zip_iteratorINS5_IJN6thrust23THRUST_200600_302600_NS6detail15normal_iteratorINSC_10device_ptrIKyEEEESI_EEEEESK_NSA_INS5_IJNSC_16discard_iteratorINSC_11use_defaultEEESN_EEEEEPS7_SQ_SQ_NSC_11hip_rocprim7__merge17predicate_wrapperIyyNSC_4lessIyEEEEEE10hipError_tPvRmT0_T1_T2_T3_T4_T5_mmT6_P12ihipStream_tbEUlT_E_NS1_11comp_targetILNS1_3genE5ELNS1_11target_archE942ELNS1_3gpuE9ELNS1_3repE0EEENS1_30default_config_static_selectorELNS0_4arch9wavefront6targetE0EEEvS11_.num_named_barrier, 0
	.set _ZN7rocprim17ROCPRIM_400000_NS6detail17trampoline_kernelINS0_14default_configENS1_21merge_config_selectorINS0_5tupleIJyyEEENS0_10empty_typeEEEZNS1_10merge_implIS3_NS0_12zip_iteratorINS5_IJN6thrust23THRUST_200600_302600_NS6detail15normal_iteratorINSC_10device_ptrIKyEEEESI_EEEEESK_NSA_INS5_IJNSC_16discard_iteratorINSC_11use_defaultEEESN_EEEEEPS7_SQ_SQ_NSC_11hip_rocprim7__merge17predicate_wrapperIyyNSC_4lessIyEEEEEE10hipError_tPvRmT0_T1_T2_T3_T4_T5_mmT6_P12ihipStream_tbEUlT_E_NS1_11comp_targetILNS1_3genE5ELNS1_11target_archE942ELNS1_3gpuE9ELNS1_3repE0EEENS1_30default_config_static_selectorELNS0_4arch9wavefront6targetE0EEEvS11_.private_seg_size, 0
	.set _ZN7rocprim17ROCPRIM_400000_NS6detail17trampoline_kernelINS0_14default_configENS1_21merge_config_selectorINS0_5tupleIJyyEEENS0_10empty_typeEEEZNS1_10merge_implIS3_NS0_12zip_iteratorINS5_IJN6thrust23THRUST_200600_302600_NS6detail15normal_iteratorINSC_10device_ptrIKyEEEESI_EEEEESK_NSA_INS5_IJNSC_16discard_iteratorINSC_11use_defaultEEESN_EEEEEPS7_SQ_SQ_NSC_11hip_rocprim7__merge17predicate_wrapperIyyNSC_4lessIyEEEEEE10hipError_tPvRmT0_T1_T2_T3_T4_T5_mmT6_P12ihipStream_tbEUlT_E_NS1_11comp_targetILNS1_3genE5ELNS1_11target_archE942ELNS1_3gpuE9ELNS1_3repE0EEENS1_30default_config_static_selectorELNS0_4arch9wavefront6targetE0EEEvS11_.uses_vcc, 0
	.set _ZN7rocprim17ROCPRIM_400000_NS6detail17trampoline_kernelINS0_14default_configENS1_21merge_config_selectorINS0_5tupleIJyyEEENS0_10empty_typeEEEZNS1_10merge_implIS3_NS0_12zip_iteratorINS5_IJN6thrust23THRUST_200600_302600_NS6detail15normal_iteratorINSC_10device_ptrIKyEEEESI_EEEEESK_NSA_INS5_IJNSC_16discard_iteratorINSC_11use_defaultEEESN_EEEEEPS7_SQ_SQ_NSC_11hip_rocprim7__merge17predicate_wrapperIyyNSC_4lessIyEEEEEE10hipError_tPvRmT0_T1_T2_T3_T4_T5_mmT6_P12ihipStream_tbEUlT_E_NS1_11comp_targetILNS1_3genE5ELNS1_11target_archE942ELNS1_3gpuE9ELNS1_3repE0EEENS1_30default_config_static_selectorELNS0_4arch9wavefront6targetE0EEEvS11_.uses_flat_scratch, 0
	.set _ZN7rocprim17ROCPRIM_400000_NS6detail17trampoline_kernelINS0_14default_configENS1_21merge_config_selectorINS0_5tupleIJyyEEENS0_10empty_typeEEEZNS1_10merge_implIS3_NS0_12zip_iteratorINS5_IJN6thrust23THRUST_200600_302600_NS6detail15normal_iteratorINSC_10device_ptrIKyEEEESI_EEEEESK_NSA_INS5_IJNSC_16discard_iteratorINSC_11use_defaultEEESN_EEEEEPS7_SQ_SQ_NSC_11hip_rocprim7__merge17predicate_wrapperIyyNSC_4lessIyEEEEEE10hipError_tPvRmT0_T1_T2_T3_T4_T5_mmT6_P12ihipStream_tbEUlT_E_NS1_11comp_targetILNS1_3genE5ELNS1_11target_archE942ELNS1_3gpuE9ELNS1_3repE0EEENS1_30default_config_static_selectorELNS0_4arch9wavefront6targetE0EEEvS11_.has_dyn_sized_stack, 0
	.set _ZN7rocprim17ROCPRIM_400000_NS6detail17trampoline_kernelINS0_14default_configENS1_21merge_config_selectorINS0_5tupleIJyyEEENS0_10empty_typeEEEZNS1_10merge_implIS3_NS0_12zip_iteratorINS5_IJN6thrust23THRUST_200600_302600_NS6detail15normal_iteratorINSC_10device_ptrIKyEEEESI_EEEEESK_NSA_INS5_IJNSC_16discard_iteratorINSC_11use_defaultEEESN_EEEEEPS7_SQ_SQ_NSC_11hip_rocprim7__merge17predicate_wrapperIyyNSC_4lessIyEEEEEE10hipError_tPvRmT0_T1_T2_T3_T4_T5_mmT6_P12ihipStream_tbEUlT_E_NS1_11comp_targetILNS1_3genE5ELNS1_11target_archE942ELNS1_3gpuE9ELNS1_3repE0EEENS1_30default_config_static_selectorELNS0_4arch9wavefront6targetE0EEEvS11_.has_recursion, 0
	.set _ZN7rocprim17ROCPRIM_400000_NS6detail17trampoline_kernelINS0_14default_configENS1_21merge_config_selectorINS0_5tupleIJyyEEENS0_10empty_typeEEEZNS1_10merge_implIS3_NS0_12zip_iteratorINS5_IJN6thrust23THRUST_200600_302600_NS6detail15normal_iteratorINSC_10device_ptrIKyEEEESI_EEEEESK_NSA_INS5_IJNSC_16discard_iteratorINSC_11use_defaultEEESN_EEEEEPS7_SQ_SQ_NSC_11hip_rocprim7__merge17predicate_wrapperIyyNSC_4lessIyEEEEEE10hipError_tPvRmT0_T1_T2_T3_T4_T5_mmT6_P12ihipStream_tbEUlT_E_NS1_11comp_targetILNS1_3genE5ELNS1_11target_archE942ELNS1_3gpuE9ELNS1_3repE0EEENS1_30default_config_static_selectorELNS0_4arch9wavefront6targetE0EEEvS11_.has_indirect_call, 0
	.section	.AMDGPU.csdata,"",@progbits
; Kernel info:
; codeLenInByte = 0
; TotalNumSgprs: 0
; NumVgprs: 0
; ScratchSize: 0
; MemoryBound: 0
; FloatMode: 240
; IeeeMode: 1
; LDSByteSize: 0 bytes/workgroup (compile time only)
; SGPRBlocks: 0
; VGPRBlocks: 0
; NumSGPRsForWavesPerEU: 1
; NumVGPRsForWavesPerEU: 1
; Occupancy: 16
; WaveLimiterHint : 0
; COMPUTE_PGM_RSRC2:SCRATCH_EN: 0
; COMPUTE_PGM_RSRC2:USER_SGPR: 6
; COMPUTE_PGM_RSRC2:TRAP_HANDLER: 0
; COMPUTE_PGM_RSRC2:TGID_X_EN: 1
; COMPUTE_PGM_RSRC2:TGID_Y_EN: 0
; COMPUTE_PGM_RSRC2:TGID_Z_EN: 0
; COMPUTE_PGM_RSRC2:TIDIG_COMP_CNT: 0
	.section	.text._ZN7rocprim17ROCPRIM_400000_NS6detail17trampoline_kernelINS0_14default_configENS1_21merge_config_selectorINS0_5tupleIJyyEEENS0_10empty_typeEEEZNS1_10merge_implIS3_NS0_12zip_iteratorINS5_IJN6thrust23THRUST_200600_302600_NS6detail15normal_iteratorINSC_10device_ptrIKyEEEESI_EEEEESK_NSA_INS5_IJNSC_16discard_iteratorINSC_11use_defaultEEESN_EEEEEPS7_SQ_SQ_NSC_11hip_rocprim7__merge17predicate_wrapperIyyNSC_4lessIyEEEEEE10hipError_tPvRmT0_T1_T2_T3_T4_T5_mmT6_P12ihipStream_tbEUlT_E_NS1_11comp_targetILNS1_3genE4ELNS1_11target_archE910ELNS1_3gpuE8ELNS1_3repE0EEENS1_30default_config_static_selectorELNS0_4arch9wavefront6targetE0EEEvS11_,"axG",@progbits,_ZN7rocprim17ROCPRIM_400000_NS6detail17trampoline_kernelINS0_14default_configENS1_21merge_config_selectorINS0_5tupleIJyyEEENS0_10empty_typeEEEZNS1_10merge_implIS3_NS0_12zip_iteratorINS5_IJN6thrust23THRUST_200600_302600_NS6detail15normal_iteratorINSC_10device_ptrIKyEEEESI_EEEEESK_NSA_INS5_IJNSC_16discard_iteratorINSC_11use_defaultEEESN_EEEEEPS7_SQ_SQ_NSC_11hip_rocprim7__merge17predicate_wrapperIyyNSC_4lessIyEEEEEE10hipError_tPvRmT0_T1_T2_T3_T4_T5_mmT6_P12ihipStream_tbEUlT_E_NS1_11comp_targetILNS1_3genE4ELNS1_11target_archE910ELNS1_3gpuE8ELNS1_3repE0EEENS1_30default_config_static_selectorELNS0_4arch9wavefront6targetE0EEEvS11_,comdat
	.protected	_ZN7rocprim17ROCPRIM_400000_NS6detail17trampoline_kernelINS0_14default_configENS1_21merge_config_selectorINS0_5tupleIJyyEEENS0_10empty_typeEEEZNS1_10merge_implIS3_NS0_12zip_iteratorINS5_IJN6thrust23THRUST_200600_302600_NS6detail15normal_iteratorINSC_10device_ptrIKyEEEESI_EEEEESK_NSA_INS5_IJNSC_16discard_iteratorINSC_11use_defaultEEESN_EEEEEPS7_SQ_SQ_NSC_11hip_rocprim7__merge17predicate_wrapperIyyNSC_4lessIyEEEEEE10hipError_tPvRmT0_T1_T2_T3_T4_T5_mmT6_P12ihipStream_tbEUlT_E_NS1_11comp_targetILNS1_3genE4ELNS1_11target_archE910ELNS1_3gpuE8ELNS1_3repE0EEENS1_30default_config_static_selectorELNS0_4arch9wavefront6targetE0EEEvS11_ ; -- Begin function _ZN7rocprim17ROCPRIM_400000_NS6detail17trampoline_kernelINS0_14default_configENS1_21merge_config_selectorINS0_5tupleIJyyEEENS0_10empty_typeEEEZNS1_10merge_implIS3_NS0_12zip_iteratorINS5_IJN6thrust23THRUST_200600_302600_NS6detail15normal_iteratorINSC_10device_ptrIKyEEEESI_EEEEESK_NSA_INS5_IJNSC_16discard_iteratorINSC_11use_defaultEEESN_EEEEEPS7_SQ_SQ_NSC_11hip_rocprim7__merge17predicate_wrapperIyyNSC_4lessIyEEEEEE10hipError_tPvRmT0_T1_T2_T3_T4_T5_mmT6_P12ihipStream_tbEUlT_E_NS1_11comp_targetILNS1_3genE4ELNS1_11target_archE910ELNS1_3gpuE8ELNS1_3repE0EEENS1_30default_config_static_selectorELNS0_4arch9wavefront6targetE0EEEvS11_
	.globl	_ZN7rocprim17ROCPRIM_400000_NS6detail17trampoline_kernelINS0_14default_configENS1_21merge_config_selectorINS0_5tupleIJyyEEENS0_10empty_typeEEEZNS1_10merge_implIS3_NS0_12zip_iteratorINS5_IJN6thrust23THRUST_200600_302600_NS6detail15normal_iteratorINSC_10device_ptrIKyEEEESI_EEEEESK_NSA_INS5_IJNSC_16discard_iteratorINSC_11use_defaultEEESN_EEEEEPS7_SQ_SQ_NSC_11hip_rocprim7__merge17predicate_wrapperIyyNSC_4lessIyEEEEEE10hipError_tPvRmT0_T1_T2_T3_T4_T5_mmT6_P12ihipStream_tbEUlT_E_NS1_11comp_targetILNS1_3genE4ELNS1_11target_archE910ELNS1_3gpuE8ELNS1_3repE0EEENS1_30default_config_static_selectorELNS0_4arch9wavefront6targetE0EEEvS11_
	.p2align	8
	.type	_ZN7rocprim17ROCPRIM_400000_NS6detail17trampoline_kernelINS0_14default_configENS1_21merge_config_selectorINS0_5tupleIJyyEEENS0_10empty_typeEEEZNS1_10merge_implIS3_NS0_12zip_iteratorINS5_IJN6thrust23THRUST_200600_302600_NS6detail15normal_iteratorINSC_10device_ptrIKyEEEESI_EEEEESK_NSA_INS5_IJNSC_16discard_iteratorINSC_11use_defaultEEESN_EEEEEPS7_SQ_SQ_NSC_11hip_rocprim7__merge17predicate_wrapperIyyNSC_4lessIyEEEEEE10hipError_tPvRmT0_T1_T2_T3_T4_T5_mmT6_P12ihipStream_tbEUlT_E_NS1_11comp_targetILNS1_3genE4ELNS1_11target_archE910ELNS1_3gpuE8ELNS1_3repE0EEENS1_30default_config_static_selectorELNS0_4arch9wavefront6targetE0EEEvS11_,@function
_ZN7rocprim17ROCPRIM_400000_NS6detail17trampoline_kernelINS0_14default_configENS1_21merge_config_selectorINS0_5tupleIJyyEEENS0_10empty_typeEEEZNS1_10merge_implIS3_NS0_12zip_iteratorINS5_IJN6thrust23THRUST_200600_302600_NS6detail15normal_iteratorINSC_10device_ptrIKyEEEESI_EEEEESK_NSA_INS5_IJNSC_16discard_iteratorINSC_11use_defaultEEESN_EEEEEPS7_SQ_SQ_NSC_11hip_rocprim7__merge17predicate_wrapperIyyNSC_4lessIyEEEEEE10hipError_tPvRmT0_T1_T2_T3_T4_T5_mmT6_P12ihipStream_tbEUlT_E_NS1_11comp_targetILNS1_3genE4ELNS1_11target_archE910ELNS1_3gpuE8ELNS1_3repE0EEENS1_30default_config_static_selectorELNS0_4arch9wavefront6targetE0EEEvS11_: ; @_ZN7rocprim17ROCPRIM_400000_NS6detail17trampoline_kernelINS0_14default_configENS1_21merge_config_selectorINS0_5tupleIJyyEEENS0_10empty_typeEEEZNS1_10merge_implIS3_NS0_12zip_iteratorINS5_IJN6thrust23THRUST_200600_302600_NS6detail15normal_iteratorINSC_10device_ptrIKyEEEESI_EEEEESK_NSA_INS5_IJNSC_16discard_iteratorINSC_11use_defaultEEESN_EEEEEPS7_SQ_SQ_NSC_11hip_rocprim7__merge17predicate_wrapperIyyNSC_4lessIyEEEEEE10hipError_tPvRmT0_T1_T2_T3_T4_T5_mmT6_P12ihipStream_tbEUlT_E_NS1_11comp_targetILNS1_3genE4ELNS1_11target_archE910ELNS1_3gpuE8ELNS1_3repE0EEENS1_30default_config_static_selectorELNS0_4arch9wavefront6targetE0EEEvS11_
; %bb.0:
	.section	.rodata,"a",@progbits
	.p2align	6, 0x0
	.amdhsa_kernel _ZN7rocprim17ROCPRIM_400000_NS6detail17trampoline_kernelINS0_14default_configENS1_21merge_config_selectorINS0_5tupleIJyyEEENS0_10empty_typeEEEZNS1_10merge_implIS3_NS0_12zip_iteratorINS5_IJN6thrust23THRUST_200600_302600_NS6detail15normal_iteratorINSC_10device_ptrIKyEEEESI_EEEEESK_NSA_INS5_IJNSC_16discard_iteratorINSC_11use_defaultEEESN_EEEEEPS7_SQ_SQ_NSC_11hip_rocprim7__merge17predicate_wrapperIyyNSC_4lessIyEEEEEE10hipError_tPvRmT0_T1_T2_T3_T4_T5_mmT6_P12ihipStream_tbEUlT_E_NS1_11comp_targetILNS1_3genE4ELNS1_11target_archE910ELNS1_3gpuE8ELNS1_3repE0EEENS1_30default_config_static_selectorELNS0_4arch9wavefront6targetE0EEEvS11_
		.amdhsa_group_segment_fixed_size 0
		.amdhsa_private_segment_fixed_size 0
		.amdhsa_kernarg_size 64
		.amdhsa_user_sgpr_count 6
		.amdhsa_user_sgpr_private_segment_buffer 1
		.amdhsa_user_sgpr_dispatch_ptr 0
		.amdhsa_user_sgpr_queue_ptr 0
		.amdhsa_user_sgpr_kernarg_segment_ptr 1
		.amdhsa_user_sgpr_dispatch_id 0
		.amdhsa_user_sgpr_flat_scratch_init 0
		.amdhsa_user_sgpr_private_segment_size 0
		.amdhsa_wavefront_size32 1
		.amdhsa_uses_dynamic_stack 0
		.amdhsa_system_sgpr_private_segment_wavefront_offset 0
		.amdhsa_system_sgpr_workgroup_id_x 1
		.amdhsa_system_sgpr_workgroup_id_y 0
		.amdhsa_system_sgpr_workgroup_id_z 0
		.amdhsa_system_sgpr_workgroup_info 0
		.amdhsa_system_vgpr_workitem_id 0
		.amdhsa_next_free_vgpr 1
		.amdhsa_next_free_sgpr 1
		.amdhsa_reserve_vcc 0
		.amdhsa_reserve_flat_scratch 0
		.amdhsa_float_round_mode_32 0
		.amdhsa_float_round_mode_16_64 0
		.amdhsa_float_denorm_mode_32 3
		.amdhsa_float_denorm_mode_16_64 3
		.amdhsa_dx10_clamp 1
		.amdhsa_ieee_mode 1
		.amdhsa_fp16_overflow 0
		.amdhsa_workgroup_processor_mode 1
		.amdhsa_memory_ordered 1
		.amdhsa_forward_progress 1
		.amdhsa_shared_vgpr_count 0
		.amdhsa_exception_fp_ieee_invalid_op 0
		.amdhsa_exception_fp_denorm_src 0
		.amdhsa_exception_fp_ieee_div_zero 0
		.amdhsa_exception_fp_ieee_overflow 0
		.amdhsa_exception_fp_ieee_underflow 0
		.amdhsa_exception_fp_ieee_inexact 0
		.amdhsa_exception_int_div_zero 0
	.end_amdhsa_kernel
	.section	.text._ZN7rocprim17ROCPRIM_400000_NS6detail17trampoline_kernelINS0_14default_configENS1_21merge_config_selectorINS0_5tupleIJyyEEENS0_10empty_typeEEEZNS1_10merge_implIS3_NS0_12zip_iteratorINS5_IJN6thrust23THRUST_200600_302600_NS6detail15normal_iteratorINSC_10device_ptrIKyEEEESI_EEEEESK_NSA_INS5_IJNSC_16discard_iteratorINSC_11use_defaultEEESN_EEEEEPS7_SQ_SQ_NSC_11hip_rocprim7__merge17predicate_wrapperIyyNSC_4lessIyEEEEEE10hipError_tPvRmT0_T1_T2_T3_T4_T5_mmT6_P12ihipStream_tbEUlT_E_NS1_11comp_targetILNS1_3genE4ELNS1_11target_archE910ELNS1_3gpuE8ELNS1_3repE0EEENS1_30default_config_static_selectorELNS0_4arch9wavefront6targetE0EEEvS11_,"axG",@progbits,_ZN7rocprim17ROCPRIM_400000_NS6detail17trampoline_kernelINS0_14default_configENS1_21merge_config_selectorINS0_5tupleIJyyEEENS0_10empty_typeEEEZNS1_10merge_implIS3_NS0_12zip_iteratorINS5_IJN6thrust23THRUST_200600_302600_NS6detail15normal_iteratorINSC_10device_ptrIKyEEEESI_EEEEESK_NSA_INS5_IJNSC_16discard_iteratorINSC_11use_defaultEEESN_EEEEEPS7_SQ_SQ_NSC_11hip_rocprim7__merge17predicate_wrapperIyyNSC_4lessIyEEEEEE10hipError_tPvRmT0_T1_T2_T3_T4_T5_mmT6_P12ihipStream_tbEUlT_E_NS1_11comp_targetILNS1_3genE4ELNS1_11target_archE910ELNS1_3gpuE8ELNS1_3repE0EEENS1_30default_config_static_selectorELNS0_4arch9wavefront6targetE0EEEvS11_,comdat
.Lfunc_end517:
	.size	_ZN7rocprim17ROCPRIM_400000_NS6detail17trampoline_kernelINS0_14default_configENS1_21merge_config_selectorINS0_5tupleIJyyEEENS0_10empty_typeEEEZNS1_10merge_implIS3_NS0_12zip_iteratorINS5_IJN6thrust23THRUST_200600_302600_NS6detail15normal_iteratorINSC_10device_ptrIKyEEEESI_EEEEESK_NSA_INS5_IJNSC_16discard_iteratorINSC_11use_defaultEEESN_EEEEEPS7_SQ_SQ_NSC_11hip_rocprim7__merge17predicate_wrapperIyyNSC_4lessIyEEEEEE10hipError_tPvRmT0_T1_T2_T3_T4_T5_mmT6_P12ihipStream_tbEUlT_E_NS1_11comp_targetILNS1_3genE4ELNS1_11target_archE910ELNS1_3gpuE8ELNS1_3repE0EEENS1_30default_config_static_selectorELNS0_4arch9wavefront6targetE0EEEvS11_, .Lfunc_end517-_ZN7rocprim17ROCPRIM_400000_NS6detail17trampoline_kernelINS0_14default_configENS1_21merge_config_selectorINS0_5tupleIJyyEEENS0_10empty_typeEEEZNS1_10merge_implIS3_NS0_12zip_iteratorINS5_IJN6thrust23THRUST_200600_302600_NS6detail15normal_iteratorINSC_10device_ptrIKyEEEESI_EEEEESK_NSA_INS5_IJNSC_16discard_iteratorINSC_11use_defaultEEESN_EEEEEPS7_SQ_SQ_NSC_11hip_rocprim7__merge17predicate_wrapperIyyNSC_4lessIyEEEEEE10hipError_tPvRmT0_T1_T2_T3_T4_T5_mmT6_P12ihipStream_tbEUlT_E_NS1_11comp_targetILNS1_3genE4ELNS1_11target_archE910ELNS1_3gpuE8ELNS1_3repE0EEENS1_30default_config_static_selectorELNS0_4arch9wavefront6targetE0EEEvS11_
                                        ; -- End function
	.set _ZN7rocprim17ROCPRIM_400000_NS6detail17trampoline_kernelINS0_14default_configENS1_21merge_config_selectorINS0_5tupleIJyyEEENS0_10empty_typeEEEZNS1_10merge_implIS3_NS0_12zip_iteratorINS5_IJN6thrust23THRUST_200600_302600_NS6detail15normal_iteratorINSC_10device_ptrIKyEEEESI_EEEEESK_NSA_INS5_IJNSC_16discard_iteratorINSC_11use_defaultEEESN_EEEEEPS7_SQ_SQ_NSC_11hip_rocprim7__merge17predicate_wrapperIyyNSC_4lessIyEEEEEE10hipError_tPvRmT0_T1_T2_T3_T4_T5_mmT6_P12ihipStream_tbEUlT_E_NS1_11comp_targetILNS1_3genE4ELNS1_11target_archE910ELNS1_3gpuE8ELNS1_3repE0EEENS1_30default_config_static_selectorELNS0_4arch9wavefront6targetE0EEEvS11_.num_vgpr, 0
	.set _ZN7rocprim17ROCPRIM_400000_NS6detail17trampoline_kernelINS0_14default_configENS1_21merge_config_selectorINS0_5tupleIJyyEEENS0_10empty_typeEEEZNS1_10merge_implIS3_NS0_12zip_iteratorINS5_IJN6thrust23THRUST_200600_302600_NS6detail15normal_iteratorINSC_10device_ptrIKyEEEESI_EEEEESK_NSA_INS5_IJNSC_16discard_iteratorINSC_11use_defaultEEESN_EEEEEPS7_SQ_SQ_NSC_11hip_rocprim7__merge17predicate_wrapperIyyNSC_4lessIyEEEEEE10hipError_tPvRmT0_T1_T2_T3_T4_T5_mmT6_P12ihipStream_tbEUlT_E_NS1_11comp_targetILNS1_3genE4ELNS1_11target_archE910ELNS1_3gpuE8ELNS1_3repE0EEENS1_30default_config_static_selectorELNS0_4arch9wavefront6targetE0EEEvS11_.num_agpr, 0
	.set _ZN7rocprim17ROCPRIM_400000_NS6detail17trampoline_kernelINS0_14default_configENS1_21merge_config_selectorINS0_5tupleIJyyEEENS0_10empty_typeEEEZNS1_10merge_implIS3_NS0_12zip_iteratorINS5_IJN6thrust23THRUST_200600_302600_NS6detail15normal_iteratorINSC_10device_ptrIKyEEEESI_EEEEESK_NSA_INS5_IJNSC_16discard_iteratorINSC_11use_defaultEEESN_EEEEEPS7_SQ_SQ_NSC_11hip_rocprim7__merge17predicate_wrapperIyyNSC_4lessIyEEEEEE10hipError_tPvRmT0_T1_T2_T3_T4_T5_mmT6_P12ihipStream_tbEUlT_E_NS1_11comp_targetILNS1_3genE4ELNS1_11target_archE910ELNS1_3gpuE8ELNS1_3repE0EEENS1_30default_config_static_selectorELNS0_4arch9wavefront6targetE0EEEvS11_.numbered_sgpr, 0
	.set _ZN7rocprim17ROCPRIM_400000_NS6detail17trampoline_kernelINS0_14default_configENS1_21merge_config_selectorINS0_5tupleIJyyEEENS0_10empty_typeEEEZNS1_10merge_implIS3_NS0_12zip_iteratorINS5_IJN6thrust23THRUST_200600_302600_NS6detail15normal_iteratorINSC_10device_ptrIKyEEEESI_EEEEESK_NSA_INS5_IJNSC_16discard_iteratorINSC_11use_defaultEEESN_EEEEEPS7_SQ_SQ_NSC_11hip_rocprim7__merge17predicate_wrapperIyyNSC_4lessIyEEEEEE10hipError_tPvRmT0_T1_T2_T3_T4_T5_mmT6_P12ihipStream_tbEUlT_E_NS1_11comp_targetILNS1_3genE4ELNS1_11target_archE910ELNS1_3gpuE8ELNS1_3repE0EEENS1_30default_config_static_selectorELNS0_4arch9wavefront6targetE0EEEvS11_.num_named_barrier, 0
	.set _ZN7rocprim17ROCPRIM_400000_NS6detail17trampoline_kernelINS0_14default_configENS1_21merge_config_selectorINS0_5tupleIJyyEEENS0_10empty_typeEEEZNS1_10merge_implIS3_NS0_12zip_iteratorINS5_IJN6thrust23THRUST_200600_302600_NS6detail15normal_iteratorINSC_10device_ptrIKyEEEESI_EEEEESK_NSA_INS5_IJNSC_16discard_iteratorINSC_11use_defaultEEESN_EEEEEPS7_SQ_SQ_NSC_11hip_rocprim7__merge17predicate_wrapperIyyNSC_4lessIyEEEEEE10hipError_tPvRmT0_T1_T2_T3_T4_T5_mmT6_P12ihipStream_tbEUlT_E_NS1_11comp_targetILNS1_3genE4ELNS1_11target_archE910ELNS1_3gpuE8ELNS1_3repE0EEENS1_30default_config_static_selectorELNS0_4arch9wavefront6targetE0EEEvS11_.private_seg_size, 0
	.set _ZN7rocprim17ROCPRIM_400000_NS6detail17trampoline_kernelINS0_14default_configENS1_21merge_config_selectorINS0_5tupleIJyyEEENS0_10empty_typeEEEZNS1_10merge_implIS3_NS0_12zip_iteratorINS5_IJN6thrust23THRUST_200600_302600_NS6detail15normal_iteratorINSC_10device_ptrIKyEEEESI_EEEEESK_NSA_INS5_IJNSC_16discard_iteratorINSC_11use_defaultEEESN_EEEEEPS7_SQ_SQ_NSC_11hip_rocprim7__merge17predicate_wrapperIyyNSC_4lessIyEEEEEE10hipError_tPvRmT0_T1_T2_T3_T4_T5_mmT6_P12ihipStream_tbEUlT_E_NS1_11comp_targetILNS1_3genE4ELNS1_11target_archE910ELNS1_3gpuE8ELNS1_3repE0EEENS1_30default_config_static_selectorELNS0_4arch9wavefront6targetE0EEEvS11_.uses_vcc, 0
	.set _ZN7rocprim17ROCPRIM_400000_NS6detail17trampoline_kernelINS0_14default_configENS1_21merge_config_selectorINS0_5tupleIJyyEEENS0_10empty_typeEEEZNS1_10merge_implIS3_NS0_12zip_iteratorINS5_IJN6thrust23THRUST_200600_302600_NS6detail15normal_iteratorINSC_10device_ptrIKyEEEESI_EEEEESK_NSA_INS5_IJNSC_16discard_iteratorINSC_11use_defaultEEESN_EEEEEPS7_SQ_SQ_NSC_11hip_rocprim7__merge17predicate_wrapperIyyNSC_4lessIyEEEEEE10hipError_tPvRmT0_T1_T2_T3_T4_T5_mmT6_P12ihipStream_tbEUlT_E_NS1_11comp_targetILNS1_3genE4ELNS1_11target_archE910ELNS1_3gpuE8ELNS1_3repE0EEENS1_30default_config_static_selectorELNS0_4arch9wavefront6targetE0EEEvS11_.uses_flat_scratch, 0
	.set _ZN7rocprim17ROCPRIM_400000_NS6detail17trampoline_kernelINS0_14default_configENS1_21merge_config_selectorINS0_5tupleIJyyEEENS0_10empty_typeEEEZNS1_10merge_implIS3_NS0_12zip_iteratorINS5_IJN6thrust23THRUST_200600_302600_NS6detail15normal_iteratorINSC_10device_ptrIKyEEEESI_EEEEESK_NSA_INS5_IJNSC_16discard_iteratorINSC_11use_defaultEEESN_EEEEEPS7_SQ_SQ_NSC_11hip_rocprim7__merge17predicate_wrapperIyyNSC_4lessIyEEEEEE10hipError_tPvRmT0_T1_T2_T3_T4_T5_mmT6_P12ihipStream_tbEUlT_E_NS1_11comp_targetILNS1_3genE4ELNS1_11target_archE910ELNS1_3gpuE8ELNS1_3repE0EEENS1_30default_config_static_selectorELNS0_4arch9wavefront6targetE0EEEvS11_.has_dyn_sized_stack, 0
	.set _ZN7rocprim17ROCPRIM_400000_NS6detail17trampoline_kernelINS0_14default_configENS1_21merge_config_selectorINS0_5tupleIJyyEEENS0_10empty_typeEEEZNS1_10merge_implIS3_NS0_12zip_iteratorINS5_IJN6thrust23THRUST_200600_302600_NS6detail15normal_iteratorINSC_10device_ptrIKyEEEESI_EEEEESK_NSA_INS5_IJNSC_16discard_iteratorINSC_11use_defaultEEESN_EEEEEPS7_SQ_SQ_NSC_11hip_rocprim7__merge17predicate_wrapperIyyNSC_4lessIyEEEEEE10hipError_tPvRmT0_T1_T2_T3_T4_T5_mmT6_P12ihipStream_tbEUlT_E_NS1_11comp_targetILNS1_3genE4ELNS1_11target_archE910ELNS1_3gpuE8ELNS1_3repE0EEENS1_30default_config_static_selectorELNS0_4arch9wavefront6targetE0EEEvS11_.has_recursion, 0
	.set _ZN7rocprim17ROCPRIM_400000_NS6detail17trampoline_kernelINS0_14default_configENS1_21merge_config_selectorINS0_5tupleIJyyEEENS0_10empty_typeEEEZNS1_10merge_implIS3_NS0_12zip_iteratorINS5_IJN6thrust23THRUST_200600_302600_NS6detail15normal_iteratorINSC_10device_ptrIKyEEEESI_EEEEESK_NSA_INS5_IJNSC_16discard_iteratorINSC_11use_defaultEEESN_EEEEEPS7_SQ_SQ_NSC_11hip_rocprim7__merge17predicate_wrapperIyyNSC_4lessIyEEEEEE10hipError_tPvRmT0_T1_T2_T3_T4_T5_mmT6_P12ihipStream_tbEUlT_E_NS1_11comp_targetILNS1_3genE4ELNS1_11target_archE910ELNS1_3gpuE8ELNS1_3repE0EEENS1_30default_config_static_selectorELNS0_4arch9wavefront6targetE0EEEvS11_.has_indirect_call, 0
	.section	.AMDGPU.csdata,"",@progbits
; Kernel info:
; codeLenInByte = 0
; TotalNumSgprs: 0
; NumVgprs: 0
; ScratchSize: 0
; MemoryBound: 0
; FloatMode: 240
; IeeeMode: 1
; LDSByteSize: 0 bytes/workgroup (compile time only)
; SGPRBlocks: 0
; VGPRBlocks: 0
; NumSGPRsForWavesPerEU: 1
; NumVGPRsForWavesPerEU: 1
; Occupancy: 16
; WaveLimiterHint : 0
; COMPUTE_PGM_RSRC2:SCRATCH_EN: 0
; COMPUTE_PGM_RSRC2:USER_SGPR: 6
; COMPUTE_PGM_RSRC2:TRAP_HANDLER: 0
; COMPUTE_PGM_RSRC2:TGID_X_EN: 1
; COMPUTE_PGM_RSRC2:TGID_Y_EN: 0
; COMPUTE_PGM_RSRC2:TGID_Z_EN: 0
; COMPUTE_PGM_RSRC2:TIDIG_COMP_CNT: 0
	.section	.text._ZN7rocprim17ROCPRIM_400000_NS6detail17trampoline_kernelINS0_14default_configENS1_21merge_config_selectorINS0_5tupleIJyyEEENS0_10empty_typeEEEZNS1_10merge_implIS3_NS0_12zip_iteratorINS5_IJN6thrust23THRUST_200600_302600_NS6detail15normal_iteratorINSC_10device_ptrIKyEEEESI_EEEEESK_NSA_INS5_IJNSC_16discard_iteratorINSC_11use_defaultEEESN_EEEEEPS7_SQ_SQ_NSC_11hip_rocprim7__merge17predicate_wrapperIyyNSC_4lessIyEEEEEE10hipError_tPvRmT0_T1_T2_T3_T4_T5_mmT6_P12ihipStream_tbEUlT_E_NS1_11comp_targetILNS1_3genE3ELNS1_11target_archE908ELNS1_3gpuE7ELNS1_3repE0EEENS1_30default_config_static_selectorELNS0_4arch9wavefront6targetE0EEEvS11_,"axG",@progbits,_ZN7rocprim17ROCPRIM_400000_NS6detail17trampoline_kernelINS0_14default_configENS1_21merge_config_selectorINS0_5tupleIJyyEEENS0_10empty_typeEEEZNS1_10merge_implIS3_NS0_12zip_iteratorINS5_IJN6thrust23THRUST_200600_302600_NS6detail15normal_iteratorINSC_10device_ptrIKyEEEESI_EEEEESK_NSA_INS5_IJNSC_16discard_iteratorINSC_11use_defaultEEESN_EEEEEPS7_SQ_SQ_NSC_11hip_rocprim7__merge17predicate_wrapperIyyNSC_4lessIyEEEEEE10hipError_tPvRmT0_T1_T2_T3_T4_T5_mmT6_P12ihipStream_tbEUlT_E_NS1_11comp_targetILNS1_3genE3ELNS1_11target_archE908ELNS1_3gpuE7ELNS1_3repE0EEENS1_30default_config_static_selectorELNS0_4arch9wavefront6targetE0EEEvS11_,comdat
	.protected	_ZN7rocprim17ROCPRIM_400000_NS6detail17trampoline_kernelINS0_14default_configENS1_21merge_config_selectorINS0_5tupleIJyyEEENS0_10empty_typeEEEZNS1_10merge_implIS3_NS0_12zip_iteratorINS5_IJN6thrust23THRUST_200600_302600_NS6detail15normal_iteratorINSC_10device_ptrIKyEEEESI_EEEEESK_NSA_INS5_IJNSC_16discard_iteratorINSC_11use_defaultEEESN_EEEEEPS7_SQ_SQ_NSC_11hip_rocprim7__merge17predicate_wrapperIyyNSC_4lessIyEEEEEE10hipError_tPvRmT0_T1_T2_T3_T4_T5_mmT6_P12ihipStream_tbEUlT_E_NS1_11comp_targetILNS1_3genE3ELNS1_11target_archE908ELNS1_3gpuE7ELNS1_3repE0EEENS1_30default_config_static_selectorELNS0_4arch9wavefront6targetE0EEEvS11_ ; -- Begin function _ZN7rocprim17ROCPRIM_400000_NS6detail17trampoline_kernelINS0_14default_configENS1_21merge_config_selectorINS0_5tupleIJyyEEENS0_10empty_typeEEEZNS1_10merge_implIS3_NS0_12zip_iteratorINS5_IJN6thrust23THRUST_200600_302600_NS6detail15normal_iteratorINSC_10device_ptrIKyEEEESI_EEEEESK_NSA_INS5_IJNSC_16discard_iteratorINSC_11use_defaultEEESN_EEEEEPS7_SQ_SQ_NSC_11hip_rocprim7__merge17predicate_wrapperIyyNSC_4lessIyEEEEEE10hipError_tPvRmT0_T1_T2_T3_T4_T5_mmT6_P12ihipStream_tbEUlT_E_NS1_11comp_targetILNS1_3genE3ELNS1_11target_archE908ELNS1_3gpuE7ELNS1_3repE0EEENS1_30default_config_static_selectorELNS0_4arch9wavefront6targetE0EEEvS11_
	.globl	_ZN7rocprim17ROCPRIM_400000_NS6detail17trampoline_kernelINS0_14default_configENS1_21merge_config_selectorINS0_5tupleIJyyEEENS0_10empty_typeEEEZNS1_10merge_implIS3_NS0_12zip_iteratorINS5_IJN6thrust23THRUST_200600_302600_NS6detail15normal_iteratorINSC_10device_ptrIKyEEEESI_EEEEESK_NSA_INS5_IJNSC_16discard_iteratorINSC_11use_defaultEEESN_EEEEEPS7_SQ_SQ_NSC_11hip_rocprim7__merge17predicate_wrapperIyyNSC_4lessIyEEEEEE10hipError_tPvRmT0_T1_T2_T3_T4_T5_mmT6_P12ihipStream_tbEUlT_E_NS1_11comp_targetILNS1_3genE3ELNS1_11target_archE908ELNS1_3gpuE7ELNS1_3repE0EEENS1_30default_config_static_selectorELNS0_4arch9wavefront6targetE0EEEvS11_
	.p2align	8
	.type	_ZN7rocprim17ROCPRIM_400000_NS6detail17trampoline_kernelINS0_14default_configENS1_21merge_config_selectorINS0_5tupleIJyyEEENS0_10empty_typeEEEZNS1_10merge_implIS3_NS0_12zip_iteratorINS5_IJN6thrust23THRUST_200600_302600_NS6detail15normal_iteratorINSC_10device_ptrIKyEEEESI_EEEEESK_NSA_INS5_IJNSC_16discard_iteratorINSC_11use_defaultEEESN_EEEEEPS7_SQ_SQ_NSC_11hip_rocprim7__merge17predicate_wrapperIyyNSC_4lessIyEEEEEE10hipError_tPvRmT0_T1_T2_T3_T4_T5_mmT6_P12ihipStream_tbEUlT_E_NS1_11comp_targetILNS1_3genE3ELNS1_11target_archE908ELNS1_3gpuE7ELNS1_3repE0EEENS1_30default_config_static_selectorELNS0_4arch9wavefront6targetE0EEEvS11_,@function
_ZN7rocprim17ROCPRIM_400000_NS6detail17trampoline_kernelINS0_14default_configENS1_21merge_config_selectorINS0_5tupleIJyyEEENS0_10empty_typeEEEZNS1_10merge_implIS3_NS0_12zip_iteratorINS5_IJN6thrust23THRUST_200600_302600_NS6detail15normal_iteratorINSC_10device_ptrIKyEEEESI_EEEEESK_NSA_INS5_IJNSC_16discard_iteratorINSC_11use_defaultEEESN_EEEEEPS7_SQ_SQ_NSC_11hip_rocprim7__merge17predicate_wrapperIyyNSC_4lessIyEEEEEE10hipError_tPvRmT0_T1_T2_T3_T4_T5_mmT6_P12ihipStream_tbEUlT_E_NS1_11comp_targetILNS1_3genE3ELNS1_11target_archE908ELNS1_3gpuE7ELNS1_3repE0EEENS1_30default_config_static_selectorELNS0_4arch9wavefront6targetE0EEEvS11_: ; @_ZN7rocprim17ROCPRIM_400000_NS6detail17trampoline_kernelINS0_14default_configENS1_21merge_config_selectorINS0_5tupleIJyyEEENS0_10empty_typeEEEZNS1_10merge_implIS3_NS0_12zip_iteratorINS5_IJN6thrust23THRUST_200600_302600_NS6detail15normal_iteratorINSC_10device_ptrIKyEEEESI_EEEEESK_NSA_INS5_IJNSC_16discard_iteratorINSC_11use_defaultEEESN_EEEEEPS7_SQ_SQ_NSC_11hip_rocprim7__merge17predicate_wrapperIyyNSC_4lessIyEEEEEE10hipError_tPvRmT0_T1_T2_T3_T4_T5_mmT6_P12ihipStream_tbEUlT_E_NS1_11comp_targetILNS1_3genE3ELNS1_11target_archE908ELNS1_3gpuE7ELNS1_3repE0EEENS1_30default_config_static_selectorELNS0_4arch9wavefront6targetE0EEEvS11_
; %bb.0:
	.section	.rodata,"a",@progbits
	.p2align	6, 0x0
	.amdhsa_kernel _ZN7rocprim17ROCPRIM_400000_NS6detail17trampoline_kernelINS0_14default_configENS1_21merge_config_selectorINS0_5tupleIJyyEEENS0_10empty_typeEEEZNS1_10merge_implIS3_NS0_12zip_iteratorINS5_IJN6thrust23THRUST_200600_302600_NS6detail15normal_iteratorINSC_10device_ptrIKyEEEESI_EEEEESK_NSA_INS5_IJNSC_16discard_iteratorINSC_11use_defaultEEESN_EEEEEPS7_SQ_SQ_NSC_11hip_rocprim7__merge17predicate_wrapperIyyNSC_4lessIyEEEEEE10hipError_tPvRmT0_T1_T2_T3_T4_T5_mmT6_P12ihipStream_tbEUlT_E_NS1_11comp_targetILNS1_3genE3ELNS1_11target_archE908ELNS1_3gpuE7ELNS1_3repE0EEENS1_30default_config_static_selectorELNS0_4arch9wavefront6targetE0EEEvS11_
		.amdhsa_group_segment_fixed_size 0
		.amdhsa_private_segment_fixed_size 0
		.amdhsa_kernarg_size 64
		.amdhsa_user_sgpr_count 6
		.amdhsa_user_sgpr_private_segment_buffer 1
		.amdhsa_user_sgpr_dispatch_ptr 0
		.amdhsa_user_sgpr_queue_ptr 0
		.amdhsa_user_sgpr_kernarg_segment_ptr 1
		.amdhsa_user_sgpr_dispatch_id 0
		.amdhsa_user_sgpr_flat_scratch_init 0
		.amdhsa_user_sgpr_private_segment_size 0
		.amdhsa_wavefront_size32 1
		.amdhsa_uses_dynamic_stack 0
		.amdhsa_system_sgpr_private_segment_wavefront_offset 0
		.amdhsa_system_sgpr_workgroup_id_x 1
		.amdhsa_system_sgpr_workgroup_id_y 0
		.amdhsa_system_sgpr_workgroup_id_z 0
		.amdhsa_system_sgpr_workgroup_info 0
		.amdhsa_system_vgpr_workitem_id 0
		.amdhsa_next_free_vgpr 1
		.amdhsa_next_free_sgpr 1
		.amdhsa_reserve_vcc 0
		.amdhsa_reserve_flat_scratch 0
		.amdhsa_float_round_mode_32 0
		.amdhsa_float_round_mode_16_64 0
		.amdhsa_float_denorm_mode_32 3
		.amdhsa_float_denorm_mode_16_64 3
		.amdhsa_dx10_clamp 1
		.amdhsa_ieee_mode 1
		.amdhsa_fp16_overflow 0
		.amdhsa_workgroup_processor_mode 1
		.amdhsa_memory_ordered 1
		.amdhsa_forward_progress 1
		.amdhsa_shared_vgpr_count 0
		.amdhsa_exception_fp_ieee_invalid_op 0
		.amdhsa_exception_fp_denorm_src 0
		.amdhsa_exception_fp_ieee_div_zero 0
		.amdhsa_exception_fp_ieee_overflow 0
		.amdhsa_exception_fp_ieee_underflow 0
		.amdhsa_exception_fp_ieee_inexact 0
		.amdhsa_exception_int_div_zero 0
	.end_amdhsa_kernel
	.section	.text._ZN7rocprim17ROCPRIM_400000_NS6detail17trampoline_kernelINS0_14default_configENS1_21merge_config_selectorINS0_5tupleIJyyEEENS0_10empty_typeEEEZNS1_10merge_implIS3_NS0_12zip_iteratorINS5_IJN6thrust23THRUST_200600_302600_NS6detail15normal_iteratorINSC_10device_ptrIKyEEEESI_EEEEESK_NSA_INS5_IJNSC_16discard_iteratorINSC_11use_defaultEEESN_EEEEEPS7_SQ_SQ_NSC_11hip_rocprim7__merge17predicate_wrapperIyyNSC_4lessIyEEEEEE10hipError_tPvRmT0_T1_T2_T3_T4_T5_mmT6_P12ihipStream_tbEUlT_E_NS1_11comp_targetILNS1_3genE3ELNS1_11target_archE908ELNS1_3gpuE7ELNS1_3repE0EEENS1_30default_config_static_selectorELNS0_4arch9wavefront6targetE0EEEvS11_,"axG",@progbits,_ZN7rocprim17ROCPRIM_400000_NS6detail17trampoline_kernelINS0_14default_configENS1_21merge_config_selectorINS0_5tupleIJyyEEENS0_10empty_typeEEEZNS1_10merge_implIS3_NS0_12zip_iteratorINS5_IJN6thrust23THRUST_200600_302600_NS6detail15normal_iteratorINSC_10device_ptrIKyEEEESI_EEEEESK_NSA_INS5_IJNSC_16discard_iteratorINSC_11use_defaultEEESN_EEEEEPS7_SQ_SQ_NSC_11hip_rocprim7__merge17predicate_wrapperIyyNSC_4lessIyEEEEEE10hipError_tPvRmT0_T1_T2_T3_T4_T5_mmT6_P12ihipStream_tbEUlT_E_NS1_11comp_targetILNS1_3genE3ELNS1_11target_archE908ELNS1_3gpuE7ELNS1_3repE0EEENS1_30default_config_static_selectorELNS0_4arch9wavefront6targetE0EEEvS11_,comdat
.Lfunc_end518:
	.size	_ZN7rocprim17ROCPRIM_400000_NS6detail17trampoline_kernelINS0_14default_configENS1_21merge_config_selectorINS0_5tupleIJyyEEENS0_10empty_typeEEEZNS1_10merge_implIS3_NS0_12zip_iteratorINS5_IJN6thrust23THRUST_200600_302600_NS6detail15normal_iteratorINSC_10device_ptrIKyEEEESI_EEEEESK_NSA_INS5_IJNSC_16discard_iteratorINSC_11use_defaultEEESN_EEEEEPS7_SQ_SQ_NSC_11hip_rocprim7__merge17predicate_wrapperIyyNSC_4lessIyEEEEEE10hipError_tPvRmT0_T1_T2_T3_T4_T5_mmT6_P12ihipStream_tbEUlT_E_NS1_11comp_targetILNS1_3genE3ELNS1_11target_archE908ELNS1_3gpuE7ELNS1_3repE0EEENS1_30default_config_static_selectorELNS0_4arch9wavefront6targetE0EEEvS11_, .Lfunc_end518-_ZN7rocprim17ROCPRIM_400000_NS6detail17trampoline_kernelINS0_14default_configENS1_21merge_config_selectorINS0_5tupleIJyyEEENS0_10empty_typeEEEZNS1_10merge_implIS3_NS0_12zip_iteratorINS5_IJN6thrust23THRUST_200600_302600_NS6detail15normal_iteratorINSC_10device_ptrIKyEEEESI_EEEEESK_NSA_INS5_IJNSC_16discard_iteratorINSC_11use_defaultEEESN_EEEEEPS7_SQ_SQ_NSC_11hip_rocprim7__merge17predicate_wrapperIyyNSC_4lessIyEEEEEE10hipError_tPvRmT0_T1_T2_T3_T4_T5_mmT6_P12ihipStream_tbEUlT_E_NS1_11comp_targetILNS1_3genE3ELNS1_11target_archE908ELNS1_3gpuE7ELNS1_3repE0EEENS1_30default_config_static_selectorELNS0_4arch9wavefront6targetE0EEEvS11_
                                        ; -- End function
	.set _ZN7rocprim17ROCPRIM_400000_NS6detail17trampoline_kernelINS0_14default_configENS1_21merge_config_selectorINS0_5tupleIJyyEEENS0_10empty_typeEEEZNS1_10merge_implIS3_NS0_12zip_iteratorINS5_IJN6thrust23THRUST_200600_302600_NS6detail15normal_iteratorINSC_10device_ptrIKyEEEESI_EEEEESK_NSA_INS5_IJNSC_16discard_iteratorINSC_11use_defaultEEESN_EEEEEPS7_SQ_SQ_NSC_11hip_rocprim7__merge17predicate_wrapperIyyNSC_4lessIyEEEEEE10hipError_tPvRmT0_T1_T2_T3_T4_T5_mmT6_P12ihipStream_tbEUlT_E_NS1_11comp_targetILNS1_3genE3ELNS1_11target_archE908ELNS1_3gpuE7ELNS1_3repE0EEENS1_30default_config_static_selectorELNS0_4arch9wavefront6targetE0EEEvS11_.num_vgpr, 0
	.set _ZN7rocprim17ROCPRIM_400000_NS6detail17trampoline_kernelINS0_14default_configENS1_21merge_config_selectorINS0_5tupleIJyyEEENS0_10empty_typeEEEZNS1_10merge_implIS3_NS0_12zip_iteratorINS5_IJN6thrust23THRUST_200600_302600_NS6detail15normal_iteratorINSC_10device_ptrIKyEEEESI_EEEEESK_NSA_INS5_IJNSC_16discard_iteratorINSC_11use_defaultEEESN_EEEEEPS7_SQ_SQ_NSC_11hip_rocprim7__merge17predicate_wrapperIyyNSC_4lessIyEEEEEE10hipError_tPvRmT0_T1_T2_T3_T4_T5_mmT6_P12ihipStream_tbEUlT_E_NS1_11comp_targetILNS1_3genE3ELNS1_11target_archE908ELNS1_3gpuE7ELNS1_3repE0EEENS1_30default_config_static_selectorELNS0_4arch9wavefront6targetE0EEEvS11_.num_agpr, 0
	.set _ZN7rocprim17ROCPRIM_400000_NS6detail17trampoline_kernelINS0_14default_configENS1_21merge_config_selectorINS0_5tupleIJyyEEENS0_10empty_typeEEEZNS1_10merge_implIS3_NS0_12zip_iteratorINS5_IJN6thrust23THRUST_200600_302600_NS6detail15normal_iteratorINSC_10device_ptrIKyEEEESI_EEEEESK_NSA_INS5_IJNSC_16discard_iteratorINSC_11use_defaultEEESN_EEEEEPS7_SQ_SQ_NSC_11hip_rocprim7__merge17predicate_wrapperIyyNSC_4lessIyEEEEEE10hipError_tPvRmT0_T1_T2_T3_T4_T5_mmT6_P12ihipStream_tbEUlT_E_NS1_11comp_targetILNS1_3genE3ELNS1_11target_archE908ELNS1_3gpuE7ELNS1_3repE0EEENS1_30default_config_static_selectorELNS0_4arch9wavefront6targetE0EEEvS11_.numbered_sgpr, 0
	.set _ZN7rocprim17ROCPRIM_400000_NS6detail17trampoline_kernelINS0_14default_configENS1_21merge_config_selectorINS0_5tupleIJyyEEENS0_10empty_typeEEEZNS1_10merge_implIS3_NS0_12zip_iteratorINS5_IJN6thrust23THRUST_200600_302600_NS6detail15normal_iteratorINSC_10device_ptrIKyEEEESI_EEEEESK_NSA_INS5_IJNSC_16discard_iteratorINSC_11use_defaultEEESN_EEEEEPS7_SQ_SQ_NSC_11hip_rocprim7__merge17predicate_wrapperIyyNSC_4lessIyEEEEEE10hipError_tPvRmT0_T1_T2_T3_T4_T5_mmT6_P12ihipStream_tbEUlT_E_NS1_11comp_targetILNS1_3genE3ELNS1_11target_archE908ELNS1_3gpuE7ELNS1_3repE0EEENS1_30default_config_static_selectorELNS0_4arch9wavefront6targetE0EEEvS11_.num_named_barrier, 0
	.set _ZN7rocprim17ROCPRIM_400000_NS6detail17trampoline_kernelINS0_14default_configENS1_21merge_config_selectorINS0_5tupleIJyyEEENS0_10empty_typeEEEZNS1_10merge_implIS3_NS0_12zip_iteratorINS5_IJN6thrust23THRUST_200600_302600_NS6detail15normal_iteratorINSC_10device_ptrIKyEEEESI_EEEEESK_NSA_INS5_IJNSC_16discard_iteratorINSC_11use_defaultEEESN_EEEEEPS7_SQ_SQ_NSC_11hip_rocprim7__merge17predicate_wrapperIyyNSC_4lessIyEEEEEE10hipError_tPvRmT0_T1_T2_T3_T4_T5_mmT6_P12ihipStream_tbEUlT_E_NS1_11comp_targetILNS1_3genE3ELNS1_11target_archE908ELNS1_3gpuE7ELNS1_3repE0EEENS1_30default_config_static_selectorELNS0_4arch9wavefront6targetE0EEEvS11_.private_seg_size, 0
	.set _ZN7rocprim17ROCPRIM_400000_NS6detail17trampoline_kernelINS0_14default_configENS1_21merge_config_selectorINS0_5tupleIJyyEEENS0_10empty_typeEEEZNS1_10merge_implIS3_NS0_12zip_iteratorINS5_IJN6thrust23THRUST_200600_302600_NS6detail15normal_iteratorINSC_10device_ptrIKyEEEESI_EEEEESK_NSA_INS5_IJNSC_16discard_iteratorINSC_11use_defaultEEESN_EEEEEPS7_SQ_SQ_NSC_11hip_rocprim7__merge17predicate_wrapperIyyNSC_4lessIyEEEEEE10hipError_tPvRmT0_T1_T2_T3_T4_T5_mmT6_P12ihipStream_tbEUlT_E_NS1_11comp_targetILNS1_3genE3ELNS1_11target_archE908ELNS1_3gpuE7ELNS1_3repE0EEENS1_30default_config_static_selectorELNS0_4arch9wavefront6targetE0EEEvS11_.uses_vcc, 0
	.set _ZN7rocprim17ROCPRIM_400000_NS6detail17trampoline_kernelINS0_14default_configENS1_21merge_config_selectorINS0_5tupleIJyyEEENS0_10empty_typeEEEZNS1_10merge_implIS3_NS0_12zip_iteratorINS5_IJN6thrust23THRUST_200600_302600_NS6detail15normal_iteratorINSC_10device_ptrIKyEEEESI_EEEEESK_NSA_INS5_IJNSC_16discard_iteratorINSC_11use_defaultEEESN_EEEEEPS7_SQ_SQ_NSC_11hip_rocprim7__merge17predicate_wrapperIyyNSC_4lessIyEEEEEE10hipError_tPvRmT0_T1_T2_T3_T4_T5_mmT6_P12ihipStream_tbEUlT_E_NS1_11comp_targetILNS1_3genE3ELNS1_11target_archE908ELNS1_3gpuE7ELNS1_3repE0EEENS1_30default_config_static_selectorELNS0_4arch9wavefront6targetE0EEEvS11_.uses_flat_scratch, 0
	.set _ZN7rocprim17ROCPRIM_400000_NS6detail17trampoline_kernelINS0_14default_configENS1_21merge_config_selectorINS0_5tupleIJyyEEENS0_10empty_typeEEEZNS1_10merge_implIS3_NS0_12zip_iteratorINS5_IJN6thrust23THRUST_200600_302600_NS6detail15normal_iteratorINSC_10device_ptrIKyEEEESI_EEEEESK_NSA_INS5_IJNSC_16discard_iteratorINSC_11use_defaultEEESN_EEEEEPS7_SQ_SQ_NSC_11hip_rocprim7__merge17predicate_wrapperIyyNSC_4lessIyEEEEEE10hipError_tPvRmT0_T1_T2_T3_T4_T5_mmT6_P12ihipStream_tbEUlT_E_NS1_11comp_targetILNS1_3genE3ELNS1_11target_archE908ELNS1_3gpuE7ELNS1_3repE0EEENS1_30default_config_static_selectorELNS0_4arch9wavefront6targetE0EEEvS11_.has_dyn_sized_stack, 0
	.set _ZN7rocprim17ROCPRIM_400000_NS6detail17trampoline_kernelINS0_14default_configENS1_21merge_config_selectorINS0_5tupleIJyyEEENS0_10empty_typeEEEZNS1_10merge_implIS3_NS0_12zip_iteratorINS5_IJN6thrust23THRUST_200600_302600_NS6detail15normal_iteratorINSC_10device_ptrIKyEEEESI_EEEEESK_NSA_INS5_IJNSC_16discard_iteratorINSC_11use_defaultEEESN_EEEEEPS7_SQ_SQ_NSC_11hip_rocprim7__merge17predicate_wrapperIyyNSC_4lessIyEEEEEE10hipError_tPvRmT0_T1_T2_T3_T4_T5_mmT6_P12ihipStream_tbEUlT_E_NS1_11comp_targetILNS1_3genE3ELNS1_11target_archE908ELNS1_3gpuE7ELNS1_3repE0EEENS1_30default_config_static_selectorELNS0_4arch9wavefront6targetE0EEEvS11_.has_recursion, 0
	.set _ZN7rocprim17ROCPRIM_400000_NS6detail17trampoline_kernelINS0_14default_configENS1_21merge_config_selectorINS0_5tupleIJyyEEENS0_10empty_typeEEEZNS1_10merge_implIS3_NS0_12zip_iteratorINS5_IJN6thrust23THRUST_200600_302600_NS6detail15normal_iteratorINSC_10device_ptrIKyEEEESI_EEEEESK_NSA_INS5_IJNSC_16discard_iteratorINSC_11use_defaultEEESN_EEEEEPS7_SQ_SQ_NSC_11hip_rocprim7__merge17predicate_wrapperIyyNSC_4lessIyEEEEEE10hipError_tPvRmT0_T1_T2_T3_T4_T5_mmT6_P12ihipStream_tbEUlT_E_NS1_11comp_targetILNS1_3genE3ELNS1_11target_archE908ELNS1_3gpuE7ELNS1_3repE0EEENS1_30default_config_static_selectorELNS0_4arch9wavefront6targetE0EEEvS11_.has_indirect_call, 0
	.section	.AMDGPU.csdata,"",@progbits
; Kernel info:
; codeLenInByte = 0
; TotalNumSgprs: 0
; NumVgprs: 0
; ScratchSize: 0
; MemoryBound: 0
; FloatMode: 240
; IeeeMode: 1
; LDSByteSize: 0 bytes/workgroup (compile time only)
; SGPRBlocks: 0
; VGPRBlocks: 0
; NumSGPRsForWavesPerEU: 1
; NumVGPRsForWavesPerEU: 1
; Occupancy: 16
; WaveLimiterHint : 0
; COMPUTE_PGM_RSRC2:SCRATCH_EN: 0
; COMPUTE_PGM_RSRC2:USER_SGPR: 6
; COMPUTE_PGM_RSRC2:TRAP_HANDLER: 0
; COMPUTE_PGM_RSRC2:TGID_X_EN: 1
; COMPUTE_PGM_RSRC2:TGID_Y_EN: 0
; COMPUTE_PGM_RSRC2:TGID_Z_EN: 0
; COMPUTE_PGM_RSRC2:TIDIG_COMP_CNT: 0
	.section	.text._ZN7rocprim17ROCPRIM_400000_NS6detail17trampoline_kernelINS0_14default_configENS1_21merge_config_selectorINS0_5tupleIJyyEEENS0_10empty_typeEEEZNS1_10merge_implIS3_NS0_12zip_iteratorINS5_IJN6thrust23THRUST_200600_302600_NS6detail15normal_iteratorINSC_10device_ptrIKyEEEESI_EEEEESK_NSA_INS5_IJNSC_16discard_iteratorINSC_11use_defaultEEESN_EEEEEPS7_SQ_SQ_NSC_11hip_rocprim7__merge17predicate_wrapperIyyNSC_4lessIyEEEEEE10hipError_tPvRmT0_T1_T2_T3_T4_T5_mmT6_P12ihipStream_tbEUlT_E_NS1_11comp_targetILNS1_3genE2ELNS1_11target_archE906ELNS1_3gpuE6ELNS1_3repE0EEENS1_30default_config_static_selectorELNS0_4arch9wavefront6targetE0EEEvS11_,"axG",@progbits,_ZN7rocprim17ROCPRIM_400000_NS6detail17trampoline_kernelINS0_14default_configENS1_21merge_config_selectorINS0_5tupleIJyyEEENS0_10empty_typeEEEZNS1_10merge_implIS3_NS0_12zip_iteratorINS5_IJN6thrust23THRUST_200600_302600_NS6detail15normal_iteratorINSC_10device_ptrIKyEEEESI_EEEEESK_NSA_INS5_IJNSC_16discard_iteratorINSC_11use_defaultEEESN_EEEEEPS7_SQ_SQ_NSC_11hip_rocprim7__merge17predicate_wrapperIyyNSC_4lessIyEEEEEE10hipError_tPvRmT0_T1_T2_T3_T4_T5_mmT6_P12ihipStream_tbEUlT_E_NS1_11comp_targetILNS1_3genE2ELNS1_11target_archE906ELNS1_3gpuE6ELNS1_3repE0EEENS1_30default_config_static_selectorELNS0_4arch9wavefront6targetE0EEEvS11_,comdat
	.protected	_ZN7rocprim17ROCPRIM_400000_NS6detail17trampoline_kernelINS0_14default_configENS1_21merge_config_selectorINS0_5tupleIJyyEEENS0_10empty_typeEEEZNS1_10merge_implIS3_NS0_12zip_iteratorINS5_IJN6thrust23THRUST_200600_302600_NS6detail15normal_iteratorINSC_10device_ptrIKyEEEESI_EEEEESK_NSA_INS5_IJNSC_16discard_iteratorINSC_11use_defaultEEESN_EEEEEPS7_SQ_SQ_NSC_11hip_rocprim7__merge17predicate_wrapperIyyNSC_4lessIyEEEEEE10hipError_tPvRmT0_T1_T2_T3_T4_T5_mmT6_P12ihipStream_tbEUlT_E_NS1_11comp_targetILNS1_3genE2ELNS1_11target_archE906ELNS1_3gpuE6ELNS1_3repE0EEENS1_30default_config_static_selectorELNS0_4arch9wavefront6targetE0EEEvS11_ ; -- Begin function _ZN7rocprim17ROCPRIM_400000_NS6detail17trampoline_kernelINS0_14default_configENS1_21merge_config_selectorINS0_5tupleIJyyEEENS0_10empty_typeEEEZNS1_10merge_implIS3_NS0_12zip_iteratorINS5_IJN6thrust23THRUST_200600_302600_NS6detail15normal_iteratorINSC_10device_ptrIKyEEEESI_EEEEESK_NSA_INS5_IJNSC_16discard_iteratorINSC_11use_defaultEEESN_EEEEEPS7_SQ_SQ_NSC_11hip_rocprim7__merge17predicate_wrapperIyyNSC_4lessIyEEEEEE10hipError_tPvRmT0_T1_T2_T3_T4_T5_mmT6_P12ihipStream_tbEUlT_E_NS1_11comp_targetILNS1_3genE2ELNS1_11target_archE906ELNS1_3gpuE6ELNS1_3repE0EEENS1_30default_config_static_selectorELNS0_4arch9wavefront6targetE0EEEvS11_
	.globl	_ZN7rocprim17ROCPRIM_400000_NS6detail17trampoline_kernelINS0_14default_configENS1_21merge_config_selectorINS0_5tupleIJyyEEENS0_10empty_typeEEEZNS1_10merge_implIS3_NS0_12zip_iteratorINS5_IJN6thrust23THRUST_200600_302600_NS6detail15normal_iteratorINSC_10device_ptrIKyEEEESI_EEEEESK_NSA_INS5_IJNSC_16discard_iteratorINSC_11use_defaultEEESN_EEEEEPS7_SQ_SQ_NSC_11hip_rocprim7__merge17predicate_wrapperIyyNSC_4lessIyEEEEEE10hipError_tPvRmT0_T1_T2_T3_T4_T5_mmT6_P12ihipStream_tbEUlT_E_NS1_11comp_targetILNS1_3genE2ELNS1_11target_archE906ELNS1_3gpuE6ELNS1_3repE0EEENS1_30default_config_static_selectorELNS0_4arch9wavefront6targetE0EEEvS11_
	.p2align	8
	.type	_ZN7rocprim17ROCPRIM_400000_NS6detail17trampoline_kernelINS0_14default_configENS1_21merge_config_selectorINS0_5tupleIJyyEEENS0_10empty_typeEEEZNS1_10merge_implIS3_NS0_12zip_iteratorINS5_IJN6thrust23THRUST_200600_302600_NS6detail15normal_iteratorINSC_10device_ptrIKyEEEESI_EEEEESK_NSA_INS5_IJNSC_16discard_iteratorINSC_11use_defaultEEESN_EEEEEPS7_SQ_SQ_NSC_11hip_rocprim7__merge17predicate_wrapperIyyNSC_4lessIyEEEEEE10hipError_tPvRmT0_T1_T2_T3_T4_T5_mmT6_P12ihipStream_tbEUlT_E_NS1_11comp_targetILNS1_3genE2ELNS1_11target_archE906ELNS1_3gpuE6ELNS1_3repE0EEENS1_30default_config_static_selectorELNS0_4arch9wavefront6targetE0EEEvS11_,@function
_ZN7rocprim17ROCPRIM_400000_NS6detail17trampoline_kernelINS0_14default_configENS1_21merge_config_selectorINS0_5tupleIJyyEEENS0_10empty_typeEEEZNS1_10merge_implIS3_NS0_12zip_iteratorINS5_IJN6thrust23THRUST_200600_302600_NS6detail15normal_iteratorINSC_10device_ptrIKyEEEESI_EEEEESK_NSA_INS5_IJNSC_16discard_iteratorINSC_11use_defaultEEESN_EEEEEPS7_SQ_SQ_NSC_11hip_rocprim7__merge17predicate_wrapperIyyNSC_4lessIyEEEEEE10hipError_tPvRmT0_T1_T2_T3_T4_T5_mmT6_P12ihipStream_tbEUlT_E_NS1_11comp_targetILNS1_3genE2ELNS1_11target_archE906ELNS1_3gpuE6ELNS1_3repE0EEENS1_30default_config_static_selectorELNS0_4arch9wavefront6targetE0EEEvS11_: ; @_ZN7rocprim17ROCPRIM_400000_NS6detail17trampoline_kernelINS0_14default_configENS1_21merge_config_selectorINS0_5tupleIJyyEEENS0_10empty_typeEEEZNS1_10merge_implIS3_NS0_12zip_iteratorINS5_IJN6thrust23THRUST_200600_302600_NS6detail15normal_iteratorINSC_10device_ptrIKyEEEESI_EEEEESK_NSA_INS5_IJNSC_16discard_iteratorINSC_11use_defaultEEESN_EEEEEPS7_SQ_SQ_NSC_11hip_rocprim7__merge17predicate_wrapperIyyNSC_4lessIyEEEEEE10hipError_tPvRmT0_T1_T2_T3_T4_T5_mmT6_P12ihipStream_tbEUlT_E_NS1_11comp_targetILNS1_3genE2ELNS1_11target_archE906ELNS1_3gpuE6ELNS1_3repE0EEENS1_30default_config_static_selectorELNS0_4arch9wavefront6targetE0EEEvS11_
; %bb.0:
	.section	.rodata,"a",@progbits
	.p2align	6, 0x0
	.amdhsa_kernel _ZN7rocprim17ROCPRIM_400000_NS6detail17trampoline_kernelINS0_14default_configENS1_21merge_config_selectorINS0_5tupleIJyyEEENS0_10empty_typeEEEZNS1_10merge_implIS3_NS0_12zip_iteratorINS5_IJN6thrust23THRUST_200600_302600_NS6detail15normal_iteratorINSC_10device_ptrIKyEEEESI_EEEEESK_NSA_INS5_IJNSC_16discard_iteratorINSC_11use_defaultEEESN_EEEEEPS7_SQ_SQ_NSC_11hip_rocprim7__merge17predicate_wrapperIyyNSC_4lessIyEEEEEE10hipError_tPvRmT0_T1_T2_T3_T4_T5_mmT6_P12ihipStream_tbEUlT_E_NS1_11comp_targetILNS1_3genE2ELNS1_11target_archE906ELNS1_3gpuE6ELNS1_3repE0EEENS1_30default_config_static_selectorELNS0_4arch9wavefront6targetE0EEEvS11_
		.amdhsa_group_segment_fixed_size 0
		.amdhsa_private_segment_fixed_size 0
		.amdhsa_kernarg_size 64
		.amdhsa_user_sgpr_count 6
		.amdhsa_user_sgpr_private_segment_buffer 1
		.amdhsa_user_sgpr_dispatch_ptr 0
		.amdhsa_user_sgpr_queue_ptr 0
		.amdhsa_user_sgpr_kernarg_segment_ptr 1
		.amdhsa_user_sgpr_dispatch_id 0
		.amdhsa_user_sgpr_flat_scratch_init 0
		.amdhsa_user_sgpr_private_segment_size 0
		.amdhsa_wavefront_size32 1
		.amdhsa_uses_dynamic_stack 0
		.amdhsa_system_sgpr_private_segment_wavefront_offset 0
		.amdhsa_system_sgpr_workgroup_id_x 1
		.amdhsa_system_sgpr_workgroup_id_y 0
		.amdhsa_system_sgpr_workgroup_id_z 0
		.amdhsa_system_sgpr_workgroup_info 0
		.amdhsa_system_vgpr_workitem_id 0
		.amdhsa_next_free_vgpr 1
		.amdhsa_next_free_sgpr 1
		.amdhsa_reserve_vcc 0
		.amdhsa_reserve_flat_scratch 0
		.amdhsa_float_round_mode_32 0
		.amdhsa_float_round_mode_16_64 0
		.amdhsa_float_denorm_mode_32 3
		.amdhsa_float_denorm_mode_16_64 3
		.amdhsa_dx10_clamp 1
		.amdhsa_ieee_mode 1
		.amdhsa_fp16_overflow 0
		.amdhsa_workgroup_processor_mode 1
		.amdhsa_memory_ordered 1
		.amdhsa_forward_progress 1
		.amdhsa_shared_vgpr_count 0
		.amdhsa_exception_fp_ieee_invalid_op 0
		.amdhsa_exception_fp_denorm_src 0
		.amdhsa_exception_fp_ieee_div_zero 0
		.amdhsa_exception_fp_ieee_overflow 0
		.amdhsa_exception_fp_ieee_underflow 0
		.amdhsa_exception_fp_ieee_inexact 0
		.amdhsa_exception_int_div_zero 0
	.end_amdhsa_kernel
	.section	.text._ZN7rocprim17ROCPRIM_400000_NS6detail17trampoline_kernelINS0_14default_configENS1_21merge_config_selectorINS0_5tupleIJyyEEENS0_10empty_typeEEEZNS1_10merge_implIS3_NS0_12zip_iteratorINS5_IJN6thrust23THRUST_200600_302600_NS6detail15normal_iteratorINSC_10device_ptrIKyEEEESI_EEEEESK_NSA_INS5_IJNSC_16discard_iteratorINSC_11use_defaultEEESN_EEEEEPS7_SQ_SQ_NSC_11hip_rocprim7__merge17predicate_wrapperIyyNSC_4lessIyEEEEEE10hipError_tPvRmT0_T1_T2_T3_T4_T5_mmT6_P12ihipStream_tbEUlT_E_NS1_11comp_targetILNS1_3genE2ELNS1_11target_archE906ELNS1_3gpuE6ELNS1_3repE0EEENS1_30default_config_static_selectorELNS0_4arch9wavefront6targetE0EEEvS11_,"axG",@progbits,_ZN7rocprim17ROCPRIM_400000_NS6detail17trampoline_kernelINS0_14default_configENS1_21merge_config_selectorINS0_5tupleIJyyEEENS0_10empty_typeEEEZNS1_10merge_implIS3_NS0_12zip_iteratorINS5_IJN6thrust23THRUST_200600_302600_NS6detail15normal_iteratorINSC_10device_ptrIKyEEEESI_EEEEESK_NSA_INS5_IJNSC_16discard_iteratorINSC_11use_defaultEEESN_EEEEEPS7_SQ_SQ_NSC_11hip_rocprim7__merge17predicate_wrapperIyyNSC_4lessIyEEEEEE10hipError_tPvRmT0_T1_T2_T3_T4_T5_mmT6_P12ihipStream_tbEUlT_E_NS1_11comp_targetILNS1_3genE2ELNS1_11target_archE906ELNS1_3gpuE6ELNS1_3repE0EEENS1_30default_config_static_selectorELNS0_4arch9wavefront6targetE0EEEvS11_,comdat
.Lfunc_end519:
	.size	_ZN7rocprim17ROCPRIM_400000_NS6detail17trampoline_kernelINS0_14default_configENS1_21merge_config_selectorINS0_5tupleIJyyEEENS0_10empty_typeEEEZNS1_10merge_implIS3_NS0_12zip_iteratorINS5_IJN6thrust23THRUST_200600_302600_NS6detail15normal_iteratorINSC_10device_ptrIKyEEEESI_EEEEESK_NSA_INS5_IJNSC_16discard_iteratorINSC_11use_defaultEEESN_EEEEEPS7_SQ_SQ_NSC_11hip_rocprim7__merge17predicate_wrapperIyyNSC_4lessIyEEEEEE10hipError_tPvRmT0_T1_T2_T3_T4_T5_mmT6_P12ihipStream_tbEUlT_E_NS1_11comp_targetILNS1_3genE2ELNS1_11target_archE906ELNS1_3gpuE6ELNS1_3repE0EEENS1_30default_config_static_selectorELNS0_4arch9wavefront6targetE0EEEvS11_, .Lfunc_end519-_ZN7rocprim17ROCPRIM_400000_NS6detail17trampoline_kernelINS0_14default_configENS1_21merge_config_selectorINS0_5tupleIJyyEEENS0_10empty_typeEEEZNS1_10merge_implIS3_NS0_12zip_iteratorINS5_IJN6thrust23THRUST_200600_302600_NS6detail15normal_iteratorINSC_10device_ptrIKyEEEESI_EEEEESK_NSA_INS5_IJNSC_16discard_iteratorINSC_11use_defaultEEESN_EEEEEPS7_SQ_SQ_NSC_11hip_rocprim7__merge17predicate_wrapperIyyNSC_4lessIyEEEEEE10hipError_tPvRmT0_T1_T2_T3_T4_T5_mmT6_P12ihipStream_tbEUlT_E_NS1_11comp_targetILNS1_3genE2ELNS1_11target_archE906ELNS1_3gpuE6ELNS1_3repE0EEENS1_30default_config_static_selectorELNS0_4arch9wavefront6targetE0EEEvS11_
                                        ; -- End function
	.set _ZN7rocprim17ROCPRIM_400000_NS6detail17trampoline_kernelINS0_14default_configENS1_21merge_config_selectorINS0_5tupleIJyyEEENS0_10empty_typeEEEZNS1_10merge_implIS3_NS0_12zip_iteratorINS5_IJN6thrust23THRUST_200600_302600_NS6detail15normal_iteratorINSC_10device_ptrIKyEEEESI_EEEEESK_NSA_INS5_IJNSC_16discard_iteratorINSC_11use_defaultEEESN_EEEEEPS7_SQ_SQ_NSC_11hip_rocprim7__merge17predicate_wrapperIyyNSC_4lessIyEEEEEE10hipError_tPvRmT0_T1_T2_T3_T4_T5_mmT6_P12ihipStream_tbEUlT_E_NS1_11comp_targetILNS1_3genE2ELNS1_11target_archE906ELNS1_3gpuE6ELNS1_3repE0EEENS1_30default_config_static_selectorELNS0_4arch9wavefront6targetE0EEEvS11_.num_vgpr, 0
	.set _ZN7rocprim17ROCPRIM_400000_NS6detail17trampoline_kernelINS0_14default_configENS1_21merge_config_selectorINS0_5tupleIJyyEEENS0_10empty_typeEEEZNS1_10merge_implIS3_NS0_12zip_iteratorINS5_IJN6thrust23THRUST_200600_302600_NS6detail15normal_iteratorINSC_10device_ptrIKyEEEESI_EEEEESK_NSA_INS5_IJNSC_16discard_iteratorINSC_11use_defaultEEESN_EEEEEPS7_SQ_SQ_NSC_11hip_rocprim7__merge17predicate_wrapperIyyNSC_4lessIyEEEEEE10hipError_tPvRmT0_T1_T2_T3_T4_T5_mmT6_P12ihipStream_tbEUlT_E_NS1_11comp_targetILNS1_3genE2ELNS1_11target_archE906ELNS1_3gpuE6ELNS1_3repE0EEENS1_30default_config_static_selectorELNS0_4arch9wavefront6targetE0EEEvS11_.num_agpr, 0
	.set _ZN7rocprim17ROCPRIM_400000_NS6detail17trampoline_kernelINS0_14default_configENS1_21merge_config_selectorINS0_5tupleIJyyEEENS0_10empty_typeEEEZNS1_10merge_implIS3_NS0_12zip_iteratorINS5_IJN6thrust23THRUST_200600_302600_NS6detail15normal_iteratorINSC_10device_ptrIKyEEEESI_EEEEESK_NSA_INS5_IJNSC_16discard_iteratorINSC_11use_defaultEEESN_EEEEEPS7_SQ_SQ_NSC_11hip_rocprim7__merge17predicate_wrapperIyyNSC_4lessIyEEEEEE10hipError_tPvRmT0_T1_T2_T3_T4_T5_mmT6_P12ihipStream_tbEUlT_E_NS1_11comp_targetILNS1_3genE2ELNS1_11target_archE906ELNS1_3gpuE6ELNS1_3repE0EEENS1_30default_config_static_selectorELNS0_4arch9wavefront6targetE0EEEvS11_.numbered_sgpr, 0
	.set _ZN7rocprim17ROCPRIM_400000_NS6detail17trampoline_kernelINS0_14default_configENS1_21merge_config_selectorINS0_5tupleIJyyEEENS0_10empty_typeEEEZNS1_10merge_implIS3_NS0_12zip_iteratorINS5_IJN6thrust23THRUST_200600_302600_NS6detail15normal_iteratorINSC_10device_ptrIKyEEEESI_EEEEESK_NSA_INS5_IJNSC_16discard_iteratorINSC_11use_defaultEEESN_EEEEEPS7_SQ_SQ_NSC_11hip_rocprim7__merge17predicate_wrapperIyyNSC_4lessIyEEEEEE10hipError_tPvRmT0_T1_T2_T3_T4_T5_mmT6_P12ihipStream_tbEUlT_E_NS1_11comp_targetILNS1_3genE2ELNS1_11target_archE906ELNS1_3gpuE6ELNS1_3repE0EEENS1_30default_config_static_selectorELNS0_4arch9wavefront6targetE0EEEvS11_.num_named_barrier, 0
	.set _ZN7rocprim17ROCPRIM_400000_NS6detail17trampoline_kernelINS0_14default_configENS1_21merge_config_selectorINS0_5tupleIJyyEEENS0_10empty_typeEEEZNS1_10merge_implIS3_NS0_12zip_iteratorINS5_IJN6thrust23THRUST_200600_302600_NS6detail15normal_iteratorINSC_10device_ptrIKyEEEESI_EEEEESK_NSA_INS5_IJNSC_16discard_iteratorINSC_11use_defaultEEESN_EEEEEPS7_SQ_SQ_NSC_11hip_rocprim7__merge17predicate_wrapperIyyNSC_4lessIyEEEEEE10hipError_tPvRmT0_T1_T2_T3_T4_T5_mmT6_P12ihipStream_tbEUlT_E_NS1_11comp_targetILNS1_3genE2ELNS1_11target_archE906ELNS1_3gpuE6ELNS1_3repE0EEENS1_30default_config_static_selectorELNS0_4arch9wavefront6targetE0EEEvS11_.private_seg_size, 0
	.set _ZN7rocprim17ROCPRIM_400000_NS6detail17trampoline_kernelINS0_14default_configENS1_21merge_config_selectorINS0_5tupleIJyyEEENS0_10empty_typeEEEZNS1_10merge_implIS3_NS0_12zip_iteratorINS5_IJN6thrust23THRUST_200600_302600_NS6detail15normal_iteratorINSC_10device_ptrIKyEEEESI_EEEEESK_NSA_INS5_IJNSC_16discard_iteratorINSC_11use_defaultEEESN_EEEEEPS7_SQ_SQ_NSC_11hip_rocprim7__merge17predicate_wrapperIyyNSC_4lessIyEEEEEE10hipError_tPvRmT0_T1_T2_T3_T4_T5_mmT6_P12ihipStream_tbEUlT_E_NS1_11comp_targetILNS1_3genE2ELNS1_11target_archE906ELNS1_3gpuE6ELNS1_3repE0EEENS1_30default_config_static_selectorELNS0_4arch9wavefront6targetE0EEEvS11_.uses_vcc, 0
	.set _ZN7rocprim17ROCPRIM_400000_NS6detail17trampoline_kernelINS0_14default_configENS1_21merge_config_selectorINS0_5tupleIJyyEEENS0_10empty_typeEEEZNS1_10merge_implIS3_NS0_12zip_iteratorINS5_IJN6thrust23THRUST_200600_302600_NS6detail15normal_iteratorINSC_10device_ptrIKyEEEESI_EEEEESK_NSA_INS5_IJNSC_16discard_iteratorINSC_11use_defaultEEESN_EEEEEPS7_SQ_SQ_NSC_11hip_rocprim7__merge17predicate_wrapperIyyNSC_4lessIyEEEEEE10hipError_tPvRmT0_T1_T2_T3_T4_T5_mmT6_P12ihipStream_tbEUlT_E_NS1_11comp_targetILNS1_3genE2ELNS1_11target_archE906ELNS1_3gpuE6ELNS1_3repE0EEENS1_30default_config_static_selectorELNS0_4arch9wavefront6targetE0EEEvS11_.uses_flat_scratch, 0
	.set _ZN7rocprim17ROCPRIM_400000_NS6detail17trampoline_kernelINS0_14default_configENS1_21merge_config_selectorINS0_5tupleIJyyEEENS0_10empty_typeEEEZNS1_10merge_implIS3_NS0_12zip_iteratorINS5_IJN6thrust23THRUST_200600_302600_NS6detail15normal_iteratorINSC_10device_ptrIKyEEEESI_EEEEESK_NSA_INS5_IJNSC_16discard_iteratorINSC_11use_defaultEEESN_EEEEEPS7_SQ_SQ_NSC_11hip_rocprim7__merge17predicate_wrapperIyyNSC_4lessIyEEEEEE10hipError_tPvRmT0_T1_T2_T3_T4_T5_mmT6_P12ihipStream_tbEUlT_E_NS1_11comp_targetILNS1_3genE2ELNS1_11target_archE906ELNS1_3gpuE6ELNS1_3repE0EEENS1_30default_config_static_selectorELNS0_4arch9wavefront6targetE0EEEvS11_.has_dyn_sized_stack, 0
	.set _ZN7rocprim17ROCPRIM_400000_NS6detail17trampoline_kernelINS0_14default_configENS1_21merge_config_selectorINS0_5tupleIJyyEEENS0_10empty_typeEEEZNS1_10merge_implIS3_NS0_12zip_iteratorINS5_IJN6thrust23THRUST_200600_302600_NS6detail15normal_iteratorINSC_10device_ptrIKyEEEESI_EEEEESK_NSA_INS5_IJNSC_16discard_iteratorINSC_11use_defaultEEESN_EEEEEPS7_SQ_SQ_NSC_11hip_rocprim7__merge17predicate_wrapperIyyNSC_4lessIyEEEEEE10hipError_tPvRmT0_T1_T2_T3_T4_T5_mmT6_P12ihipStream_tbEUlT_E_NS1_11comp_targetILNS1_3genE2ELNS1_11target_archE906ELNS1_3gpuE6ELNS1_3repE0EEENS1_30default_config_static_selectorELNS0_4arch9wavefront6targetE0EEEvS11_.has_recursion, 0
	.set _ZN7rocprim17ROCPRIM_400000_NS6detail17trampoline_kernelINS0_14default_configENS1_21merge_config_selectorINS0_5tupleIJyyEEENS0_10empty_typeEEEZNS1_10merge_implIS3_NS0_12zip_iteratorINS5_IJN6thrust23THRUST_200600_302600_NS6detail15normal_iteratorINSC_10device_ptrIKyEEEESI_EEEEESK_NSA_INS5_IJNSC_16discard_iteratorINSC_11use_defaultEEESN_EEEEEPS7_SQ_SQ_NSC_11hip_rocprim7__merge17predicate_wrapperIyyNSC_4lessIyEEEEEE10hipError_tPvRmT0_T1_T2_T3_T4_T5_mmT6_P12ihipStream_tbEUlT_E_NS1_11comp_targetILNS1_3genE2ELNS1_11target_archE906ELNS1_3gpuE6ELNS1_3repE0EEENS1_30default_config_static_selectorELNS0_4arch9wavefront6targetE0EEEvS11_.has_indirect_call, 0
	.section	.AMDGPU.csdata,"",@progbits
; Kernel info:
; codeLenInByte = 0
; TotalNumSgprs: 0
; NumVgprs: 0
; ScratchSize: 0
; MemoryBound: 0
; FloatMode: 240
; IeeeMode: 1
; LDSByteSize: 0 bytes/workgroup (compile time only)
; SGPRBlocks: 0
; VGPRBlocks: 0
; NumSGPRsForWavesPerEU: 1
; NumVGPRsForWavesPerEU: 1
; Occupancy: 16
; WaveLimiterHint : 0
; COMPUTE_PGM_RSRC2:SCRATCH_EN: 0
; COMPUTE_PGM_RSRC2:USER_SGPR: 6
; COMPUTE_PGM_RSRC2:TRAP_HANDLER: 0
; COMPUTE_PGM_RSRC2:TGID_X_EN: 1
; COMPUTE_PGM_RSRC2:TGID_Y_EN: 0
; COMPUTE_PGM_RSRC2:TGID_Z_EN: 0
; COMPUTE_PGM_RSRC2:TIDIG_COMP_CNT: 0
	.section	.text._ZN7rocprim17ROCPRIM_400000_NS6detail17trampoline_kernelINS0_14default_configENS1_21merge_config_selectorINS0_5tupleIJyyEEENS0_10empty_typeEEEZNS1_10merge_implIS3_NS0_12zip_iteratorINS5_IJN6thrust23THRUST_200600_302600_NS6detail15normal_iteratorINSC_10device_ptrIKyEEEESI_EEEEESK_NSA_INS5_IJNSC_16discard_iteratorINSC_11use_defaultEEESN_EEEEEPS7_SQ_SQ_NSC_11hip_rocprim7__merge17predicate_wrapperIyyNSC_4lessIyEEEEEE10hipError_tPvRmT0_T1_T2_T3_T4_T5_mmT6_P12ihipStream_tbEUlT_E_NS1_11comp_targetILNS1_3genE10ELNS1_11target_archE1201ELNS1_3gpuE5ELNS1_3repE0EEENS1_30default_config_static_selectorELNS0_4arch9wavefront6targetE0EEEvS11_,"axG",@progbits,_ZN7rocprim17ROCPRIM_400000_NS6detail17trampoline_kernelINS0_14default_configENS1_21merge_config_selectorINS0_5tupleIJyyEEENS0_10empty_typeEEEZNS1_10merge_implIS3_NS0_12zip_iteratorINS5_IJN6thrust23THRUST_200600_302600_NS6detail15normal_iteratorINSC_10device_ptrIKyEEEESI_EEEEESK_NSA_INS5_IJNSC_16discard_iteratorINSC_11use_defaultEEESN_EEEEEPS7_SQ_SQ_NSC_11hip_rocprim7__merge17predicate_wrapperIyyNSC_4lessIyEEEEEE10hipError_tPvRmT0_T1_T2_T3_T4_T5_mmT6_P12ihipStream_tbEUlT_E_NS1_11comp_targetILNS1_3genE10ELNS1_11target_archE1201ELNS1_3gpuE5ELNS1_3repE0EEENS1_30default_config_static_selectorELNS0_4arch9wavefront6targetE0EEEvS11_,comdat
	.protected	_ZN7rocprim17ROCPRIM_400000_NS6detail17trampoline_kernelINS0_14default_configENS1_21merge_config_selectorINS0_5tupleIJyyEEENS0_10empty_typeEEEZNS1_10merge_implIS3_NS0_12zip_iteratorINS5_IJN6thrust23THRUST_200600_302600_NS6detail15normal_iteratorINSC_10device_ptrIKyEEEESI_EEEEESK_NSA_INS5_IJNSC_16discard_iteratorINSC_11use_defaultEEESN_EEEEEPS7_SQ_SQ_NSC_11hip_rocprim7__merge17predicate_wrapperIyyNSC_4lessIyEEEEEE10hipError_tPvRmT0_T1_T2_T3_T4_T5_mmT6_P12ihipStream_tbEUlT_E_NS1_11comp_targetILNS1_3genE10ELNS1_11target_archE1201ELNS1_3gpuE5ELNS1_3repE0EEENS1_30default_config_static_selectorELNS0_4arch9wavefront6targetE0EEEvS11_ ; -- Begin function _ZN7rocprim17ROCPRIM_400000_NS6detail17trampoline_kernelINS0_14default_configENS1_21merge_config_selectorINS0_5tupleIJyyEEENS0_10empty_typeEEEZNS1_10merge_implIS3_NS0_12zip_iteratorINS5_IJN6thrust23THRUST_200600_302600_NS6detail15normal_iteratorINSC_10device_ptrIKyEEEESI_EEEEESK_NSA_INS5_IJNSC_16discard_iteratorINSC_11use_defaultEEESN_EEEEEPS7_SQ_SQ_NSC_11hip_rocprim7__merge17predicate_wrapperIyyNSC_4lessIyEEEEEE10hipError_tPvRmT0_T1_T2_T3_T4_T5_mmT6_P12ihipStream_tbEUlT_E_NS1_11comp_targetILNS1_3genE10ELNS1_11target_archE1201ELNS1_3gpuE5ELNS1_3repE0EEENS1_30default_config_static_selectorELNS0_4arch9wavefront6targetE0EEEvS11_
	.globl	_ZN7rocprim17ROCPRIM_400000_NS6detail17trampoline_kernelINS0_14default_configENS1_21merge_config_selectorINS0_5tupleIJyyEEENS0_10empty_typeEEEZNS1_10merge_implIS3_NS0_12zip_iteratorINS5_IJN6thrust23THRUST_200600_302600_NS6detail15normal_iteratorINSC_10device_ptrIKyEEEESI_EEEEESK_NSA_INS5_IJNSC_16discard_iteratorINSC_11use_defaultEEESN_EEEEEPS7_SQ_SQ_NSC_11hip_rocprim7__merge17predicate_wrapperIyyNSC_4lessIyEEEEEE10hipError_tPvRmT0_T1_T2_T3_T4_T5_mmT6_P12ihipStream_tbEUlT_E_NS1_11comp_targetILNS1_3genE10ELNS1_11target_archE1201ELNS1_3gpuE5ELNS1_3repE0EEENS1_30default_config_static_selectorELNS0_4arch9wavefront6targetE0EEEvS11_
	.p2align	8
	.type	_ZN7rocprim17ROCPRIM_400000_NS6detail17trampoline_kernelINS0_14default_configENS1_21merge_config_selectorINS0_5tupleIJyyEEENS0_10empty_typeEEEZNS1_10merge_implIS3_NS0_12zip_iteratorINS5_IJN6thrust23THRUST_200600_302600_NS6detail15normal_iteratorINSC_10device_ptrIKyEEEESI_EEEEESK_NSA_INS5_IJNSC_16discard_iteratorINSC_11use_defaultEEESN_EEEEEPS7_SQ_SQ_NSC_11hip_rocprim7__merge17predicate_wrapperIyyNSC_4lessIyEEEEEE10hipError_tPvRmT0_T1_T2_T3_T4_T5_mmT6_P12ihipStream_tbEUlT_E_NS1_11comp_targetILNS1_3genE10ELNS1_11target_archE1201ELNS1_3gpuE5ELNS1_3repE0EEENS1_30default_config_static_selectorELNS0_4arch9wavefront6targetE0EEEvS11_,@function
_ZN7rocprim17ROCPRIM_400000_NS6detail17trampoline_kernelINS0_14default_configENS1_21merge_config_selectorINS0_5tupleIJyyEEENS0_10empty_typeEEEZNS1_10merge_implIS3_NS0_12zip_iteratorINS5_IJN6thrust23THRUST_200600_302600_NS6detail15normal_iteratorINSC_10device_ptrIKyEEEESI_EEEEESK_NSA_INS5_IJNSC_16discard_iteratorINSC_11use_defaultEEESN_EEEEEPS7_SQ_SQ_NSC_11hip_rocprim7__merge17predicate_wrapperIyyNSC_4lessIyEEEEEE10hipError_tPvRmT0_T1_T2_T3_T4_T5_mmT6_P12ihipStream_tbEUlT_E_NS1_11comp_targetILNS1_3genE10ELNS1_11target_archE1201ELNS1_3gpuE5ELNS1_3repE0EEENS1_30default_config_static_selectorELNS0_4arch9wavefront6targetE0EEEvS11_: ; @_ZN7rocprim17ROCPRIM_400000_NS6detail17trampoline_kernelINS0_14default_configENS1_21merge_config_selectorINS0_5tupleIJyyEEENS0_10empty_typeEEEZNS1_10merge_implIS3_NS0_12zip_iteratorINS5_IJN6thrust23THRUST_200600_302600_NS6detail15normal_iteratorINSC_10device_ptrIKyEEEESI_EEEEESK_NSA_INS5_IJNSC_16discard_iteratorINSC_11use_defaultEEESN_EEEEEPS7_SQ_SQ_NSC_11hip_rocprim7__merge17predicate_wrapperIyyNSC_4lessIyEEEEEE10hipError_tPvRmT0_T1_T2_T3_T4_T5_mmT6_P12ihipStream_tbEUlT_E_NS1_11comp_targetILNS1_3genE10ELNS1_11target_archE1201ELNS1_3gpuE5ELNS1_3repE0EEENS1_30default_config_static_selectorELNS0_4arch9wavefront6targetE0EEEvS11_
; %bb.0:
	.section	.rodata,"a",@progbits
	.p2align	6, 0x0
	.amdhsa_kernel _ZN7rocprim17ROCPRIM_400000_NS6detail17trampoline_kernelINS0_14default_configENS1_21merge_config_selectorINS0_5tupleIJyyEEENS0_10empty_typeEEEZNS1_10merge_implIS3_NS0_12zip_iteratorINS5_IJN6thrust23THRUST_200600_302600_NS6detail15normal_iteratorINSC_10device_ptrIKyEEEESI_EEEEESK_NSA_INS5_IJNSC_16discard_iteratorINSC_11use_defaultEEESN_EEEEEPS7_SQ_SQ_NSC_11hip_rocprim7__merge17predicate_wrapperIyyNSC_4lessIyEEEEEE10hipError_tPvRmT0_T1_T2_T3_T4_T5_mmT6_P12ihipStream_tbEUlT_E_NS1_11comp_targetILNS1_3genE10ELNS1_11target_archE1201ELNS1_3gpuE5ELNS1_3repE0EEENS1_30default_config_static_selectorELNS0_4arch9wavefront6targetE0EEEvS11_
		.amdhsa_group_segment_fixed_size 0
		.amdhsa_private_segment_fixed_size 0
		.amdhsa_kernarg_size 64
		.amdhsa_user_sgpr_count 6
		.amdhsa_user_sgpr_private_segment_buffer 1
		.amdhsa_user_sgpr_dispatch_ptr 0
		.amdhsa_user_sgpr_queue_ptr 0
		.amdhsa_user_sgpr_kernarg_segment_ptr 1
		.amdhsa_user_sgpr_dispatch_id 0
		.amdhsa_user_sgpr_flat_scratch_init 0
		.amdhsa_user_sgpr_private_segment_size 0
		.amdhsa_wavefront_size32 1
		.amdhsa_uses_dynamic_stack 0
		.amdhsa_system_sgpr_private_segment_wavefront_offset 0
		.amdhsa_system_sgpr_workgroup_id_x 1
		.amdhsa_system_sgpr_workgroup_id_y 0
		.amdhsa_system_sgpr_workgroup_id_z 0
		.amdhsa_system_sgpr_workgroup_info 0
		.amdhsa_system_vgpr_workitem_id 0
		.amdhsa_next_free_vgpr 1
		.amdhsa_next_free_sgpr 1
		.amdhsa_reserve_vcc 0
		.amdhsa_reserve_flat_scratch 0
		.amdhsa_float_round_mode_32 0
		.amdhsa_float_round_mode_16_64 0
		.amdhsa_float_denorm_mode_32 3
		.amdhsa_float_denorm_mode_16_64 3
		.amdhsa_dx10_clamp 1
		.amdhsa_ieee_mode 1
		.amdhsa_fp16_overflow 0
		.amdhsa_workgroup_processor_mode 1
		.amdhsa_memory_ordered 1
		.amdhsa_forward_progress 1
		.amdhsa_shared_vgpr_count 0
		.amdhsa_exception_fp_ieee_invalid_op 0
		.amdhsa_exception_fp_denorm_src 0
		.amdhsa_exception_fp_ieee_div_zero 0
		.amdhsa_exception_fp_ieee_overflow 0
		.amdhsa_exception_fp_ieee_underflow 0
		.amdhsa_exception_fp_ieee_inexact 0
		.amdhsa_exception_int_div_zero 0
	.end_amdhsa_kernel
	.section	.text._ZN7rocprim17ROCPRIM_400000_NS6detail17trampoline_kernelINS0_14default_configENS1_21merge_config_selectorINS0_5tupleIJyyEEENS0_10empty_typeEEEZNS1_10merge_implIS3_NS0_12zip_iteratorINS5_IJN6thrust23THRUST_200600_302600_NS6detail15normal_iteratorINSC_10device_ptrIKyEEEESI_EEEEESK_NSA_INS5_IJNSC_16discard_iteratorINSC_11use_defaultEEESN_EEEEEPS7_SQ_SQ_NSC_11hip_rocprim7__merge17predicate_wrapperIyyNSC_4lessIyEEEEEE10hipError_tPvRmT0_T1_T2_T3_T4_T5_mmT6_P12ihipStream_tbEUlT_E_NS1_11comp_targetILNS1_3genE10ELNS1_11target_archE1201ELNS1_3gpuE5ELNS1_3repE0EEENS1_30default_config_static_selectorELNS0_4arch9wavefront6targetE0EEEvS11_,"axG",@progbits,_ZN7rocprim17ROCPRIM_400000_NS6detail17trampoline_kernelINS0_14default_configENS1_21merge_config_selectorINS0_5tupleIJyyEEENS0_10empty_typeEEEZNS1_10merge_implIS3_NS0_12zip_iteratorINS5_IJN6thrust23THRUST_200600_302600_NS6detail15normal_iteratorINSC_10device_ptrIKyEEEESI_EEEEESK_NSA_INS5_IJNSC_16discard_iteratorINSC_11use_defaultEEESN_EEEEEPS7_SQ_SQ_NSC_11hip_rocprim7__merge17predicate_wrapperIyyNSC_4lessIyEEEEEE10hipError_tPvRmT0_T1_T2_T3_T4_T5_mmT6_P12ihipStream_tbEUlT_E_NS1_11comp_targetILNS1_3genE10ELNS1_11target_archE1201ELNS1_3gpuE5ELNS1_3repE0EEENS1_30default_config_static_selectorELNS0_4arch9wavefront6targetE0EEEvS11_,comdat
.Lfunc_end520:
	.size	_ZN7rocprim17ROCPRIM_400000_NS6detail17trampoline_kernelINS0_14default_configENS1_21merge_config_selectorINS0_5tupleIJyyEEENS0_10empty_typeEEEZNS1_10merge_implIS3_NS0_12zip_iteratorINS5_IJN6thrust23THRUST_200600_302600_NS6detail15normal_iteratorINSC_10device_ptrIKyEEEESI_EEEEESK_NSA_INS5_IJNSC_16discard_iteratorINSC_11use_defaultEEESN_EEEEEPS7_SQ_SQ_NSC_11hip_rocprim7__merge17predicate_wrapperIyyNSC_4lessIyEEEEEE10hipError_tPvRmT0_T1_T2_T3_T4_T5_mmT6_P12ihipStream_tbEUlT_E_NS1_11comp_targetILNS1_3genE10ELNS1_11target_archE1201ELNS1_3gpuE5ELNS1_3repE0EEENS1_30default_config_static_selectorELNS0_4arch9wavefront6targetE0EEEvS11_, .Lfunc_end520-_ZN7rocprim17ROCPRIM_400000_NS6detail17trampoline_kernelINS0_14default_configENS1_21merge_config_selectorINS0_5tupleIJyyEEENS0_10empty_typeEEEZNS1_10merge_implIS3_NS0_12zip_iteratorINS5_IJN6thrust23THRUST_200600_302600_NS6detail15normal_iteratorINSC_10device_ptrIKyEEEESI_EEEEESK_NSA_INS5_IJNSC_16discard_iteratorINSC_11use_defaultEEESN_EEEEEPS7_SQ_SQ_NSC_11hip_rocprim7__merge17predicate_wrapperIyyNSC_4lessIyEEEEEE10hipError_tPvRmT0_T1_T2_T3_T4_T5_mmT6_P12ihipStream_tbEUlT_E_NS1_11comp_targetILNS1_3genE10ELNS1_11target_archE1201ELNS1_3gpuE5ELNS1_3repE0EEENS1_30default_config_static_selectorELNS0_4arch9wavefront6targetE0EEEvS11_
                                        ; -- End function
	.set _ZN7rocprim17ROCPRIM_400000_NS6detail17trampoline_kernelINS0_14default_configENS1_21merge_config_selectorINS0_5tupleIJyyEEENS0_10empty_typeEEEZNS1_10merge_implIS3_NS0_12zip_iteratorINS5_IJN6thrust23THRUST_200600_302600_NS6detail15normal_iteratorINSC_10device_ptrIKyEEEESI_EEEEESK_NSA_INS5_IJNSC_16discard_iteratorINSC_11use_defaultEEESN_EEEEEPS7_SQ_SQ_NSC_11hip_rocprim7__merge17predicate_wrapperIyyNSC_4lessIyEEEEEE10hipError_tPvRmT0_T1_T2_T3_T4_T5_mmT6_P12ihipStream_tbEUlT_E_NS1_11comp_targetILNS1_3genE10ELNS1_11target_archE1201ELNS1_3gpuE5ELNS1_3repE0EEENS1_30default_config_static_selectorELNS0_4arch9wavefront6targetE0EEEvS11_.num_vgpr, 0
	.set _ZN7rocprim17ROCPRIM_400000_NS6detail17trampoline_kernelINS0_14default_configENS1_21merge_config_selectorINS0_5tupleIJyyEEENS0_10empty_typeEEEZNS1_10merge_implIS3_NS0_12zip_iteratorINS5_IJN6thrust23THRUST_200600_302600_NS6detail15normal_iteratorINSC_10device_ptrIKyEEEESI_EEEEESK_NSA_INS5_IJNSC_16discard_iteratorINSC_11use_defaultEEESN_EEEEEPS7_SQ_SQ_NSC_11hip_rocprim7__merge17predicate_wrapperIyyNSC_4lessIyEEEEEE10hipError_tPvRmT0_T1_T2_T3_T4_T5_mmT6_P12ihipStream_tbEUlT_E_NS1_11comp_targetILNS1_3genE10ELNS1_11target_archE1201ELNS1_3gpuE5ELNS1_3repE0EEENS1_30default_config_static_selectorELNS0_4arch9wavefront6targetE0EEEvS11_.num_agpr, 0
	.set _ZN7rocprim17ROCPRIM_400000_NS6detail17trampoline_kernelINS0_14default_configENS1_21merge_config_selectorINS0_5tupleIJyyEEENS0_10empty_typeEEEZNS1_10merge_implIS3_NS0_12zip_iteratorINS5_IJN6thrust23THRUST_200600_302600_NS6detail15normal_iteratorINSC_10device_ptrIKyEEEESI_EEEEESK_NSA_INS5_IJNSC_16discard_iteratorINSC_11use_defaultEEESN_EEEEEPS7_SQ_SQ_NSC_11hip_rocprim7__merge17predicate_wrapperIyyNSC_4lessIyEEEEEE10hipError_tPvRmT0_T1_T2_T3_T4_T5_mmT6_P12ihipStream_tbEUlT_E_NS1_11comp_targetILNS1_3genE10ELNS1_11target_archE1201ELNS1_3gpuE5ELNS1_3repE0EEENS1_30default_config_static_selectorELNS0_4arch9wavefront6targetE0EEEvS11_.numbered_sgpr, 0
	.set _ZN7rocprim17ROCPRIM_400000_NS6detail17trampoline_kernelINS0_14default_configENS1_21merge_config_selectorINS0_5tupleIJyyEEENS0_10empty_typeEEEZNS1_10merge_implIS3_NS0_12zip_iteratorINS5_IJN6thrust23THRUST_200600_302600_NS6detail15normal_iteratorINSC_10device_ptrIKyEEEESI_EEEEESK_NSA_INS5_IJNSC_16discard_iteratorINSC_11use_defaultEEESN_EEEEEPS7_SQ_SQ_NSC_11hip_rocprim7__merge17predicate_wrapperIyyNSC_4lessIyEEEEEE10hipError_tPvRmT0_T1_T2_T3_T4_T5_mmT6_P12ihipStream_tbEUlT_E_NS1_11comp_targetILNS1_3genE10ELNS1_11target_archE1201ELNS1_3gpuE5ELNS1_3repE0EEENS1_30default_config_static_selectorELNS0_4arch9wavefront6targetE0EEEvS11_.num_named_barrier, 0
	.set _ZN7rocprim17ROCPRIM_400000_NS6detail17trampoline_kernelINS0_14default_configENS1_21merge_config_selectorINS0_5tupleIJyyEEENS0_10empty_typeEEEZNS1_10merge_implIS3_NS0_12zip_iteratorINS5_IJN6thrust23THRUST_200600_302600_NS6detail15normal_iteratorINSC_10device_ptrIKyEEEESI_EEEEESK_NSA_INS5_IJNSC_16discard_iteratorINSC_11use_defaultEEESN_EEEEEPS7_SQ_SQ_NSC_11hip_rocprim7__merge17predicate_wrapperIyyNSC_4lessIyEEEEEE10hipError_tPvRmT0_T1_T2_T3_T4_T5_mmT6_P12ihipStream_tbEUlT_E_NS1_11comp_targetILNS1_3genE10ELNS1_11target_archE1201ELNS1_3gpuE5ELNS1_3repE0EEENS1_30default_config_static_selectorELNS0_4arch9wavefront6targetE0EEEvS11_.private_seg_size, 0
	.set _ZN7rocprim17ROCPRIM_400000_NS6detail17trampoline_kernelINS0_14default_configENS1_21merge_config_selectorINS0_5tupleIJyyEEENS0_10empty_typeEEEZNS1_10merge_implIS3_NS0_12zip_iteratorINS5_IJN6thrust23THRUST_200600_302600_NS6detail15normal_iteratorINSC_10device_ptrIKyEEEESI_EEEEESK_NSA_INS5_IJNSC_16discard_iteratorINSC_11use_defaultEEESN_EEEEEPS7_SQ_SQ_NSC_11hip_rocprim7__merge17predicate_wrapperIyyNSC_4lessIyEEEEEE10hipError_tPvRmT0_T1_T2_T3_T4_T5_mmT6_P12ihipStream_tbEUlT_E_NS1_11comp_targetILNS1_3genE10ELNS1_11target_archE1201ELNS1_3gpuE5ELNS1_3repE0EEENS1_30default_config_static_selectorELNS0_4arch9wavefront6targetE0EEEvS11_.uses_vcc, 0
	.set _ZN7rocprim17ROCPRIM_400000_NS6detail17trampoline_kernelINS0_14default_configENS1_21merge_config_selectorINS0_5tupleIJyyEEENS0_10empty_typeEEEZNS1_10merge_implIS3_NS0_12zip_iteratorINS5_IJN6thrust23THRUST_200600_302600_NS6detail15normal_iteratorINSC_10device_ptrIKyEEEESI_EEEEESK_NSA_INS5_IJNSC_16discard_iteratorINSC_11use_defaultEEESN_EEEEEPS7_SQ_SQ_NSC_11hip_rocprim7__merge17predicate_wrapperIyyNSC_4lessIyEEEEEE10hipError_tPvRmT0_T1_T2_T3_T4_T5_mmT6_P12ihipStream_tbEUlT_E_NS1_11comp_targetILNS1_3genE10ELNS1_11target_archE1201ELNS1_3gpuE5ELNS1_3repE0EEENS1_30default_config_static_selectorELNS0_4arch9wavefront6targetE0EEEvS11_.uses_flat_scratch, 0
	.set _ZN7rocprim17ROCPRIM_400000_NS6detail17trampoline_kernelINS0_14default_configENS1_21merge_config_selectorINS0_5tupleIJyyEEENS0_10empty_typeEEEZNS1_10merge_implIS3_NS0_12zip_iteratorINS5_IJN6thrust23THRUST_200600_302600_NS6detail15normal_iteratorINSC_10device_ptrIKyEEEESI_EEEEESK_NSA_INS5_IJNSC_16discard_iteratorINSC_11use_defaultEEESN_EEEEEPS7_SQ_SQ_NSC_11hip_rocprim7__merge17predicate_wrapperIyyNSC_4lessIyEEEEEE10hipError_tPvRmT0_T1_T2_T3_T4_T5_mmT6_P12ihipStream_tbEUlT_E_NS1_11comp_targetILNS1_3genE10ELNS1_11target_archE1201ELNS1_3gpuE5ELNS1_3repE0EEENS1_30default_config_static_selectorELNS0_4arch9wavefront6targetE0EEEvS11_.has_dyn_sized_stack, 0
	.set _ZN7rocprim17ROCPRIM_400000_NS6detail17trampoline_kernelINS0_14default_configENS1_21merge_config_selectorINS0_5tupleIJyyEEENS0_10empty_typeEEEZNS1_10merge_implIS3_NS0_12zip_iteratorINS5_IJN6thrust23THRUST_200600_302600_NS6detail15normal_iteratorINSC_10device_ptrIKyEEEESI_EEEEESK_NSA_INS5_IJNSC_16discard_iteratorINSC_11use_defaultEEESN_EEEEEPS7_SQ_SQ_NSC_11hip_rocprim7__merge17predicate_wrapperIyyNSC_4lessIyEEEEEE10hipError_tPvRmT0_T1_T2_T3_T4_T5_mmT6_P12ihipStream_tbEUlT_E_NS1_11comp_targetILNS1_3genE10ELNS1_11target_archE1201ELNS1_3gpuE5ELNS1_3repE0EEENS1_30default_config_static_selectorELNS0_4arch9wavefront6targetE0EEEvS11_.has_recursion, 0
	.set _ZN7rocprim17ROCPRIM_400000_NS6detail17trampoline_kernelINS0_14default_configENS1_21merge_config_selectorINS0_5tupleIJyyEEENS0_10empty_typeEEEZNS1_10merge_implIS3_NS0_12zip_iteratorINS5_IJN6thrust23THRUST_200600_302600_NS6detail15normal_iteratorINSC_10device_ptrIKyEEEESI_EEEEESK_NSA_INS5_IJNSC_16discard_iteratorINSC_11use_defaultEEESN_EEEEEPS7_SQ_SQ_NSC_11hip_rocprim7__merge17predicate_wrapperIyyNSC_4lessIyEEEEEE10hipError_tPvRmT0_T1_T2_T3_T4_T5_mmT6_P12ihipStream_tbEUlT_E_NS1_11comp_targetILNS1_3genE10ELNS1_11target_archE1201ELNS1_3gpuE5ELNS1_3repE0EEENS1_30default_config_static_selectorELNS0_4arch9wavefront6targetE0EEEvS11_.has_indirect_call, 0
	.section	.AMDGPU.csdata,"",@progbits
; Kernel info:
; codeLenInByte = 0
; TotalNumSgprs: 0
; NumVgprs: 0
; ScratchSize: 0
; MemoryBound: 0
; FloatMode: 240
; IeeeMode: 1
; LDSByteSize: 0 bytes/workgroup (compile time only)
; SGPRBlocks: 0
; VGPRBlocks: 0
; NumSGPRsForWavesPerEU: 1
; NumVGPRsForWavesPerEU: 1
; Occupancy: 16
; WaveLimiterHint : 0
; COMPUTE_PGM_RSRC2:SCRATCH_EN: 0
; COMPUTE_PGM_RSRC2:USER_SGPR: 6
; COMPUTE_PGM_RSRC2:TRAP_HANDLER: 0
; COMPUTE_PGM_RSRC2:TGID_X_EN: 1
; COMPUTE_PGM_RSRC2:TGID_Y_EN: 0
; COMPUTE_PGM_RSRC2:TGID_Z_EN: 0
; COMPUTE_PGM_RSRC2:TIDIG_COMP_CNT: 0
	.section	.text._ZN7rocprim17ROCPRIM_400000_NS6detail17trampoline_kernelINS0_14default_configENS1_21merge_config_selectorINS0_5tupleIJyyEEENS0_10empty_typeEEEZNS1_10merge_implIS3_NS0_12zip_iteratorINS5_IJN6thrust23THRUST_200600_302600_NS6detail15normal_iteratorINSC_10device_ptrIKyEEEESI_EEEEESK_NSA_INS5_IJNSC_16discard_iteratorINSC_11use_defaultEEESN_EEEEEPS7_SQ_SQ_NSC_11hip_rocprim7__merge17predicate_wrapperIyyNSC_4lessIyEEEEEE10hipError_tPvRmT0_T1_T2_T3_T4_T5_mmT6_P12ihipStream_tbEUlT_E_NS1_11comp_targetILNS1_3genE10ELNS1_11target_archE1200ELNS1_3gpuE4ELNS1_3repE0EEENS1_30default_config_static_selectorELNS0_4arch9wavefront6targetE0EEEvS11_,"axG",@progbits,_ZN7rocprim17ROCPRIM_400000_NS6detail17trampoline_kernelINS0_14default_configENS1_21merge_config_selectorINS0_5tupleIJyyEEENS0_10empty_typeEEEZNS1_10merge_implIS3_NS0_12zip_iteratorINS5_IJN6thrust23THRUST_200600_302600_NS6detail15normal_iteratorINSC_10device_ptrIKyEEEESI_EEEEESK_NSA_INS5_IJNSC_16discard_iteratorINSC_11use_defaultEEESN_EEEEEPS7_SQ_SQ_NSC_11hip_rocprim7__merge17predicate_wrapperIyyNSC_4lessIyEEEEEE10hipError_tPvRmT0_T1_T2_T3_T4_T5_mmT6_P12ihipStream_tbEUlT_E_NS1_11comp_targetILNS1_3genE10ELNS1_11target_archE1200ELNS1_3gpuE4ELNS1_3repE0EEENS1_30default_config_static_selectorELNS0_4arch9wavefront6targetE0EEEvS11_,comdat
	.protected	_ZN7rocprim17ROCPRIM_400000_NS6detail17trampoline_kernelINS0_14default_configENS1_21merge_config_selectorINS0_5tupleIJyyEEENS0_10empty_typeEEEZNS1_10merge_implIS3_NS0_12zip_iteratorINS5_IJN6thrust23THRUST_200600_302600_NS6detail15normal_iteratorINSC_10device_ptrIKyEEEESI_EEEEESK_NSA_INS5_IJNSC_16discard_iteratorINSC_11use_defaultEEESN_EEEEEPS7_SQ_SQ_NSC_11hip_rocprim7__merge17predicate_wrapperIyyNSC_4lessIyEEEEEE10hipError_tPvRmT0_T1_T2_T3_T4_T5_mmT6_P12ihipStream_tbEUlT_E_NS1_11comp_targetILNS1_3genE10ELNS1_11target_archE1200ELNS1_3gpuE4ELNS1_3repE0EEENS1_30default_config_static_selectorELNS0_4arch9wavefront6targetE0EEEvS11_ ; -- Begin function _ZN7rocprim17ROCPRIM_400000_NS6detail17trampoline_kernelINS0_14default_configENS1_21merge_config_selectorINS0_5tupleIJyyEEENS0_10empty_typeEEEZNS1_10merge_implIS3_NS0_12zip_iteratorINS5_IJN6thrust23THRUST_200600_302600_NS6detail15normal_iteratorINSC_10device_ptrIKyEEEESI_EEEEESK_NSA_INS5_IJNSC_16discard_iteratorINSC_11use_defaultEEESN_EEEEEPS7_SQ_SQ_NSC_11hip_rocprim7__merge17predicate_wrapperIyyNSC_4lessIyEEEEEE10hipError_tPvRmT0_T1_T2_T3_T4_T5_mmT6_P12ihipStream_tbEUlT_E_NS1_11comp_targetILNS1_3genE10ELNS1_11target_archE1200ELNS1_3gpuE4ELNS1_3repE0EEENS1_30default_config_static_selectorELNS0_4arch9wavefront6targetE0EEEvS11_
	.globl	_ZN7rocprim17ROCPRIM_400000_NS6detail17trampoline_kernelINS0_14default_configENS1_21merge_config_selectorINS0_5tupleIJyyEEENS0_10empty_typeEEEZNS1_10merge_implIS3_NS0_12zip_iteratorINS5_IJN6thrust23THRUST_200600_302600_NS6detail15normal_iteratorINSC_10device_ptrIKyEEEESI_EEEEESK_NSA_INS5_IJNSC_16discard_iteratorINSC_11use_defaultEEESN_EEEEEPS7_SQ_SQ_NSC_11hip_rocprim7__merge17predicate_wrapperIyyNSC_4lessIyEEEEEE10hipError_tPvRmT0_T1_T2_T3_T4_T5_mmT6_P12ihipStream_tbEUlT_E_NS1_11comp_targetILNS1_3genE10ELNS1_11target_archE1200ELNS1_3gpuE4ELNS1_3repE0EEENS1_30default_config_static_selectorELNS0_4arch9wavefront6targetE0EEEvS11_
	.p2align	8
	.type	_ZN7rocprim17ROCPRIM_400000_NS6detail17trampoline_kernelINS0_14default_configENS1_21merge_config_selectorINS0_5tupleIJyyEEENS0_10empty_typeEEEZNS1_10merge_implIS3_NS0_12zip_iteratorINS5_IJN6thrust23THRUST_200600_302600_NS6detail15normal_iteratorINSC_10device_ptrIKyEEEESI_EEEEESK_NSA_INS5_IJNSC_16discard_iteratorINSC_11use_defaultEEESN_EEEEEPS7_SQ_SQ_NSC_11hip_rocprim7__merge17predicate_wrapperIyyNSC_4lessIyEEEEEE10hipError_tPvRmT0_T1_T2_T3_T4_T5_mmT6_P12ihipStream_tbEUlT_E_NS1_11comp_targetILNS1_3genE10ELNS1_11target_archE1200ELNS1_3gpuE4ELNS1_3repE0EEENS1_30default_config_static_selectorELNS0_4arch9wavefront6targetE0EEEvS11_,@function
_ZN7rocprim17ROCPRIM_400000_NS6detail17trampoline_kernelINS0_14default_configENS1_21merge_config_selectorINS0_5tupleIJyyEEENS0_10empty_typeEEEZNS1_10merge_implIS3_NS0_12zip_iteratorINS5_IJN6thrust23THRUST_200600_302600_NS6detail15normal_iteratorINSC_10device_ptrIKyEEEESI_EEEEESK_NSA_INS5_IJNSC_16discard_iteratorINSC_11use_defaultEEESN_EEEEEPS7_SQ_SQ_NSC_11hip_rocprim7__merge17predicate_wrapperIyyNSC_4lessIyEEEEEE10hipError_tPvRmT0_T1_T2_T3_T4_T5_mmT6_P12ihipStream_tbEUlT_E_NS1_11comp_targetILNS1_3genE10ELNS1_11target_archE1200ELNS1_3gpuE4ELNS1_3repE0EEENS1_30default_config_static_selectorELNS0_4arch9wavefront6targetE0EEEvS11_: ; @_ZN7rocprim17ROCPRIM_400000_NS6detail17trampoline_kernelINS0_14default_configENS1_21merge_config_selectorINS0_5tupleIJyyEEENS0_10empty_typeEEEZNS1_10merge_implIS3_NS0_12zip_iteratorINS5_IJN6thrust23THRUST_200600_302600_NS6detail15normal_iteratorINSC_10device_ptrIKyEEEESI_EEEEESK_NSA_INS5_IJNSC_16discard_iteratorINSC_11use_defaultEEESN_EEEEEPS7_SQ_SQ_NSC_11hip_rocprim7__merge17predicate_wrapperIyyNSC_4lessIyEEEEEE10hipError_tPvRmT0_T1_T2_T3_T4_T5_mmT6_P12ihipStream_tbEUlT_E_NS1_11comp_targetILNS1_3genE10ELNS1_11target_archE1200ELNS1_3gpuE4ELNS1_3repE0EEENS1_30default_config_static_selectorELNS0_4arch9wavefront6targetE0EEEvS11_
; %bb.0:
	.section	.rodata,"a",@progbits
	.p2align	6, 0x0
	.amdhsa_kernel _ZN7rocprim17ROCPRIM_400000_NS6detail17trampoline_kernelINS0_14default_configENS1_21merge_config_selectorINS0_5tupleIJyyEEENS0_10empty_typeEEEZNS1_10merge_implIS3_NS0_12zip_iteratorINS5_IJN6thrust23THRUST_200600_302600_NS6detail15normal_iteratorINSC_10device_ptrIKyEEEESI_EEEEESK_NSA_INS5_IJNSC_16discard_iteratorINSC_11use_defaultEEESN_EEEEEPS7_SQ_SQ_NSC_11hip_rocprim7__merge17predicate_wrapperIyyNSC_4lessIyEEEEEE10hipError_tPvRmT0_T1_T2_T3_T4_T5_mmT6_P12ihipStream_tbEUlT_E_NS1_11comp_targetILNS1_3genE10ELNS1_11target_archE1200ELNS1_3gpuE4ELNS1_3repE0EEENS1_30default_config_static_selectorELNS0_4arch9wavefront6targetE0EEEvS11_
		.amdhsa_group_segment_fixed_size 0
		.amdhsa_private_segment_fixed_size 0
		.amdhsa_kernarg_size 64
		.amdhsa_user_sgpr_count 6
		.amdhsa_user_sgpr_private_segment_buffer 1
		.amdhsa_user_sgpr_dispatch_ptr 0
		.amdhsa_user_sgpr_queue_ptr 0
		.amdhsa_user_sgpr_kernarg_segment_ptr 1
		.amdhsa_user_sgpr_dispatch_id 0
		.amdhsa_user_sgpr_flat_scratch_init 0
		.amdhsa_user_sgpr_private_segment_size 0
		.amdhsa_wavefront_size32 1
		.amdhsa_uses_dynamic_stack 0
		.amdhsa_system_sgpr_private_segment_wavefront_offset 0
		.amdhsa_system_sgpr_workgroup_id_x 1
		.amdhsa_system_sgpr_workgroup_id_y 0
		.amdhsa_system_sgpr_workgroup_id_z 0
		.amdhsa_system_sgpr_workgroup_info 0
		.amdhsa_system_vgpr_workitem_id 0
		.amdhsa_next_free_vgpr 1
		.amdhsa_next_free_sgpr 1
		.amdhsa_reserve_vcc 0
		.amdhsa_reserve_flat_scratch 0
		.amdhsa_float_round_mode_32 0
		.amdhsa_float_round_mode_16_64 0
		.amdhsa_float_denorm_mode_32 3
		.amdhsa_float_denorm_mode_16_64 3
		.amdhsa_dx10_clamp 1
		.amdhsa_ieee_mode 1
		.amdhsa_fp16_overflow 0
		.amdhsa_workgroup_processor_mode 1
		.amdhsa_memory_ordered 1
		.amdhsa_forward_progress 1
		.amdhsa_shared_vgpr_count 0
		.amdhsa_exception_fp_ieee_invalid_op 0
		.amdhsa_exception_fp_denorm_src 0
		.amdhsa_exception_fp_ieee_div_zero 0
		.amdhsa_exception_fp_ieee_overflow 0
		.amdhsa_exception_fp_ieee_underflow 0
		.amdhsa_exception_fp_ieee_inexact 0
		.amdhsa_exception_int_div_zero 0
	.end_amdhsa_kernel
	.section	.text._ZN7rocprim17ROCPRIM_400000_NS6detail17trampoline_kernelINS0_14default_configENS1_21merge_config_selectorINS0_5tupleIJyyEEENS0_10empty_typeEEEZNS1_10merge_implIS3_NS0_12zip_iteratorINS5_IJN6thrust23THRUST_200600_302600_NS6detail15normal_iteratorINSC_10device_ptrIKyEEEESI_EEEEESK_NSA_INS5_IJNSC_16discard_iteratorINSC_11use_defaultEEESN_EEEEEPS7_SQ_SQ_NSC_11hip_rocprim7__merge17predicate_wrapperIyyNSC_4lessIyEEEEEE10hipError_tPvRmT0_T1_T2_T3_T4_T5_mmT6_P12ihipStream_tbEUlT_E_NS1_11comp_targetILNS1_3genE10ELNS1_11target_archE1200ELNS1_3gpuE4ELNS1_3repE0EEENS1_30default_config_static_selectorELNS0_4arch9wavefront6targetE0EEEvS11_,"axG",@progbits,_ZN7rocprim17ROCPRIM_400000_NS6detail17trampoline_kernelINS0_14default_configENS1_21merge_config_selectorINS0_5tupleIJyyEEENS0_10empty_typeEEEZNS1_10merge_implIS3_NS0_12zip_iteratorINS5_IJN6thrust23THRUST_200600_302600_NS6detail15normal_iteratorINSC_10device_ptrIKyEEEESI_EEEEESK_NSA_INS5_IJNSC_16discard_iteratorINSC_11use_defaultEEESN_EEEEEPS7_SQ_SQ_NSC_11hip_rocprim7__merge17predicate_wrapperIyyNSC_4lessIyEEEEEE10hipError_tPvRmT0_T1_T2_T3_T4_T5_mmT6_P12ihipStream_tbEUlT_E_NS1_11comp_targetILNS1_3genE10ELNS1_11target_archE1200ELNS1_3gpuE4ELNS1_3repE0EEENS1_30default_config_static_selectorELNS0_4arch9wavefront6targetE0EEEvS11_,comdat
.Lfunc_end521:
	.size	_ZN7rocprim17ROCPRIM_400000_NS6detail17trampoline_kernelINS0_14default_configENS1_21merge_config_selectorINS0_5tupleIJyyEEENS0_10empty_typeEEEZNS1_10merge_implIS3_NS0_12zip_iteratorINS5_IJN6thrust23THRUST_200600_302600_NS6detail15normal_iteratorINSC_10device_ptrIKyEEEESI_EEEEESK_NSA_INS5_IJNSC_16discard_iteratorINSC_11use_defaultEEESN_EEEEEPS7_SQ_SQ_NSC_11hip_rocprim7__merge17predicate_wrapperIyyNSC_4lessIyEEEEEE10hipError_tPvRmT0_T1_T2_T3_T4_T5_mmT6_P12ihipStream_tbEUlT_E_NS1_11comp_targetILNS1_3genE10ELNS1_11target_archE1200ELNS1_3gpuE4ELNS1_3repE0EEENS1_30default_config_static_selectorELNS0_4arch9wavefront6targetE0EEEvS11_, .Lfunc_end521-_ZN7rocprim17ROCPRIM_400000_NS6detail17trampoline_kernelINS0_14default_configENS1_21merge_config_selectorINS0_5tupleIJyyEEENS0_10empty_typeEEEZNS1_10merge_implIS3_NS0_12zip_iteratorINS5_IJN6thrust23THRUST_200600_302600_NS6detail15normal_iteratorINSC_10device_ptrIKyEEEESI_EEEEESK_NSA_INS5_IJNSC_16discard_iteratorINSC_11use_defaultEEESN_EEEEEPS7_SQ_SQ_NSC_11hip_rocprim7__merge17predicate_wrapperIyyNSC_4lessIyEEEEEE10hipError_tPvRmT0_T1_T2_T3_T4_T5_mmT6_P12ihipStream_tbEUlT_E_NS1_11comp_targetILNS1_3genE10ELNS1_11target_archE1200ELNS1_3gpuE4ELNS1_3repE0EEENS1_30default_config_static_selectorELNS0_4arch9wavefront6targetE0EEEvS11_
                                        ; -- End function
	.set _ZN7rocprim17ROCPRIM_400000_NS6detail17trampoline_kernelINS0_14default_configENS1_21merge_config_selectorINS0_5tupleIJyyEEENS0_10empty_typeEEEZNS1_10merge_implIS3_NS0_12zip_iteratorINS5_IJN6thrust23THRUST_200600_302600_NS6detail15normal_iteratorINSC_10device_ptrIKyEEEESI_EEEEESK_NSA_INS5_IJNSC_16discard_iteratorINSC_11use_defaultEEESN_EEEEEPS7_SQ_SQ_NSC_11hip_rocprim7__merge17predicate_wrapperIyyNSC_4lessIyEEEEEE10hipError_tPvRmT0_T1_T2_T3_T4_T5_mmT6_P12ihipStream_tbEUlT_E_NS1_11comp_targetILNS1_3genE10ELNS1_11target_archE1200ELNS1_3gpuE4ELNS1_3repE0EEENS1_30default_config_static_selectorELNS0_4arch9wavefront6targetE0EEEvS11_.num_vgpr, 0
	.set _ZN7rocprim17ROCPRIM_400000_NS6detail17trampoline_kernelINS0_14default_configENS1_21merge_config_selectorINS0_5tupleIJyyEEENS0_10empty_typeEEEZNS1_10merge_implIS3_NS0_12zip_iteratorINS5_IJN6thrust23THRUST_200600_302600_NS6detail15normal_iteratorINSC_10device_ptrIKyEEEESI_EEEEESK_NSA_INS5_IJNSC_16discard_iteratorINSC_11use_defaultEEESN_EEEEEPS7_SQ_SQ_NSC_11hip_rocprim7__merge17predicate_wrapperIyyNSC_4lessIyEEEEEE10hipError_tPvRmT0_T1_T2_T3_T4_T5_mmT6_P12ihipStream_tbEUlT_E_NS1_11comp_targetILNS1_3genE10ELNS1_11target_archE1200ELNS1_3gpuE4ELNS1_3repE0EEENS1_30default_config_static_selectorELNS0_4arch9wavefront6targetE0EEEvS11_.num_agpr, 0
	.set _ZN7rocprim17ROCPRIM_400000_NS6detail17trampoline_kernelINS0_14default_configENS1_21merge_config_selectorINS0_5tupleIJyyEEENS0_10empty_typeEEEZNS1_10merge_implIS3_NS0_12zip_iteratorINS5_IJN6thrust23THRUST_200600_302600_NS6detail15normal_iteratorINSC_10device_ptrIKyEEEESI_EEEEESK_NSA_INS5_IJNSC_16discard_iteratorINSC_11use_defaultEEESN_EEEEEPS7_SQ_SQ_NSC_11hip_rocprim7__merge17predicate_wrapperIyyNSC_4lessIyEEEEEE10hipError_tPvRmT0_T1_T2_T3_T4_T5_mmT6_P12ihipStream_tbEUlT_E_NS1_11comp_targetILNS1_3genE10ELNS1_11target_archE1200ELNS1_3gpuE4ELNS1_3repE0EEENS1_30default_config_static_selectorELNS0_4arch9wavefront6targetE0EEEvS11_.numbered_sgpr, 0
	.set _ZN7rocprim17ROCPRIM_400000_NS6detail17trampoline_kernelINS0_14default_configENS1_21merge_config_selectorINS0_5tupleIJyyEEENS0_10empty_typeEEEZNS1_10merge_implIS3_NS0_12zip_iteratorINS5_IJN6thrust23THRUST_200600_302600_NS6detail15normal_iteratorINSC_10device_ptrIKyEEEESI_EEEEESK_NSA_INS5_IJNSC_16discard_iteratorINSC_11use_defaultEEESN_EEEEEPS7_SQ_SQ_NSC_11hip_rocprim7__merge17predicate_wrapperIyyNSC_4lessIyEEEEEE10hipError_tPvRmT0_T1_T2_T3_T4_T5_mmT6_P12ihipStream_tbEUlT_E_NS1_11comp_targetILNS1_3genE10ELNS1_11target_archE1200ELNS1_3gpuE4ELNS1_3repE0EEENS1_30default_config_static_selectorELNS0_4arch9wavefront6targetE0EEEvS11_.num_named_barrier, 0
	.set _ZN7rocprim17ROCPRIM_400000_NS6detail17trampoline_kernelINS0_14default_configENS1_21merge_config_selectorINS0_5tupleIJyyEEENS0_10empty_typeEEEZNS1_10merge_implIS3_NS0_12zip_iteratorINS5_IJN6thrust23THRUST_200600_302600_NS6detail15normal_iteratorINSC_10device_ptrIKyEEEESI_EEEEESK_NSA_INS5_IJNSC_16discard_iteratorINSC_11use_defaultEEESN_EEEEEPS7_SQ_SQ_NSC_11hip_rocprim7__merge17predicate_wrapperIyyNSC_4lessIyEEEEEE10hipError_tPvRmT0_T1_T2_T3_T4_T5_mmT6_P12ihipStream_tbEUlT_E_NS1_11comp_targetILNS1_3genE10ELNS1_11target_archE1200ELNS1_3gpuE4ELNS1_3repE0EEENS1_30default_config_static_selectorELNS0_4arch9wavefront6targetE0EEEvS11_.private_seg_size, 0
	.set _ZN7rocprim17ROCPRIM_400000_NS6detail17trampoline_kernelINS0_14default_configENS1_21merge_config_selectorINS0_5tupleIJyyEEENS0_10empty_typeEEEZNS1_10merge_implIS3_NS0_12zip_iteratorINS5_IJN6thrust23THRUST_200600_302600_NS6detail15normal_iteratorINSC_10device_ptrIKyEEEESI_EEEEESK_NSA_INS5_IJNSC_16discard_iteratorINSC_11use_defaultEEESN_EEEEEPS7_SQ_SQ_NSC_11hip_rocprim7__merge17predicate_wrapperIyyNSC_4lessIyEEEEEE10hipError_tPvRmT0_T1_T2_T3_T4_T5_mmT6_P12ihipStream_tbEUlT_E_NS1_11comp_targetILNS1_3genE10ELNS1_11target_archE1200ELNS1_3gpuE4ELNS1_3repE0EEENS1_30default_config_static_selectorELNS0_4arch9wavefront6targetE0EEEvS11_.uses_vcc, 0
	.set _ZN7rocprim17ROCPRIM_400000_NS6detail17trampoline_kernelINS0_14default_configENS1_21merge_config_selectorINS0_5tupleIJyyEEENS0_10empty_typeEEEZNS1_10merge_implIS3_NS0_12zip_iteratorINS5_IJN6thrust23THRUST_200600_302600_NS6detail15normal_iteratorINSC_10device_ptrIKyEEEESI_EEEEESK_NSA_INS5_IJNSC_16discard_iteratorINSC_11use_defaultEEESN_EEEEEPS7_SQ_SQ_NSC_11hip_rocprim7__merge17predicate_wrapperIyyNSC_4lessIyEEEEEE10hipError_tPvRmT0_T1_T2_T3_T4_T5_mmT6_P12ihipStream_tbEUlT_E_NS1_11comp_targetILNS1_3genE10ELNS1_11target_archE1200ELNS1_3gpuE4ELNS1_3repE0EEENS1_30default_config_static_selectorELNS0_4arch9wavefront6targetE0EEEvS11_.uses_flat_scratch, 0
	.set _ZN7rocprim17ROCPRIM_400000_NS6detail17trampoline_kernelINS0_14default_configENS1_21merge_config_selectorINS0_5tupleIJyyEEENS0_10empty_typeEEEZNS1_10merge_implIS3_NS0_12zip_iteratorINS5_IJN6thrust23THRUST_200600_302600_NS6detail15normal_iteratorINSC_10device_ptrIKyEEEESI_EEEEESK_NSA_INS5_IJNSC_16discard_iteratorINSC_11use_defaultEEESN_EEEEEPS7_SQ_SQ_NSC_11hip_rocprim7__merge17predicate_wrapperIyyNSC_4lessIyEEEEEE10hipError_tPvRmT0_T1_T2_T3_T4_T5_mmT6_P12ihipStream_tbEUlT_E_NS1_11comp_targetILNS1_3genE10ELNS1_11target_archE1200ELNS1_3gpuE4ELNS1_3repE0EEENS1_30default_config_static_selectorELNS0_4arch9wavefront6targetE0EEEvS11_.has_dyn_sized_stack, 0
	.set _ZN7rocprim17ROCPRIM_400000_NS6detail17trampoline_kernelINS0_14default_configENS1_21merge_config_selectorINS0_5tupleIJyyEEENS0_10empty_typeEEEZNS1_10merge_implIS3_NS0_12zip_iteratorINS5_IJN6thrust23THRUST_200600_302600_NS6detail15normal_iteratorINSC_10device_ptrIKyEEEESI_EEEEESK_NSA_INS5_IJNSC_16discard_iteratorINSC_11use_defaultEEESN_EEEEEPS7_SQ_SQ_NSC_11hip_rocprim7__merge17predicate_wrapperIyyNSC_4lessIyEEEEEE10hipError_tPvRmT0_T1_T2_T3_T4_T5_mmT6_P12ihipStream_tbEUlT_E_NS1_11comp_targetILNS1_3genE10ELNS1_11target_archE1200ELNS1_3gpuE4ELNS1_3repE0EEENS1_30default_config_static_selectorELNS0_4arch9wavefront6targetE0EEEvS11_.has_recursion, 0
	.set _ZN7rocprim17ROCPRIM_400000_NS6detail17trampoline_kernelINS0_14default_configENS1_21merge_config_selectorINS0_5tupleIJyyEEENS0_10empty_typeEEEZNS1_10merge_implIS3_NS0_12zip_iteratorINS5_IJN6thrust23THRUST_200600_302600_NS6detail15normal_iteratorINSC_10device_ptrIKyEEEESI_EEEEESK_NSA_INS5_IJNSC_16discard_iteratorINSC_11use_defaultEEESN_EEEEEPS7_SQ_SQ_NSC_11hip_rocprim7__merge17predicate_wrapperIyyNSC_4lessIyEEEEEE10hipError_tPvRmT0_T1_T2_T3_T4_T5_mmT6_P12ihipStream_tbEUlT_E_NS1_11comp_targetILNS1_3genE10ELNS1_11target_archE1200ELNS1_3gpuE4ELNS1_3repE0EEENS1_30default_config_static_selectorELNS0_4arch9wavefront6targetE0EEEvS11_.has_indirect_call, 0
	.section	.AMDGPU.csdata,"",@progbits
; Kernel info:
; codeLenInByte = 0
; TotalNumSgprs: 0
; NumVgprs: 0
; ScratchSize: 0
; MemoryBound: 0
; FloatMode: 240
; IeeeMode: 1
; LDSByteSize: 0 bytes/workgroup (compile time only)
; SGPRBlocks: 0
; VGPRBlocks: 0
; NumSGPRsForWavesPerEU: 1
; NumVGPRsForWavesPerEU: 1
; Occupancy: 16
; WaveLimiterHint : 0
; COMPUTE_PGM_RSRC2:SCRATCH_EN: 0
; COMPUTE_PGM_RSRC2:USER_SGPR: 6
; COMPUTE_PGM_RSRC2:TRAP_HANDLER: 0
; COMPUTE_PGM_RSRC2:TGID_X_EN: 1
; COMPUTE_PGM_RSRC2:TGID_Y_EN: 0
; COMPUTE_PGM_RSRC2:TGID_Z_EN: 0
; COMPUTE_PGM_RSRC2:TIDIG_COMP_CNT: 0
	.section	.text._ZN7rocprim17ROCPRIM_400000_NS6detail17trampoline_kernelINS0_14default_configENS1_21merge_config_selectorINS0_5tupleIJyyEEENS0_10empty_typeEEEZNS1_10merge_implIS3_NS0_12zip_iteratorINS5_IJN6thrust23THRUST_200600_302600_NS6detail15normal_iteratorINSC_10device_ptrIKyEEEESI_EEEEESK_NSA_INS5_IJNSC_16discard_iteratorINSC_11use_defaultEEESN_EEEEEPS7_SQ_SQ_NSC_11hip_rocprim7__merge17predicate_wrapperIyyNSC_4lessIyEEEEEE10hipError_tPvRmT0_T1_T2_T3_T4_T5_mmT6_P12ihipStream_tbEUlT_E_NS1_11comp_targetILNS1_3genE9ELNS1_11target_archE1100ELNS1_3gpuE3ELNS1_3repE0EEENS1_30default_config_static_selectorELNS0_4arch9wavefront6targetE0EEEvS11_,"axG",@progbits,_ZN7rocprim17ROCPRIM_400000_NS6detail17trampoline_kernelINS0_14default_configENS1_21merge_config_selectorINS0_5tupleIJyyEEENS0_10empty_typeEEEZNS1_10merge_implIS3_NS0_12zip_iteratorINS5_IJN6thrust23THRUST_200600_302600_NS6detail15normal_iteratorINSC_10device_ptrIKyEEEESI_EEEEESK_NSA_INS5_IJNSC_16discard_iteratorINSC_11use_defaultEEESN_EEEEEPS7_SQ_SQ_NSC_11hip_rocprim7__merge17predicate_wrapperIyyNSC_4lessIyEEEEEE10hipError_tPvRmT0_T1_T2_T3_T4_T5_mmT6_P12ihipStream_tbEUlT_E_NS1_11comp_targetILNS1_3genE9ELNS1_11target_archE1100ELNS1_3gpuE3ELNS1_3repE0EEENS1_30default_config_static_selectorELNS0_4arch9wavefront6targetE0EEEvS11_,comdat
	.protected	_ZN7rocprim17ROCPRIM_400000_NS6detail17trampoline_kernelINS0_14default_configENS1_21merge_config_selectorINS0_5tupleIJyyEEENS0_10empty_typeEEEZNS1_10merge_implIS3_NS0_12zip_iteratorINS5_IJN6thrust23THRUST_200600_302600_NS6detail15normal_iteratorINSC_10device_ptrIKyEEEESI_EEEEESK_NSA_INS5_IJNSC_16discard_iteratorINSC_11use_defaultEEESN_EEEEEPS7_SQ_SQ_NSC_11hip_rocprim7__merge17predicate_wrapperIyyNSC_4lessIyEEEEEE10hipError_tPvRmT0_T1_T2_T3_T4_T5_mmT6_P12ihipStream_tbEUlT_E_NS1_11comp_targetILNS1_3genE9ELNS1_11target_archE1100ELNS1_3gpuE3ELNS1_3repE0EEENS1_30default_config_static_selectorELNS0_4arch9wavefront6targetE0EEEvS11_ ; -- Begin function _ZN7rocprim17ROCPRIM_400000_NS6detail17trampoline_kernelINS0_14default_configENS1_21merge_config_selectorINS0_5tupleIJyyEEENS0_10empty_typeEEEZNS1_10merge_implIS3_NS0_12zip_iteratorINS5_IJN6thrust23THRUST_200600_302600_NS6detail15normal_iteratorINSC_10device_ptrIKyEEEESI_EEEEESK_NSA_INS5_IJNSC_16discard_iteratorINSC_11use_defaultEEESN_EEEEEPS7_SQ_SQ_NSC_11hip_rocprim7__merge17predicate_wrapperIyyNSC_4lessIyEEEEEE10hipError_tPvRmT0_T1_T2_T3_T4_T5_mmT6_P12ihipStream_tbEUlT_E_NS1_11comp_targetILNS1_3genE9ELNS1_11target_archE1100ELNS1_3gpuE3ELNS1_3repE0EEENS1_30default_config_static_selectorELNS0_4arch9wavefront6targetE0EEEvS11_
	.globl	_ZN7rocprim17ROCPRIM_400000_NS6detail17trampoline_kernelINS0_14default_configENS1_21merge_config_selectorINS0_5tupleIJyyEEENS0_10empty_typeEEEZNS1_10merge_implIS3_NS0_12zip_iteratorINS5_IJN6thrust23THRUST_200600_302600_NS6detail15normal_iteratorINSC_10device_ptrIKyEEEESI_EEEEESK_NSA_INS5_IJNSC_16discard_iteratorINSC_11use_defaultEEESN_EEEEEPS7_SQ_SQ_NSC_11hip_rocprim7__merge17predicate_wrapperIyyNSC_4lessIyEEEEEE10hipError_tPvRmT0_T1_T2_T3_T4_T5_mmT6_P12ihipStream_tbEUlT_E_NS1_11comp_targetILNS1_3genE9ELNS1_11target_archE1100ELNS1_3gpuE3ELNS1_3repE0EEENS1_30default_config_static_selectorELNS0_4arch9wavefront6targetE0EEEvS11_
	.p2align	8
	.type	_ZN7rocprim17ROCPRIM_400000_NS6detail17trampoline_kernelINS0_14default_configENS1_21merge_config_selectorINS0_5tupleIJyyEEENS0_10empty_typeEEEZNS1_10merge_implIS3_NS0_12zip_iteratorINS5_IJN6thrust23THRUST_200600_302600_NS6detail15normal_iteratorINSC_10device_ptrIKyEEEESI_EEEEESK_NSA_INS5_IJNSC_16discard_iteratorINSC_11use_defaultEEESN_EEEEEPS7_SQ_SQ_NSC_11hip_rocprim7__merge17predicate_wrapperIyyNSC_4lessIyEEEEEE10hipError_tPvRmT0_T1_T2_T3_T4_T5_mmT6_P12ihipStream_tbEUlT_E_NS1_11comp_targetILNS1_3genE9ELNS1_11target_archE1100ELNS1_3gpuE3ELNS1_3repE0EEENS1_30default_config_static_selectorELNS0_4arch9wavefront6targetE0EEEvS11_,@function
_ZN7rocprim17ROCPRIM_400000_NS6detail17trampoline_kernelINS0_14default_configENS1_21merge_config_selectorINS0_5tupleIJyyEEENS0_10empty_typeEEEZNS1_10merge_implIS3_NS0_12zip_iteratorINS5_IJN6thrust23THRUST_200600_302600_NS6detail15normal_iteratorINSC_10device_ptrIKyEEEESI_EEEEESK_NSA_INS5_IJNSC_16discard_iteratorINSC_11use_defaultEEESN_EEEEEPS7_SQ_SQ_NSC_11hip_rocprim7__merge17predicate_wrapperIyyNSC_4lessIyEEEEEE10hipError_tPvRmT0_T1_T2_T3_T4_T5_mmT6_P12ihipStream_tbEUlT_E_NS1_11comp_targetILNS1_3genE9ELNS1_11target_archE1100ELNS1_3gpuE3ELNS1_3repE0EEENS1_30default_config_static_selectorELNS0_4arch9wavefront6targetE0EEEvS11_: ; @_ZN7rocprim17ROCPRIM_400000_NS6detail17trampoline_kernelINS0_14default_configENS1_21merge_config_selectorINS0_5tupleIJyyEEENS0_10empty_typeEEEZNS1_10merge_implIS3_NS0_12zip_iteratorINS5_IJN6thrust23THRUST_200600_302600_NS6detail15normal_iteratorINSC_10device_ptrIKyEEEESI_EEEEESK_NSA_INS5_IJNSC_16discard_iteratorINSC_11use_defaultEEESN_EEEEEPS7_SQ_SQ_NSC_11hip_rocprim7__merge17predicate_wrapperIyyNSC_4lessIyEEEEEE10hipError_tPvRmT0_T1_T2_T3_T4_T5_mmT6_P12ihipStream_tbEUlT_E_NS1_11comp_targetILNS1_3genE9ELNS1_11target_archE1100ELNS1_3gpuE3ELNS1_3repE0EEENS1_30default_config_static_selectorELNS0_4arch9wavefront6targetE0EEEvS11_
; %bb.0:
	.section	.rodata,"a",@progbits
	.p2align	6, 0x0
	.amdhsa_kernel _ZN7rocprim17ROCPRIM_400000_NS6detail17trampoline_kernelINS0_14default_configENS1_21merge_config_selectorINS0_5tupleIJyyEEENS0_10empty_typeEEEZNS1_10merge_implIS3_NS0_12zip_iteratorINS5_IJN6thrust23THRUST_200600_302600_NS6detail15normal_iteratorINSC_10device_ptrIKyEEEESI_EEEEESK_NSA_INS5_IJNSC_16discard_iteratorINSC_11use_defaultEEESN_EEEEEPS7_SQ_SQ_NSC_11hip_rocprim7__merge17predicate_wrapperIyyNSC_4lessIyEEEEEE10hipError_tPvRmT0_T1_T2_T3_T4_T5_mmT6_P12ihipStream_tbEUlT_E_NS1_11comp_targetILNS1_3genE9ELNS1_11target_archE1100ELNS1_3gpuE3ELNS1_3repE0EEENS1_30default_config_static_selectorELNS0_4arch9wavefront6targetE0EEEvS11_
		.amdhsa_group_segment_fixed_size 0
		.amdhsa_private_segment_fixed_size 0
		.amdhsa_kernarg_size 64
		.amdhsa_user_sgpr_count 6
		.amdhsa_user_sgpr_private_segment_buffer 1
		.amdhsa_user_sgpr_dispatch_ptr 0
		.amdhsa_user_sgpr_queue_ptr 0
		.amdhsa_user_sgpr_kernarg_segment_ptr 1
		.amdhsa_user_sgpr_dispatch_id 0
		.amdhsa_user_sgpr_flat_scratch_init 0
		.amdhsa_user_sgpr_private_segment_size 0
		.amdhsa_wavefront_size32 1
		.amdhsa_uses_dynamic_stack 0
		.amdhsa_system_sgpr_private_segment_wavefront_offset 0
		.amdhsa_system_sgpr_workgroup_id_x 1
		.amdhsa_system_sgpr_workgroup_id_y 0
		.amdhsa_system_sgpr_workgroup_id_z 0
		.amdhsa_system_sgpr_workgroup_info 0
		.amdhsa_system_vgpr_workitem_id 0
		.amdhsa_next_free_vgpr 1
		.amdhsa_next_free_sgpr 1
		.amdhsa_reserve_vcc 0
		.amdhsa_reserve_flat_scratch 0
		.amdhsa_float_round_mode_32 0
		.amdhsa_float_round_mode_16_64 0
		.amdhsa_float_denorm_mode_32 3
		.amdhsa_float_denorm_mode_16_64 3
		.amdhsa_dx10_clamp 1
		.amdhsa_ieee_mode 1
		.amdhsa_fp16_overflow 0
		.amdhsa_workgroup_processor_mode 1
		.amdhsa_memory_ordered 1
		.amdhsa_forward_progress 1
		.amdhsa_shared_vgpr_count 0
		.amdhsa_exception_fp_ieee_invalid_op 0
		.amdhsa_exception_fp_denorm_src 0
		.amdhsa_exception_fp_ieee_div_zero 0
		.amdhsa_exception_fp_ieee_overflow 0
		.amdhsa_exception_fp_ieee_underflow 0
		.amdhsa_exception_fp_ieee_inexact 0
		.amdhsa_exception_int_div_zero 0
	.end_amdhsa_kernel
	.section	.text._ZN7rocprim17ROCPRIM_400000_NS6detail17trampoline_kernelINS0_14default_configENS1_21merge_config_selectorINS0_5tupleIJyyEEENS0_10empty_typeEEEZNS1_10merge_implIS3_NS0_12zip_iteratorINS5_IJN6thrust23THRUST_200600_302600_NS6detail15normal_iteratorINSC_10device_ptrIKyEEEESI_EEEEESK_NSA_INS5_IJNSC_16discard_iteratorINSC_11use_defaultEEESN_EEEEEPS7_SQ_SQ_NSC_11hip_rocprim7__merge17predicate_wrapperIyyNSC_4lessIyEEEEEE10hipError_tPvRmT0_T1_T2_T3_T4_T5_mmT6_P12ihipStream_tbEUlT_E_NS1_11comp_targetILNS1_3genE9ELNS1_11target_archE1100ELNS1_3gpuE3ELNS1_3repE0EEENS1_30default_config_static_selectorELNS0_4arch9wavefront6targetE0EEEvS11_,"axG",@progbits,_ZN7rocprim17ROCPRIM_400000_NS6detail17trampoline_kernelINS0_14default_configENS1_21merge_config_selectorINS0_5tupleIJyyEEENS0_10empty_typeEEEZNS1_10merge_implIS3_NS0_12zip_iteratorINS5_IJN6thrust23THRUST_200600_302600_NS6detail15normal_iteratorINSC_10device_ptrIKyEEEESI_EEEEESK_NSA_INS5_IJNSC_16discard_iteratorINSC_11use_defaultEEESN_EEEEEPS7_SQ_SQ_NSC_11hip_rocprim7__merge17predicate_wrapperIyyNSC_4lessIyEEEEEE10hipError_tPvRmT0_T1_T2_T3_T4_T5_mmT6_P12ihipStream_tbEUlT_E_NS1_11comp_targetILNS1_3genE9ELNS1_11target_archE1100ELNS1_3gpuE3ELNS1_3repE0EEENS1_30default_config_static_selectorELNS0_4arch9wavefront6targetE0EEEvS11_,comdat
.Lfunc_end522:
	.size	_ZN7rocprim17ROCPRIM_400000_NS6detail17trampoline_kernelINS0_14default_configENS1_21merge_config_selectorINS0_5tupleIJyyEEENS0_10empty_typeEEEZNS1_10merge_implIS3_NS0_12zip_iteratorINS5_IJN6thrust23THRUST_200600_302600_NS6detail15normal_iteratorINSC_10device_ptrIKyEEEESI_EEEEESK_NSA_INS5_IJNSC_16discard_iteratorINSC_11use_defaultEEESN_EEEEEPS7_SQ_SQ_NSC_11hip_rocprim7__merge17predicate_wrapperIyyNSC_4lessIyEEEEEE10hipError_tPvRmT0_T1_T2_T3_T4_T5_mmT6_P12ihipStream_tbEUlT_E_NS1_11comp_targetILNS1_3genE9ELNS1_11target_archE1100ELNS1_3gpuE3ELNS1_3repE0EEENS1_30default_config_static_selectorELNS0_4arch9wavefront6targetE0EEEvS11_, .Lfunc_end522-_ZN7rocprim17ROCPRIM_400000_NS6detail17trampoline_kernelINS0_14default_configENS1_21merge_config_selectorINS0_5tupleIJyyEEENS0_10empty_typeEEEZNS1_10merge_implIS3_NS0_12zip_iteratorINS5_IJN6thrust23THRUST_200600_302600_NS6detail15normal_iteratorINSC_10device_ptrIKyEEEESI_EEEEESK_NSA_INS5_IJNSC_16discard_iteratorINSC_11use_defaultEEESN_EEEEEPS7_SQ_SQ_NSC_11hip_rocprim7__merge17predicate_wrapperIyyNSC_4lessIyEEEEEE10hipError_tPvRmT0_T1_T2_T3_T4_T5_mmT6_P12ihipStream_tbEUlT_E_NS1_11comp_targetILNS1_3genE9ELNS1_11target_archE1100ELNS1_3gpuE3ELNS1_3repE0EEENS1_30default_config_static_selectorELNS0_4arch9wavefront6targetE0EEEvS11_
                                        ; -- End function
	.set _ZN7rocprim17ROCPRIM_400000_NS6detail17trampoline_kernelINS0_14default_configENS1_21merge_config_selectorINS0_5tupleIJyyEEENS0_10empty_typeEEEZNS1_10merge_implIS3_NS0_12zip_iteratorINS5_IJN6thrust23THRUST_200600_302600_NS6detail15normal_iteratorINSC_10device_ptrIKyEEEESI_EEEEESK_NSA_INS5_IJNSC_16discard_iteratorINSC_11use_defaultEEESN_EEEEEPS7_SQ_SQ_NSC_11hip_rocprim7__merge17predicate_wrapperIyyNSC_4lessIyEEEEEE10hipError_tPvRmT0_T1_T2_T3_T4_T5_mmT6_P12ihipStream_tbEUlT_E_NS1_11comp_targetILNS1_3genE9ELNS1_11target_archE1100ELNS1_3gpuE3ELNS1_3repE0EEENS1_30default_config_static_selectorELNS0_4arch9wavefront6targetE0EEEvS11_.num_vgpr, 0
	.set _ZN7rocprim17ROCPRIM_400000_NS6detail17trampoline_kernelINS0_14default_configENS1_21merge_config_selectorINS0_5tupleIJyyEEENS0_10empty_typeEEEZNS1_10merge_implIS3_NS0_12zip_iteratorINS5_IJN6thrust23THRUST_200600_302600_NS6detail15normal_iteratorINSC_10device_ptrIKyEEEESI_EEEEESK_NSA_INS5_IJNSC_16discard_iteratorINSC_11use_defaultEEESN_EEEEEPS7_SQ_SQ_NSC_11hip_rocprim7__merge17predicate_wrapperIyyNSC_4lessIyEEEEEE10hipError_tPvRmT0_T1_T2_T3_T4_T5_mmT6_P12ihipStream_tbEUlT_E_NS1_11comp_targetILNS1_3genE9ELNS1_11target_archE1100ELNS1_3gpuE3ELNS1_3repE0EEENS1_30default_config_static_selectorELNS0_4arch9wavefront6targetE0EEEvS11_.num_agpr, 0
	.set _ZN7rocprim17ROCPRIM_400000_NS6detail17trampoline_kernelINS0_14default_configENS1_21merge_config_selectorINS0_5tupleIJyyEEENS0_10empty_typeEEEZNS1_10merge_implIS3_NS0_12zip_iteratorINS5_IJN6thrust23THRUST_200600_302600_NS6detail15normal_iteratorINSC_10device_ptrIKyEEEESI_EEEEESK_NSA_INS5_IJNSC_16discard_iteratorINSC_11use_defaultEEESN_EEEEEPS7_SQ_SQ_NSC_11hip_rocprim7__merge17predicate_wrapperIyyNSC_4lessIyEEEEEE10hipError_tPvRmT0_T1_T2_T3_T4_T5_mmT6_P12ihipStream_tbEUlT_E_NS1_11comp_targetILNS1_3genE9ELNS1_11target_archE1100ELNS1_3gpuE3ELNS1_3repE0EEENS1_30default_config_static_selectorELNS0_4arch9wavefront6targetE0EEEvS11_.numbered_sgpr, 0
	.set _ZN7rocprim17ROCPRIM_400000_NS6detail17trampoline_kernelINS0_14default_configENS1_21merge_config_selectorINS0_5tupleIJyyEEENS0_10empty_typeEEEZNS1_10merge_implIS3_NS0_12zip_iteratorINS5_IJN6thrust23THRUST_200600_302600_NS6detail15normal_iteratorINSC_10device_ptrIKyEEEESI_EEEEESK_NSA_INS5_IJNSC_16discard_iteratorINSC_11use_defaultEEESN_EEEEEPS7_SQ_SQ_NSC_11hip_rocprim7__merge17predicate_wrapperIyyNSC_4lessIyEEEEEE10hipError_tPvRmT0_T1_T2_T3_T4_T5_mmT6_P12ihipStream_tbEUlT_E_NS1_11comp_targetILNS1_3genE9ELNS1_11target_archE1100ELNS1_3gpuE3ELNS1_3repE0EEENS1_30default_config_static_selectorELNS0_4arch9wavefront6targetE0EEEvS11_.num_named_barrier, 0
	.set _ZN7rocprim17ROCPRIM_400000_NS6detail17trampoline_kernelINS0_14default_configENS1_21merge_config_selectorINS0_5tupleIJyyEEENS0_10empty_typeEEEZNS1_10merge_implIS3_NS0_12zip_iteratorINS5_IJN6thrust23THRUST_200600_302600_NS6detail15normal_iteratorINSC_10device_ptrIKyEEEESI_EEEEESK_NSA_INS5_IJNSC_16discard_iteratorINSC_11use_defaultEEESN_EEEEEPS7_SQ_SQ_NSC_11hip_rocprim7__merge17predicate_wrapperIyyNSC_4lessIyEEEEEE10hipError_tPvRmT0_T1_T2_T3_T4_T5_mmT6_P12ihipStream_tbEUlT_E_NS1_11comp_targetILNS1_3genE9ELNS1_11target_archE1100ELNS1_3gpuE3ELNS1_3repE0EEENS1_30default_config_static_selectorELNS0_4arch9wavefront6targetE0EEEvS11_.private_seg_size, 0
	.set _ZN7rocprim17ROCPRIM_400000_NS6detail17trampoline_kernelINS0_14default_configENS1_21merge_config_selectorINS0_5tupleIJyyEEENS0_10empty_typeEEEZNS1_10merge_implIS3_NS0_12zip_iteratorINS5_IJN6thrust23THRUST_200600_302600_NS6detail15normal_iteratorINSC_10device_ptrIKyEEEESI_EEEEESK_NSA_INS5_IJNSC_16discard_iteratorINSC_11use_defaultEEESN_EEEEEPS7_SQ_SQ_NSC_11hip_rocprim7__merge17predicate_wrapperIyyNSC_4lessIyEEEEEE10hipError_tPvRmT0_T1_T2_T3_T4_T5_mmT6_P12ihipStream_tbEUlT_E_NS1_11comp_targetILNS1_3genE9ELNS1_11target_archE1100ELNS1_3gpuE3ELNS1_3repE0EEENS1_30default_config_static_selectorELNS0_4arch9wavefront6targetE0EEEvS11_.uses_vcc, 0
	.set _ZN7rocprim17ROCPRIM_400000_NS6detail17trampoline_kernelINS0_14default_configENS1_21merge_config_selectorINS0_5tupleIJyyEEENS0_10empty_typeEEEZNS1_10merge_implIS3_NS0_12zip_iteratorINS5_IJN6thrust23THRUST_200600_302600_NS6detail15normal_iteratorINSC_10device_ptrIKyEEEESI_EEEEESK_NSA_INS5_IJNSC_16discard_iteratorINSC_11use_defaultEEESN_EEEEEPS7_SQ_SQ_NSC_11hip_rocprim7__merge17predicate_wrapperIyyNSC_4lessIyEEEEEE10hipError_tPvRmT0_T1_T2_T3_T4_T5_mmT6_P12ihipStream_tbEUlT_E_NS1_11comp_targetILNS1_3genE9ELNS1_11target_archE1100ELNS1_3gpuE3ELNS1_3repE0EEENS1_30default_config_static_selectorELNS0_4arch9wavefront6targetE0EEEvS11_.uses_flat_scratch, 0
	.set _ZN7rocprim17ROCPRIM_400000_NS6detail17trampoline_kernelINS0_14default_configENS1_21merge_config_selectorINS0_5tupleIJyyEEENS0_10empty_typeEEEZNS1_10merge_implIS3_NS0_12zip_iteratorINS5_IJN6thrust23THRUST_200600_302600_NS6detail15normal_iteratorINSC_10device_ptrIKyEEEESI_EEEEESK_NSA_INS5_IJNSC_16discard_iteratorINSC_11use_defaultEEESN_EEEEEPS7_SQ_SQ_NSC_11hip_rocprim7__merge17predicate_wrapperIyyNSC_4lessIyEEEEEE10hipError_tPvRmT0_T1_T2_T3_T4_T5_mmT6_P12ihipStream_tbEUlT_E_NS1_11comp_targetILNS1_3genE9ELNS1_11target_archE1100ELNS1_3gpuE3ELNS1_3repE0EEENS1_30default_config_static_selectorELNS0_4arch9wavefront6targetE0EEEvS11_.has_dyn_sized_stack, 0
	.set _ZN7rocprim17ROCPRIM_400000_NS6detail17trampoline_kernelINS0_14default_configENS1_21merge_config_selectorINS0_5tupleIJyyEEENS0_10empty_typeEEEZNS1_10merge_implIS3_NS0_12zip_iteratorINS5_IJN6thrust23THRUST_200600_302600_NS6detail15normal_iteratorINSC_10device_ptrIKyEEEESI_EEEEESK_NSA_INS5_IJNSC_16discard_iteratorINSC_11use_defaultEEESN_EEEEEPS7_SQ_SQ_NSC_11hip_rocprim7__merge17predicate_wrapperIyyNSC_4lessIyEEEEEE10hipError_tPvRmT0_T1_T2_T3_T4_T5_mmT6_P12ihipStream_tbEUlT_E_NS1_11comp_targetILNS1_3genE9ELNS1_11target_archE1100ELNS1_3gpuE3ELNS1_3repE0EEENS1_30default_config_static_selectorELNS0_4arch9wavefront6targetE0EEEvS11_.has_recursion, 0
	.set _ZN7rocprim17ROCPRIM_400000_NS6detail17trampoline_kernelINS0_14default_configENS1_21merge_config_selectorINS0_5tupleIJyyEEENS0_10empty_typeEEEZNS1_10merge_implIS3_NS0_12zip_iteratorINS5_IJN6thrust23THRUST_200600_302600_NS6detail15normal_iteratorINSC_10device_ptrIKyEEEESI_EEEEESK_NSA_INS5_IJNSC_16discard_iteratorINSC_11use_defaultEEESN_EEEEEPS7_SQ_SQ_NSC_11hip_rocprim7__merge17predicate_wrapperIyyNSC_4lessIyEEEEEE10hipError_tPvRmT0_T1_T2_T3_T4_T5_mmT6_P12ihipStream_tbEUlT_E_NS1_11comp_targetILNS1_3genE9ELNS1_11target_archE1100ELNS1_3gpuE3ELNS1_3repE0EEENS1_30default_config_static_selectorELNS0_4arch9wavefront6targetE0EEEvS11_.has_indirect_call, 0
	.section	.AMDGPU.csdata,"",@progbits
; Kernel info:
; codeLenInByte = 0
; TotalNumSgprs: 0
; NumVgprs: 0
; ScratchSize: 0
; MemoryBound: 0
; FloatMode: 240
; IeeeMode: 1
; LDSByteSize: 0 bytes/workgroup (compile time only)
; SGPRBlocks: 0
; VGPRBlocks: 0
; NumSGPRsForWavesPerEU: 1
; NumVGPRsForWavesPerEU: 1
; Occupancy: 16
; WaveLimiterHint : 0
; COMPUTE_PGM_RSRC2:SCRATCH_EN: 0
; COMPUTE_PGM_RSRC2:USER_SGPR: 6
; COMPUTE_PGM_RSRC2:TRAP_HANDLER: 0
; COMPUTE_PGM_RSRC2:TGID_X_EN: 1
; COMPUTE_PGM_RSRC2:TGID_Y_EN: 0
; COMPUTE_PGM_RSRC2:TGID_Z_EN: 0
; COMPUTE_PGM_RSRC2:TIDIG_COMP_CNT: 0
	.section	.text._ZN7rocprim17ROCPRIM_400000_NS6detail17trampoline_kernelINS0_14default_configENS1_21merge_config_selectorINS0_5tupleIJyyEEENS0_10empty_typeEEEZNS1_10merge_implIS3_NS0_12zip_iteratorINS5_IJN6thrust23THRUST_200600_302600_NS6detail15normal_iteratorINSC_10device_ptrIKyEEEESI_EEEEESK_NSA_INS5_IJNSC_16discard_iteratorINSC_11use_defaultEEESN_EEEEEPS7_SQ_SQ_NSC_11hip_rocprim7__merge17predicate_wrapperIyyNSC_4lessIyEEEEEE10hipError_tPvRmT0_T1_T2_T3_T4_T5_mmT6_P12ihipStream_tbEUlT_E_NS1_11comp_targetILNS1_3genE8ELNS1_11target_archE1030ELNS1_3gpuE2ELNS1_3repE0EEENS1_30default_config_static_selectorELNS0_4arch9wavefront6targetE0EEEvS11_,"axG",@progbits,_ZN7rocprim17ROCPRIM_400000_NS6detail17trampoline_kernelINS0_14default_configENS1_21merge_config_selectorINS0_5tupleIJyyEEENS0_10empty_typeEEEZNS1_10merge_implIS3_NS0_12zip_iteratorINS5_IJN6thrust23THRUST_200600_302600_NS6detail15normal_iteratorINSC_10device_ptrIKyEEEESI_EEEEESK_NSA_INS5_IJNSC_16discard_iteratorINSC_11use_defaultEEESN_EEEEEPS7_SQ_SQ_NSC_11hip_rocprim7__merge17predicate_wrapperIyyNSC_4lessIyEEEEEE10hipError_tPvRmT0_T1_T2_T3_T4_T5_mmT6_P12ihipStream_tbEUlT_E_NS1_11comp_targetILNS1_3genE8ELNS1_11target_archE1030ELNS1_3gpuE2ELNS1_3repE0EEENS1_30default_config_static_selectorELNS0_4arch9wavefront6targetE0EEEvS11_,comdat
	.protected	_ZN7rocprim17ROCPRIM_400000_NS6detail17trampoline_kernelINS0_14default_configENS1_21merge_config_selectorINS0_5tupleIJyyEEENS0_10empty_typeEEEZNS1_10merge_implIS3_NS0_12zip_iteratorINS5_IJN6thrust23THRUST_200600_302600_NS6detail15normal_iteratorINSC_10device_ptrIKyEEEESI_EEEEESK_NSA_INS5_IJNSC_16discard_iteratorINSC_11use_defaultEEESN_EEEEEPS7_SQ_SQ_NSC_11hip_rocprim7__merge17predicate_wrapperIyyNSC_4lessIyEEEEEE10hipError_tPvRmT0_T1_T2_T3_T4_T5_mmT6_P12ihipStream_tbEUlT_E_NS1_11comp_targetILNS1_3genE8ELNS1_11target_archE1030ELNS1_3gpuE2ELNS1_3repE0EEENS1_30default_config_static_selectorELNS0_4arch9wavefront6targetE0EEEvS11_ ; -- Begin function _ZN7rocprim17ROCPRIM_400000_NS6detail17trampoline_kernelINS0_14default_configENS1_21merge_config_selectorINS0_5tupleIJyyEEENS0_10empty_typeEEEZNS1_10merge_implIS3_NS0_12zip_iteratorINS5_IJN6thrust23THRUST_200600_302600_NS6detail15normal_iteratorINSC_10device_ptrIKyEEEESI_EEEEESK_NSA_INS5_IJNSC_16discard_iteratorINSC_11use_defaultEEESN_EEEEEPS7_SQ_SQ_NSC_11hip_rocprim7__merge17predicate_wrapperIyyNSC_4lessIyEEEEEE10hipError_tPvRmT0_T1_T2_T3_T4_T5_mmT6_P12ihipStream_tbEUlT_E_NS1_11comp_targetILNS1_3genE8ELNS1_11target_archE1030ELNS1_3gpuE2ELNS1_3repE0EEENS1_30default_config_static_selectorELNS0_4arch9wavefront6targetE0EEEvS11_
	.globl	_ZN7rocprim17ROCPRIM_400000_NS6detail17trampoline_kernelINS0_14default_configENS1_21merge_config_selectorINS0_5tupleIJyyEEENS0_10empty_typeEEEZNS1_10merge_implIS3_NS0_12zip_iteratorINS5_IJN6thrust23THRUST_200600_302600_NS6detail15normal_iteratorINSC_10device_ptrIKyEEEESI_EEEEESK_NSA_INS5_IJNSC_16discard_iteratorINSC_11use_defaultEEESN_EEEEEPS7_SQ_SQ_NSC_11hip_rocprim7__merge17predicate_wrapperIyyNSC_4lessIyEEEEEE10hipError_tPvRmT0_T1_T2_T3_T4_T5_mmT6_P12ihipStream_tbEUlT_E_NS1_11comp_targetILNS1_3genE8ELNS1_11target_archE1030ELNS1_3gpuE2ELNS1_3repE0EEENS1_30default_config_static_selectorELNS0_4arch9wavefront6targetE0EEEvS11_
	.p2align	8
	.type	_ZN7rocprim17ROCPRIM_400000_NS6detail17trampoline_kernelINS0_14default_configENS1_21merge_config_selectorINS0_5tupleIJyyEEENS0_10empty_typeEEEZNS1_10merge_implIS3_NS0_12zip_iteratorINS5_IJN6thrust23THRUST_200600_302600_NS6detail15normal_iteratorINSC_10device_ptrIKyEEEESI_EEEEESK_NSA_INS5_IJNSC_16discard_iteratorINSC_11use_defaultEEESN_EEEEEPS7_SQ_SQ_NSC_11hip_rocprim7__merge17predicate_wrapperIyyNSC_4lessIyEEEEEE10hipError_tPvRmT0_T1_T2_T3_T4_T5_mmT6_P12ihipStream_tbEUlT_E_NS1_11comp_targetILNS1_3genE8ELNS1_11target_archE1030ELNS1_3gpuE2ELNS1_3repE0EEENS1_30default_config_static_selectorELNS0_4arch9wavefront6targetE0EEEvS11_,@function
_ZN7rocprim17ROCPRIM_400000_NS6detail17trampoline_kernelINS0_14default_configENS1_21merge_config_selectorINS0_5tupleIJyyEEENS0_10empty_typeEEEZNS1_10merge_implIS3_NS0_12zip_iteratorINS5_IJN6thrust23THRUST_200600_302600_NS6detail15normal_iteratorINSC_10device_ptrIKyEEEESI_EEEEESK_NSA_INS5_IJNSC_16discard_iteratorINSC_11use_defaultEEESN_EEEEEPS7_SQ_SQ_NSC_11hip_rocprim7__merge17predicate_wrapperIyyNSC_4lessIyEEEEEE10hipError_tPvRmT0_T1_T2_T3_T4_T5_mmT6_P12ihipStream_tbEUlT_E_NS1_11comp_targetILNS1_3genE8ELNS1_11target_archE1030ELNS1_3gpuE2ELNS1_3repE0EEENS1_30default_config_static_selectorELNS0_4arch9wavefront6targetE0EEEvS11_: ; @_ZN7rocprim17ROCPRIM_400000_NS6detail17trampoline_kernelINS0_14default_configENS1_21merge_config_selectorINS0_5tupleIJyyEEENS0_10empty_typeEEEZNS1_10merge_implIS3_NS0_12zip_iteratorINS5_IJN6thrust23THRUST_200600_302600_NS6detail15normal_iteratorINSC_10device_ptrIKyEEEESI_EEEEESK_NSA_INS5_IJNSC_16discard_iteratorINSC_11use_defaultEEESN_EEEEEPS7_SQ_SQ_NSC_11hip_rocprim7__merge17predicate_wrapperIyyNSC_4lessIyEEEEEE10hipError_tPvRmT0_T1_T2_T3_T4_T5_mmT6_P12ihipStream_tbEUlT_E_NS1_11comp_targetILNS1_3genE8ELNS1_11target_archE1030ELNS1_3gpuE2ELNS1_3repE0EEENS1_30default_config_static_selectorELNS0_4arch9wavefront6targetE0EEEvS11_
; %bb.0:
	s_clause 0x2
	s_load_dword s2, s[4:5], 0x38
	s_load_dword s0, s[4:5], 0x4c
	s_load_dwordx4 s[12:15], s[4:5], 0x28
	s_waitcnt lgkmcnt(0)
	v_cvt_f32_u32_e32 v1, s2
	s_and_b32 s3, s0, 0xffff
	s_add_u32 s0, s14, s12
	s_addc_u32 s1, s15, s13
	s_sub_i32 s8, 0, s2
	v_rcp_iflag_f32_e32 v1, v1
	s_add_i32 s9, s2, s0
	s_add_i32 s9, s9, -1
	v_mul_f32_e32 v1, 0x4f7ffffe, v1
	v_cvt_u32_f32_e32 v1, v1
	v_readfirstlane_b32 s7, v1
	v_mad_u64_u32 v[0:1], null, s6, s3, v[0:1]
	s_mul_i32 s8, s8, s7
	s_mul_hi_u32 s8, s7, s8
	s_add_i32 s7, s7, s8
	s_mul_hi_u32 s7, s9, s7
	s_mul_i32 s8, s7, s2
	s_sub_i32 s8, s9, s8
	s_add_i32 s9, s7, 1
	s_sub_i32 s10, s8, s2
	s_cmp_ge_u32 s8, s2
	s_cselect_b32 s3, s9, s7
	s_cselect_b32 s6, s10, s8
	s_add_i32 s7, s3, 1
	s_cmp_ge_u32 s6, s2
	s_cselect_b32 s3, s7, s3
	v_cmp_ge_u32_e32 vcc_lo, s3, v0
	s_and_saveexec_b32 s3, vcc_lo
	s_cbranch_execz .LBB523_6
; %bb.1:
	v_mul_lo_u32 v1, v0, s2
	v_mov_b32_e32 v2, 0
	s_load_dwordx4 s[8:11], s[4:5], 0x0
	v_cmp_gt_u64_e32 vcc_lo, s[0:1], v[1:2]
	v_cndmask_b32_e32 v6, s0, v1, vcc_lo
	v_cndmask_b32_e64 v7, s1, 0, vcc_lo
	s_mov_b32 s1, exec_lo
	v_sub_co_u32 v1, vcc_lo, v6, s14
	v_subrev_co_ci_u32_e64 v2, null, s15, v7, vcc_lo
	v_cmp_gt_u64_e64 s0, s[12:13], v[6:7]
	v_cmp_gt_u64_e32 vcc_lo, v[1:2], v[6:7]
	v_cndmask_b32_e64 v5, s13, v7, s0
	v_cndmask_b32_e64 v4, s12, v6, s0
	v_cndmask_b32_e64 v3, v2, 0, vcc_lo
	v_cndmask_b32_e64 v2, v1, 0, vcc_lo
	v_cmpx_lt_u64_e64 v[2:3], v[4:5]
	s_cbranch_execz .LBB523_5
; %bb.2:
	s_load_dwordx2 s[2:3], s[4:5], 0x18
	v_lshlrev_b64 v[6:7], 3, v[6:7]
	s_waitcnt lgkmcnt(0)
	v_add_co_u32 v1, vcc_lo, s2, v6
	v_add_co_ci_u32_e64 v6, null, s3, v7, vcc_lo
	s_mov_b32 s2, 0
	s_inst_prefetch 0x1
	.p2align	6
.LBB523_3:                              ; =>This Inner Loop Header: Depth=1
	v_add_co_u32 v7, vcc_lo, v4, v2
	v_add_co_ci_u32_e64 v8, null, v5, v3, vcc_lo
	v_lshrrev_b64 v[7:8], 1, v[7:8]
	v_lshlrev_b64 v[9:10], 3, v[7:8]
	v_xor_b32_e32 v11, -8, v9
	v_xor_b32_e32 v12, -1, v10
	v_add_co_u32 v9, vcc_lo, s10, v9
	v_add_co_ci_u32_e64 v10, null, s11, v10, vcc_lo
	v_add_co_u32 v11, vcc_lo, v1, v11
	v_add_co_ci_u32_e64 v12, null, v6, v12, vcc_lo
	v_add_co_u32 v13, vcc_lo, v7, 1
	global_load_dwordx2 v[9:10], v[9:10], off
	global_load_dwordx2 v[11:12], v[11:12], off
	s_waitcnt vmcnt(0)
	v_cmp_lt_u64_e64 s0, v[11:12], v[9:10]
	v_add_co_ci_u32_e64 v9, null, 0, v8, vcc_lo
	v_cndmask_b32_e64 v5, v5, v8, s0
	v_cndmask_b32_e64 v4, v4, v7, s0
	;; [unrolled: 1-line block ×4, first 2 shown]
	v_cmp_ge_u64_e32 vcc_lo, v[2:3], v[4:5]
	s_or_b32 s2, vcc_lo, s2
	s_andn2_b32 exec_lo, exec_lo, s2
	s_cbranch_execnz .LBB523_3
; %bb.4:
	s_inst_prefetch 0x2
	s_or_b32 exec_lo, exec_lo, s2
.LBB523_5:
	s_or_b32 exec_lo, exec_lo, s1
	v_mov_b32_e32 v1, 0
	v_lshlrev_b64 v[0:1], 2, v[0:1]
	s_waitcnt lgkmcnt(0)
	v_add_co_u32 v0, vcc_lo, s8, v0
	v_add_co_ci_u32_e64 v1, null, s9, v1, vcc_lo
	global_store_dword v[0:1], v2, off
.LBB523_6:
	s_endpgm
	.section	.rodata,"a",@progbits
	.p2align	6, 0x0
	.amdhsa_kernel _ZN7rocprim17ROCPRIM_400000_NS6detail17trampoline_kernelINS0_14default_configENS1_21merge_config_selectorINS0_5tupleIJyyEEENS0_10empty_typeEEEZNS1_10merge_implIS3_NS0_12zip_iteratorINS5_IJN6thrust23THRUST_200600_302600_NS6detail15normal_iteratorINSC_10device_ptrIKyEEEESI_EEEEESK_NSA_INS5_IJNSC_16discard_iteratorINSC_11use_defaultEEESN_EEEEEPS7_SQ_SQ_NSC_11hip_rocprim7__merge17predicate_wrapperIyyNSC_4lessIyEEEEEE10hipError_tPvRmT0_T1_T2_T3_T4_T5_mmT6_P12ihipStream_tbEUlT_E_NS1_11comp_targetILNS1_3genE8ELNS1_11target_archE1030ELNS1_3gpuE2ELNS1_3repE0EEENS1_30default_config_static_selectorELNS0_4arch9wavefront6targetE0EEEvS11_
		.amdhsa_group_segment_fixed_size 0
		.amdhsa_private_segment_fixed_size 0
		.amdhsa_kernarg_size 320
		.amdhsa_user_sgpr_count 6
		.amdhsa_user_sgpr_private_segment_buffer 1
		.amdhsa_user_sgpr_dispatch_ptr 0
		.amdhsa_user_sgpr_queue_ptr 0
		.amdhsa_user_sgpr_kernarg_segment_ptr 1
		.amdhsa_user_sgpr_dispatch_id 0
		.amdhsa_user_sgpr_flat_scratch_init 0
		.amdhsa_user_sgpr_private_segment_size 0
		.amdhsa_wavefront_size32 1
		.amdhsa_uses_dynamic_stack 0
		.amdhsa_system_sgpr_private_segment_wavefront_offset 0
		.amdhsa_system_sgpr_workgroup_id_x 1
		.amdhsa_system_sgpr_workgroup_id_y 0
		.amdhsa_system_sgpr_workgroup_id_z 0
		.amdhsa_system_sgpr_workgroup_info 0
		.amdhsa_system_vgpr_workitem_id 0
		.amdhsa_next_free_vgpr 14
		.amdhsa_next_free_sgpr 16
		.amdhsa_reserve_vcc 1
		.amdhsa_reserve_flat_scratch 0
		.amdhsa_float_round_mode_32 0
		.amdhsa_float_round_mode_16_64 0
		.amdhsa_float_denorm_mode_32 3
		.amdhsa_float_denorm_mode_16_64 3
		.amdhsa_dx10_clamp 1
		.amdhsa_ieee_mode 1
		.amdhsa_fp16_overflow 0
		.amdhsa_workgroup_processor_mode 1
		.amdhsa_memory_ordered 1
		.amdhsa_forward_progress 1
		.amdhsa_shared_vgpr_count 0
		.amdhsa_exception_fp_ieee_invalid_op 0
		.amdhsa_exception_fp_denorm_src 0
		.amdhsa_exception_fp_ieee_div_zero 0
		.amdhsa_exception_fp_ieee_overflow 0
		.amdhsa_exception_fp_ieee_underflow 0
		.amdhsa_exception_fp_ieee_inexact 0
		.amdhsa_exception_int_div_zero 0
	.end_amdhsa_kernel
	.section	.text._ZN7rocprim17ROCPRIM_400000_NS6detail17trampoline_kernelINS0_14default_configENS1_21merge_config_selectorINS0_5tupleIJyyEEENS0_10empty_typeEEEZNS1_10merge_implIS3_NS0_12zip_iteratorINS5_IJN6thrust23THRUST_200600_302600_NS6detail15normal_iteratorINSC_10device_ptrIKyEEEESI_EEEEESK_NSA_INS5_IJNSC_16discard_iteratorINSC_11use_defaultEEESN_EEEEEPS7_SQ_SQ_NSC_11hip_rocprim7__merge17predicate_wrapperIyyNSC_4lessIyEEEEEE10hipError_tPvRmT0_T1_T2_T3_T4_T5_mmT6_P12ihipStream_tbEUlT_E_NS1_11comp_targetILNS1_3genE8ELNS1_11target_archE1030ELNS1_3gpuE2ELNS1_3repE0EEENS1_30default_config_static_selectorELNS0_4arch9wavefront6targetE0EEEvS11_,"axG",@progbits,_ZN7rocprim17ROCPRIM_400000_NS6detail17trampoline_kernelINS0_14default_configENS1_21merge_config_selectorINS0_5tupleIJyyEEENS0_10empty_typeEEEZNS1_10merge_implIS3_NS0_12zip_iteratorINS5_IJN6thrust23THRUST_200600_302600_NS6detail15normal_iteratorINSC_10device_ptrIKyEEEESI_EEEEESK_NSA_INS5_IJNSC_16discard_iteratorINSC_11use_defaultEEESN_EEEEEPS7_SQ_SQ_NSC_11hip_rocprim7__merge17predicate_wrapperIyyNSC_4lessIyEEEEEE10hipError_tPvRmT0_T1_T2_T3_T4_T5_mmT6_P12ihipStream_tbEUlT_E_NS1_11comp_targetILNS1_3genE8ELNS1_11target_archE1030ELNS1_3gpuE2ELNS1_3repE0EEENS1_30default_config_static_selectorELNS0_4arch9wavefront6targetE0EEEvS11_,comdat
.Lfunc_end523:
	.size	_ZN7rocprim17ROCPRIM_400000_NS6detail17trampoline_kernelINS0_14default_configENS1_21merge_config_selectorINS0_5tupleIJyyEEENS0_10empty_typeEEEZNS1_10merge_implIS3_NS0_12zip_iteratorINS5_IJN6thrust23THRUST_200600_302600_NS6detail15normal_iteratorINSC_10device_ptrIKyEEEESI_EEEEESK_NSA_INS5_IJNSC_16discard_iteratorINSC_11use_defaultEEESN_EEEEEPS7_SQ_SQ_NSC_11hip_rocprim7__merge17predicate_wrapperIyyNSC_4lessIyEEEEEE10hipError_tPvRmT0_T1_T2_T3_T4_T5_mmT6_P12ihipStream_tbEUlT_E_NS1_11comp_targetILNS1_3genE8ELNS1_11target_archE1030ELNS1_3gpuE2ELNS1_3repE0EEENS1_30default_config_static_selectorELNS0_4arch9wavefront6targetE0EEEvS11_, .Lfunc_end523-_ZN7rocprim17ROCPRIM_400000_NS6detail17trampoline_kernelINS0_14default_configENS1_21merge_config_selectorINS0_5tupleIJyyEEENS0_10empty_typeEEEZNS1_10merge_implIS3_NS0_12zip_iteratorINS5_IJN6thrust23THRUST_200600_302600_NS6detail15normal_iteratorINSC_10device_ptrIKyEEEESI_EEEEESK_NSA_INS5_IJNSC_16discard_iteratorINSC_11use_defaultEEESN_EEEEEPS7_SQ_SQ_NSC_11hip_rocprim7__merge17predicate_wrapperIyyNSC_4lessIyEEEEEE10hipError_tPvRmT0_T1_T2_T3_T4_T5_mmT6_P12ihipStream_tbEUlT_E_NS1_11comp_targetILNS1_3genE8ELNS1_11target_archE1030ELNS1_3gpuE2ELNS1_3repE0EEENS1_30default_config_static_selectorELNS0_4arch9wavefront6targetE0EEEvS11_
                                        ; -- End function
	.set _ZN7rocprim17ROCPRIM_400000_NS6detail17trampoline_kernelINS0_14default_configENS1_21merge_config_selectorINS0_5tupleIJyyEEENS0_10empty_typeEEEZNS1_10merge_implIS3_NS0_12zip_iteratorINS5_IJN6thrust23THRUST_200600_302600_NS6detail15normal_iteratorINSC_10device_ptrIKyEEEESI_EEEEESK_NSA_INS5_IJNSC_16discard_iteratorINSC_11use_defaultEEESN_EEEEEPS7_SQ_SQ_NSC_11hip_rocprim7__merge17predicate_wrapperIyyNSC_4lessIyEEEEEE10hipError_tPvRmT0_T1_T2_T3_T4_T5_mmT6_P12ihipStream_tbEUlT_E_NS1_11comp_targetILNS1_3genE8ELNS1_11target_archE1030ELNS1_3gpuE2ELNS1_3repE0EEENS1_30default_config_static_selectorELNS0_4arch9wavefront6targetE0EEEvS11_.num_vgpr, 14
	.set _ZN7rocprim17ROCPRIM_400000_NS6detail17trampoline_kernelINS0_14default_configENS1_21merge_config_selectorINS0_5tupleIJyyEEENS0_10empty_typeEEEZNS1_10merge_implIS3_NS0_12zip_iteratorINS5_IJN6thrust23THRUST_200600_302600_NS6detail15normal_iteratorINSC_10device_ptrIKyEEEESI_EEEEESK_NSA_INS5_IJNSC_16discard_iteratorINSC_11use_defaultEEESN_EEEEEPS7_SQ_SQ_NSC_11hip_rocprim7__merge17predicate_wrapperIyyNSC_4lessIyEEEEEE10hipError_tPvRmT0_T1_T2_T3_T4_T5_mmT6_P12ihipStream_tbEUlT_E_NS1_11comp_targetILNS1_3genE8ELNS1_11target_archE1030ELNS1_3gpuE2ELNS1_3repE0EEENS1_30default_config_static_selectorELNS0_4arch9wavefront6targetE0EEEvS11_.num_agpr, 0
	.set _ZN7rocprim17ROCPRIM_400000_NS6detail17trampoline_kernelINS0_14default_configENS1_21merge_config_selectorINS0_5tupleIJyyEEENS0_10empty_typeEEEZNS1_10merge_implIS3_NS0_12zip_iteratorINS5_IJN6thrust23THRUST_200600_302600_NS6detail15normal_iteratorINSC_10device_ptrIKyEEEESI_EEEEESK_NSA_INS5_IJNSC_16discard_iteratorINSC_11use_defaultEEESN_EEEEEPS7_SQ_SQ_NSC_11hip_rocprim7__merge17predicate_wrapperIyyNSC_4lessIyEEEEEE10hipError_tPvRmT0_T1_T2_T3_T4_T5_mmT6_P12ihipStream_tbEUlT_E_NS1_11comp_targetILNS1_3genE8ELNS1_11target_archE1030ELNS1_3gpuE2ELNS1_3repE0EEENS1_30default_config_static_selectorELNS0_4arch9wavefront6targetE0EEEvS11_.numbered_sgpr, 16
	.set _ZN7rocprim17ROCPRIM_400000_NS6detail17trampoline_kernelINS0_14default_configENS1_21merge_config_selectorINS0_5tupleIJyyEEENS0_10empty_typeEEEZNS1_10merge_implIS3_NS0_12zip_iteratorINS5_IJN6thrust23THRUST_200600_302600_NS6detail15normal_iteratorINSC_10device_ptrIKyEEEESI_EEEEESK_NSA_INS5_IJNSC_16discard_iteratorINSC_11use_defaultEEESN_EEEEEPS7_SQ_SQ_NSC_11hip_rocprim7__merge17predicate_wrapperIyyNSC_4lessIyEEEEEE10hipError_tPvRmT0_T1_T2_T3_T4_T5_mmT6_P12ihipStream_tbEUlT_E_NS1_11comp_targetILNS1_3genE8ELNS1_11target_archE1030ELNS1_3gpuE2ELNS1_3repE0EEENS1_30default_config_static_selectorELNS0_4arch9wavefront6targetE0EEEvS11_.num_named_barrier, 0
	.set _ZN7rocprim17ROCPRIM_400000_NS6detail17trampoline_kernelINS0_14default_configENS1_21merge_config_selectorINS0_5tupleIJyyEEENS0_10empty_typeEEEZNS1_10merge_implIS3_NS0_12zip_iteratorINS5_IJN6thrust23THRUST_200600_302600_NS6detail15normal_iteratorINSC_10device_ptrIKyEEEESI_EEEEESK_NSA_INS5_IJNSC_16discard_iteratorINSC_11use_defaultEEESN_EEEEEPS7_SQ_SQ_NSC_11hip_rocprim7__merge17predicate_wrapperIyyNSC_4lessIyEEEEEE10hipError_tPvRmT0_T1_T2_T3_T4_T5_mmT6_P12ihipStream_tbEUlT_E_NS1_11comp_targetILNS1_3genE8ELNS1_11target_archE1030ELNS1_3gpuE2ELNS1_3repE0EEENS1_30default_config_static_selectorELNS0_4arch9wavefront6targetE0EEEvS11_.private_seg_size, 0
	.set _ZN7rocprim17ROCPRIM_400000_NS6detail17trampoline_kernelINS0_14default_configENS1_21merge_config_selectorINS0_5tupleIJyyEEENS0_10empty_typeEEEZNS1_10merge_implIS3_NS0_12zip_iteratorINS5_IJN6thrust23THRUST_200600_302600_NS6detail15normal_iteratorINSC_10device_ptrIKyEEEESI_EEEEESK_NSA_INS5_IJNSC_16discard_iteratorINSC_11use_defaultEEESN_EEEEEPS7_SQ_SQ_NSC_11hip_rocprim7__merge17predicate_wrapperIyyNSC_4lessIyEEEEEE10hipError_tPvRmT0_T1_T2_T3_T4_T5_mmT6_P12ihipStream_tbEUlT_E_NS1_11comp_targetILNS1_3genE8ELNS1_11target_archE1030ELNS1_3gpuE2ELNS1_3repE0EEENS1_30default_config_static_selectorELNS0_4arch9wavefront6targetE0EEEvS11_.uses_vcc, 1
	.set _ZN7rocprim17ROCPRIM_400000_NS6detail17trampoline_kernelINS0_14default_configENS1_21merge_config_selectorINS0_5tupleIJyyEEENS0_10empty_typeEEEZNS1_10merge_implIS3_NS0_12zip_iteratorINS5_IJN6thrust23THRUST_200600_302600_NS6detail15normal_iteratorINSC_10device_ptrIKyEEEESI_EEEEESK_NSA_INS5_IJNSC_16discard_iteratorINSC_11use_defaultEEESN_EEEEEPS7_SQ_SQ_NSC_11hip_rocprim7__merge17predicate_wrapperIyyNSC_4lessIyEEEEEE10hipError_tPvRmT0_T1_T2_T3_T4_T5_mmT6_P12ihipStream_tbEUlT_E_NS1_11comp_targetILNS1_3genE8ELNS1_11target_archE1030ELNS1_3gpuE2ELNS1_3repE0EEENS1_30default_config_static_selectorELNS0_4arch9wavefront6targetE0EEEvS11_.uses_flat_scratch, 0
	.set _ZN7rocprim17ROCPRIM_400000_NS6detail17trampoline_kernelINS0_14default_configENS1_21merge_config_selectorINS0_5tupleIJyyEEENS0_10empty_typeEEEZNS1_10merge_implIS3_NS0_12zip_iteratorINS5_IJN6thrust23THRUST_200600_302600_NS6detail15normal_iteratorINSC_10device_ptrIKyEEEESI_EEEEESK_NSA_INS5_IJNSC_16discard_iteratorINSC_11use_defaultEEESN_EEEEEPS7_SQ_SQ_NSC_11hip_rocprim7__merge17predicate_wrapperIyyNSC_4lessIyEEEEEE10hipError_tPvRmT0_T1_T2_T3_T4_T5_mmT6_P12ihipStream_tbEUlT_E_NS1_11comp_targetILNS1_3genE8ELNS1_11target_archE1030ELNS1_3gpuE2ELNS1_3repE0EEENS1_30default_config_static_selectorELNS0_4arch9wavefront6targetE0EEEvS11_.has_dyn_sized_stack, 0
	.set _ZN7rocprim17ROCPRIM_400000_NS6detail17trampoline_kernelINS0_14default_configENS1_21merge_config_selectorINS0_5tupleIJyyEEENS0_10empty_typeEEEZNS1_10merge_implIS3_NS0_12zip_iteratorINS5_IJN6thrust23THRUST_200600_302600_NS6detail15normal_iteratorINSC_10device_ptrIKyEEEESI_EEEEESK_NSA_INS5_IJNSC_16discard_iteratorINSC_11use_defaultEEESN_EEEEEPS7_SQ_SQ_NSC_11hip_rocprim7__merge17predicate_wrapperIyyNSC_4lessIyEEEEEE10hipError_tPvRmT0_T1_T2_T3_T4_T5_mmT6_P12ihipStream_tbEUlT_E_NS1_11comp_targetILNS1_3genE8ELNS1_11target_archE1030ELNS1_3gpuE2ELNS1_3repE0EEENS1_30default_config_static_selectorELNS0_4arch9wavefront6targetE0EEEvS11_.has_recursion, 0
	.set _ZN7rocprim17ROCPRIM_400000_NS6detail17trampoline_kernelINS0_14default_configENS1_21merge_config_selectorINS0_5tupleIJyyEEENS0_10empty_typeEEEZNS1_10merge_implIS3_NS0_12zip_iteratorINS5_IJN6thrust23THRUST_200600_302600_NS6detail15normal_iteratorINSC_10device_ptrIKyEEEESI_EEEEESK_NSA_INS5_IJNSC_16discard_iteratorINSC_11use_defaultEEESN_EEEEEPS7_SQ_SQ_NSC_11hip_rocprim7__merge17predicate_wrapperIyyNSC_4lessIyEEEEEE10hipError_tPvRmT0_T1_T2_T3_T4_T5_mmT6_P12ihipStream_tbEUlT_E_NS1_11comp_targetILNS1_3genE8ELNS1_11target_archE1030ELNS1_3gpuE2ELNS1_3repE0EEENS1_30default_config_static_selectorELNS0_4arch9wavefront6targetE0EEEvS11_.has_indirect_call, 0
	.section	.AMDGPU.csdata,"",@progbits
; Kernel info:
; codeLenInByte = 540
; TotalNumSgprs: 18
; NumVgprs: 14
; ScratchSize: 0
; MemoryBound: 0
; FloatMode: 240
; IeeeMode: 1
; LDSByteSize: 0 bytes/workgroup (compile time only)
; SGPRBlocks: 0
; VGPRBlocks: 1
; NumSGPRsForWavesPerEU: 18
; NumVGPRsForWavesPerEU: 14
; Occupancy: 16
; WaveLimiterHint : 0
; COMPUTE_PGM_RSRC2:SCRATCH_EN: 0
; COMPUTE_PGM_RSRC2:USER_SGPR: 6
; COMPUTE_PGM_RSRC2:TRAP_HANDLER: 0
; COMPUTE_PGM_RSRC2:TGID_X_EN: 1
; COMPUTE_PGM_RSRC2:TGID_Y_EN: 0
; COMPUTE_PGM_RSRC2:TGID_Z_EN: 0
; COMPUTE_PGM_RSRC2:TIDIG_COMP_CNT: 0
	.section	.text._ZN7rocprim17ROCPRIM_400000_NS6detail17trampoline_kernelINS0_14default_configENS1_21merge_config_selectorINS0_5tupleIJyyEEENS0_10empty_typeEEEZNS1_10merge_implIS3_NS0_12zip_iteratorINS5_IJN6thrust23THRUST_200600_302600_NS6detail15normal_iteratorINSC_10device_ptrIKyEEEESI_EEEEESK_NSA_INS5_IJNSC_16discard_iteratorINSC_11use_defaultEEESN_EEEEEPS7_SQ_SQ_NSC_11hip_rocprim7__merge17predicate_wrapperIyyNSC_4lessIyEEEEEE10hipError_tPvRmT0_T1_T2_T3_T4_T5_mmT6_P12ihipStream_tbEUlT_E0_NS1_11comp_targetILNS1_3genE0ELNS1_11target_archE4294967295ELNS1_3gpuE0ELNS1_3repE0EEENS1_30default_config_static_selectorELNS0_4arch9wavefront6targetE0EEEvS11_,"axG",@progbits,_ZN7rocprim17ROCPRIM_400000_NS6detail17trampoline_kernelINS0_14default_configENS1_21merge_config_selectorINS0_5tupleIJyyEEENS0_10empty_typeEEEZNS1_10merge_implIS3_NS0_12zip_iteratorINS5_IJN6thrust23THRUST_200600_302600_NS6detail15normal_iteratorINSC_10device_ptrIKyEEEESI_EEEEESK_NSA_INS5_IJNSC_16discard_iteratorINSC_11use_defaultEEESN_EEEEEPS7_SQ_SQ_NSC_11hip_rocprim7__merge17predicate_wrapperIyyNSC_4lessIyEEEEEE10hipError_tPvRmT0_T1_T2_T3_T4_T5_mmT6_P12ihipStream_tbEUlT_E0_NS1_11comp_targetILNS1_3genE0ELNS1_11target_archE4294967295ELNS1_3gpuE0ELNS1_3repE0EEENS1_30default_config_static_selectorELNS0_4arch9wavefront6targetE0EEEvS11_,comdat
	.protected	_ZN7rocprim17ROCPRIM_400000_NS6detail17trampoline_kernelINS0_14default_configENS1_21merge_config_selectorINS0_5tupleIJyyEEENS0_10empty_typeEEEZNS1_10merge_implIS3_NS0_12zip_iteratorINS5_IJN6thrust23THRUST_200600_302600_NS6detail15normal_iteratorINSC_10device_ptrIKyEEEESI_EEEEESK_NSA_INS5_IJNSC_16discard_iteratorINSC_11use_defaultEEESN_EEEEEPS7_SQ_SQ_NSC_11hip_rocprim7__merge17predicate_wrapperIyyNSC_4lessIyEEEEEE10hipError_tPvRmT0_T1_T2_T3_T4_T5_mmT6_P12ihipStream_tbEUlT_E0_NS1_11comp_targetILNS1_3genE0ELNS1_11target_archE4294967295ELNS1_3gpuE0ELNS1_3repE0EEENS1_30default_config_static_selectorELNS0_4arch9wavefront6targetE0EEEvS11_ ; -- Begin function _ZN7rocprim17ROCPRIM_400000_NS6detail17trampoline_kernelINS0_14default_configENS1_21merge_config_selectorINS0_5tupleIJyyEEENS0_10empty_typeEEEZNS1_10merge_implIS3_NS0_12zip_iteratorINS5_IJN6thrust23THRUST_200600_302600_NS6detail15normal_iteratorINSC_10device_ptrIKyEEEESI_EEEEESK_NSA_INS5_IJNSC_16discard_iteratorINSC_11use_defaultEEESN_EEEEEPS7_SQ_SQ_NSC_11hip_rocprim7__merge17predicate_wrapperIyyNSC_4lessIyEEEEEE10hipError_tPvRmT0_T1_T2_T3_T4_T5_mmT6_P12ihipStream_tbEUlT_E0_NS1_11comp_targetILNS1_3genE0ELNS1_11target_archE4294967295ELNS1_3gpuE0ELNS1_3repE0EEENS1_30default_config_static_selectorELNS0_4arch9wavefront6targetE0EEEvS11_
	.globl	_ZN7rocprim17ROCPRIM_400000_NS6detail17trampoline_kernelINS0_14default_configENS1_21merge_config_selectorINS0_5tupleIJyyEEENS0_10empty_typeEEEZNS1_10merge_implIS3_NS0_12zip_iteratorINS5_IJN6thrust23THRUST_200600_302600_NS6detail15normal_iteratorINSC_10device_ptrIKyEEEESI_EEEEESK_NSA_INS5_IJNSC_16discard_iteratorINSC_11use_defaultEEESN_EEEEEPS7_SQ_SQ_NSC_11hip_rocprim7__merge17predicate_wrapperIyyNSC_4lessIyEEEEEE10hipError_tPvRmT0_T1_T2_T3_T4_T5_mmT6_P12ihipStream_tbEUlT_E0_NS1_11comp_targetILNS1_3genE0ELNS1_11target_archE4294967295ELNS1_3gpuE0ELNS1_3repE0EEENS1_30default_config_static_selectorELNS0_4arch9wavefront6targetE0EEEvS11_
	.p2align	8
	.type	_ZN7rocprim17ROCPRIM_400000_NS6detail17trampoline_kernelINS0_14default_configENS1_21merge_config_selectorINS0_5tupleIJyyEEENS0_10empty_typeEEEZNS1_10merge_implIS3_NS0_12zip_iteratorINS5_IJN6thrust23THRUST_200600_302600_NS6detail15normal_iteratorINSC_10device_ptrIKyEEEESI_EEEEESK_NSA_INS5_IJNSC_16discard_iteratorINSC_11use_defaultEEESN_EEEEEPS7_SQ_SQ_NSC_11hip_rocprim7__merge17predicate_wrapperIyyNSC_4lessIyEEEEEE10hipError_tPvRmT0_T1_T2_T3_T4_T5_mmT6_P12ihipStream_tbEUlT_E0_NS1_11comp_targetILNS1_3genE0ELNS1_11target_archE4294967295ELNS1_3gpuE0ELNS1_3repE0EEENS1_30default_config_static_selectorELNS0_4arch9wavefront6targetE0EEEvS11_,@function
_ZN7rocprim17ROCPRIM_400000_NS6detail17trampoline_kernelINS0_14default_configENS1_21merge_config_selectorINS0_5tupleIJyyEEENS0_10empty_typeEEEZNS1_10merge_implIS3_NS0_12zip_iteratorINS5_IJN6thrust23THRUST_200600_302600_NS6detail15normal_iteratorINSC_10device_ptrIKyEEEESI_EEEEESK_NSA_INS5_IJNSC_16discard_iteratorINSC_11use_defaultEEESN_EEEEEPS7_SQ_SQ_NSC_11hip_rocprim7__merge17predicate_wrapperIyyNSC_4lessIyEEEEEE10hipError_tPvRmT0_T1_T2_T3_T4_T5_mmT6_P12ihipStream_tbEUlT_E0_NS1_11comp_targetILNS1_3genE0ELNS1_11target_archE4294967295ELNS1_3gpuE0ELNS1_3repE0EEENS1_30default_config_static_selectorELNS0_4arch9wavefront6targetE0EEEvS11_: ; @_ZN7rocprim17ROCPRIM_400000_NS6detail17trampoline_kernelINS0_14default_configENS1_21merge_config_selectorINS0_5tupleIJyyEEENS0_10empty_typeEEEZNS1_10merge_implIS3_NS0_12zip_iteratorINS5_IJN6thrust23THRUST_200600_302600_NS6detail15normal_iteratorINSC_10device_ptrIKyEEEESI_EEEEESK_NSA_INS5_IJNSC_16discard_iteratorINSC_11use_defaultEEESN_EEEEEPS7_SQ_SQ_NSC_11hip_rocprim7__merge17predicate_wrapperIyyNSC_4lessIyEEEEEE10hipError_tPvRmT0_T1_T2_T3_T4_T5_mmT6_P12ihipStream_tbEUlT_E0_NS1_11comp_targetILNS1_3genE0ELNS1_11target_archE4294967295ELNS1_3gpuE0ELNS1_3repE0EEENS1_30default_config_static_selectorELNS0_4arch9wavefront6targetE0EEEvS11_
; %bb.0:
	.section	.rodata,"a",@progbits
	.p2align	6, 0x0
	.amdhsa_kernel _ZN7rocprim17ROCPRIM_400000_NS6detail17trampoline_kernelINS0_14default_configENS1_21merge_config_selectorINS0_5tupleIJyyEEENS0_10empty_typeEEEZNS1_10merge_implIS3_NS0_12zip_iteratorINS5_IJN6thrust23THRUST_200600_302600_NS6detail15normal_iteratorINSC_10device_ptrIKyEEEESI_EEEEESK_NSA_INS5_IJNSC_16discard_iteratorINSC_11use_defaultEEESN_EEEEEPS7_SQ_SQ_NSC_11hip_rocprim7__merge17predicate_wrapperIyyNSC_4lessIyEEEEEE10hipError_tPvRmT0_T1_T2_T3_T4_T5_mmT6_P12ihipStream_tbEUlT_E0_NS1_11comp_targetILNS1_3genE0ELNS1_11target_archE4294967295ELNS1_3gpuE0ELNS1_3repE0EEENS1_30default_config_static_selectorELNS0_4arch9wavefront6targetE0EEEvS11_
		.amdhsa_group_segment_fixed_size 0
		.amdhsa_private_segment_fixed_size 0
		.amdhsa_kernarg_size 128
		.amdhsa_user_sgpr_count 6
		.amdhsa_user_sgpr_private_segment_buffer 1
		.amdhsa_user_sgpr_dispatch_ptr 0
		.amdhsa_user_sgpr_queue_ptr 0
		.amdhsa_user_sgpr_kernarg_segment_ptr 1
		.amdhsa_user_sgpr_dispatch_id 0
		.amdhsa_user_sgpr_flat_scratch_init 0
		.amdhsa_user_sgpr_private_segment_size 0
		.amdhsa_wavefront_size32 1
		.amdhsa_uses_dynamic_stack 0
		.amdhsa_system_sgpr_private_segment_wavefront_offset 0
		.amdhsa_system_sgpr_workgroup_id_x 1
		.amdhsa_system_sgpr_workgroup_id_y 0
		.amdhsa_system_sgpr_workgroup_id_z 0
		.amdhsa_system_sgpr_workgroup_info 0
		.amdhsa_system_vgpr_workitem_id 0
		.amdhsa_next_free_vgpr 1
		.amdhsa_next_free_sgpr 1
		.amdhsa_reserve_vcc 0
		.amdhsa_reserve_flat_scratch 0
		.amdhsa_float_round_mode_32 0
		.amdhsa_float_round_mode_16_64 0
		.amdhsa_float_denorm_mode_32 3
		.amdhsa_float_denorm_mode_16_64 3
		.amdhsa_dx10_clamp 1
		.amdhsa_ieee_mode 1
		.amdhsa_fp16_overflow 0
		.amdhsa_workgroup_processor_mode 1
		.amdhsa_memory_ordered 1
		.amdhsa_forward_progress 1
		.amdhsa_shared_vgpr_count 0
		.amdhsa_exception_fp_ieee_invalid_op 0
		.amdhsa_exception_fp_denorm_src 0
		.amdhsa_exception_fp_ieee_div_zero 0
		.amdhsa_exception_fp_ieee_overflow 0
		.amdhsa_exception_fp_ieee_underflow 0
		.amdhsa_exception_fp_ieee_inexact 0
		.amdhsa_exception_int_div_zero 0
	.end_amdhsa_kernel
	.section	.text._ZN7rocprim17ROCPRIM_400000_NS6detail17trampoline_kernelINS0_14default_configENS1_21merge_config_selectorINS0_5tupleIJyyEEENS0_10empty_typeEEEZNS1_10merge_implIS3_NS0_12zip_iteratorINS5_IJN6thrust23THRUST_200600_302600_NS6detail15normal_iteratorINSC_10device_ptrIKyEEEESI_EEEEESK_NSA_INS5_IJNSC_16discard_iteratorINSC_11use_defaultEEESN_EEEEEPS7_SQ_SQ_NSC_11hip_rocprim7__merge17predicate_wrapperIyyNSC_4lessIyEEEEEE10hipError_tPvRmT0_T1_T2_T3_T4_T5_mmT6_P12ihipStream_tbEUlT_E0_NS1_11comp_targetILNS1_3genE0ELNS1_11target_archE4294967295ELNS1_3gpuE0ELNS1_3repE0EEENS1_30default_config_static_selectorELNS0_4arch9wavefront6targetE0EEEvS11_,"axG",@progbits,_ZN7rocprim17ROCPRIM_400000_NS6detail17trampoline_kernelINS0_14default_configENS1_21merge_config_selectorINS0_5tupleIJyyEEENS0_10empty_typeEEEZNS1_10merge_implIS3_NS0_12zip_iteratorINS5_IJN6thrust23THRUST_200600_302600_NS6detail15normal_iteratorINSC_10device_ptrIKyEEEESI_EEEEESK_NSA_INS5_IJNSC_16discard_iteratorINSC_11use_defaultEEESN_EEEEEPS7_SQ_SQ_NSC_11hip_rocprim7__merge17predicate_wrapperIyyNSC_4lessIyEEEEEE10hipError_tPvRmT0_T1_T2_T3_T4_T5_mmT6_P12ihipStream_tbEUlT_E0_NS1_11comp_targetILNS1_3genE0ELNS1_11target_archE4294967295ELNS1_3gpuE0ELNS1_3repE0EEENS1_30default_config_static_selectorELNS0_4arch9wavefront6targetE0EEEvS11_,comdat
.Lfunc_end524:
	.size	_ZN7rocprim17ROCPRIM_400000_NS6detail17trampoline_kernelINS0_14default_configENS1_21merge_config_selectorINS0_5tupleIJyyEEENS0_10empty_typeEEEZNS1_10merge_implIS3_NS0_12zip_iteratorINS5_IJN6thrust23THRUST_200600_302600_NS6detail15normal_iteratorINSC_10device_ptrIKyEEEESI_EEEEESK_NSA_INS5_IJNSC_16discard_iteratorINSC_11use_defaultEEESN_EEEEEPS7_SQ_SQ_NSC_11hip_rocprim7__merge17predicate_wrapperIyyNSC_4lessIyEEEEEE10hipError_tPvRmT0_T1_T2_T3_T4_T5_mmT6_P12ihipStream_tbEUlT_E0_NS1_11comp_targetILNS1_3genE0ELNS1_11target_archE4294967295ELNS1_3gpuE0ELNS1_3repE0EEENS1_30default_config_static_selectorELNS0_4arch9wavefront6targetE0EEEvS11_, .Lfunc_end524-_ZN7rocprim17ROCPRIM_400000_NS6detail17trampoline_kernelINS0_14default_configENS1_21merge_config_selectorINS0_5tupleIJyyEEENS0_10empty_typeEEEZNS1_10merge_implIS3_NS0_12zip_iteratorINS5_IJN6thrust23THRUST_200600_302600_NS6detail15normal_iteratorINSC_10device_ptrIKyEEEESI_EEEEESK_NSA_INS5_IJNSC_16discard_iteratorINSC_11use_defaultEEESN_EEEEEPS7_SQ_SQ_NSC_11hip_rocprim7__merge17predicate_wrapperIyyNSC_4lessIyEEEEEE10hipError_tPvRmT0_T1_T2_T3_T4_T5_mmT6_P12ihipStream_tbEUlT_E0_NS1_11comp_targetILNS1_3genE0ELNS1_11target_archE4294967295ELNS1_3gpuE0ELNS1_3repE0EEENS1_30default_config_static_selectorELNS0_4arch9wavefront6targetE0EEEvS11_
                                        ; -- End function
	.set _ZN7rocprim17ROCPRIM_400000_NS6detail17trampoline_kernelINS0_14default_configENS1_21merge_config_selectorINS0_5tupleIJyyEEENS0_10empty_typeEEEZNS1_10merge_implIS3_NS0_12zip_iteratorINS5_IJN6thrust23THRUST_200600_302600_NS6detail15normal_iteratorINSC_10device_ptrIKyEEEESI_EEEEESK_NSA_INS5_IJNSC_16discard_iteratorINSC_11use_defaultEEESN_EEEEEPS7_SQ_SQ_NSC_11hip_rocprim7__merge17predicate_wrapperIyyNSC_4lessIyEEEEEE10hipError_tPvRmT0_T1_T2_T3_T4_T5_mmT6_P12ihipStream_tbEUlT_E0_NS1_11comp_targetILNS1_3genE0ELNS1_11target_archE4294967295ELNS1_3gpuE0ELNS1_3repE0EEENS1_30default_config_static_selectorELNS0_4arch9wavefront6targetE0EEEvS11_.num_vgpr, 0
	.set _ZN7rocprim17ROCPRIM_400000_NS6detail17trampoline_kernelINS0_14default_configENS1_21merge_config_selectorINS0_5tupleIJyyEEENS0_10empty_typeEEEZNS1_10merge_implIS3_NS0_12zip_iteratorINS5_IJN6thrust23THRUST_200600_302600_NS6detail15normal_iteratorINSC_10device_ptrIKyEEEESI_EEEEESK_NSA_INS5_IJNSC_16discard_iteratorINSC_11use_defaultEEESN_EEEEEPS7_SQ_SQ_NSC_11hip_rocprim7__merge17predicate_wrapperIyyNSC_4lessIyEEEEEE10hipError_tPvRmT0_T1_T2_T3_T4_T5_mmT6_P12ihipStream_tbEUlT_E0_NS1_11comp_targetILNS1_3genE0ELNS1_11target_archE4294967295ELNS1_3gpuE0ELNS1_3repE0EEENS1_30default_config_static_selectorELNS0_4arch9wavefront6targetE0EEEvS11_.num_agpr, 0
	.set _ZN7rocprim17ROCPRIM_400000_NS6detail17trampoline_kernelINS0_14default_configENS1_21merge_config_selectorINS0_5tupleIJyyEEENS0_10empty_typeEEEZNS1_10merge_implIS3_NS0_12zip_iteratorINS5_IJN6thrust23THRUST_200600_302600_NS6detail15normal_iteratorINSC_10device_ptrIKyEEEESI_EEEEESK_NSA_INS5_IJNSC_16discard_iteratorINSC_11use_defaultEEESN_EEEEEPS7_SQ_SQ_NSC_11hip_rocprim7__merge17predicate_wrapperIyyNSC_4lessIyEEEEEE10hipError_tPvRmT0_T1_T2_T3_T4_T5_mmT6_P12ihipStream_tbEUlT_E0_NS1_11comp_targetILNS1_3genE0ELNS1_11target_archE4294967295ELNS1_3gpuE0ELNS1_3repE0EEENS1_30default_config_static_selectorELNS0_4arch9wavefront6targetE0EEEvS11_.numbered_sgpr, 0
	.set _ZN7rocprim17ROCPRIM_400000_NS6detail17trampoline_kernelINS0_14default_configENS1_21merge_config_selectorINS0_5tupleIJyyEEENS0_10empty_typeEEEZNS1_10merge_implIS3_NS0_12zip_iteratorINS5_IJN6thrust23THRUST_200600_302600_NS6detail15normal_iteratorINSC_10device_ptrIKyEEEESI_EEEEESK_NSA_INS5_IJNSC_16discard_iteratorINSC_11use_defaultEEESN_EEEEEPS7_SQ_SQ_NSC_11hip_rocprim7__merge17predicate_wrapperIyyNSC_4lessIyEEEEEE10hipError_tPvRmT0_T1_T2_T3_T4_T5_mmT6_P12ihipStream_tbEUlT_E0_NS1_11comp_targetILNS1_3genE0ELNS1_11target_archE4294967295ELNS1_3gpuE0ELNS1_3repE0EEENS1_30default_config_static_selectorELNS0_4arch9wavefront6targetE0EEEvS11_.num_named_barrier, 0
	.set _ZN7rocprim17ROCPRIM_400000_NS6detail17trampoline_kernelINS0_14default_configENS1_21merge_config_selectorINS0_5tupleIJyyEEENS0_10empty_typeEEEZNS1_10merge_implIS3_NS0_12zip_iteratorINS5_IJN6thrust23THRUST_200600_302600_NS6detail15normal_iteratorINSC_10device_ptrIKyEEEESI_EEEEESK_NSA_INS5_IJNSC_16discard_iteratorINSC_11use_defaultEEESN_EEEEEPS7_SQ_SQ_NSC_11hip_rocprim7__merge17predicate_wrapperIyyNSC_4lessIyEEEEEE10hipError_tPvRmT0_T1_T2_T3_T4_T5_mmT6_P12ihipStream_tbEUlT_E0_NS1_11comp_targetILNS1_3genE0ELNS1_11target_archE4294967295ELNS1_3gpuE0ELNS1_3repE0EEENS1_30default_config_static_selectorELNS0_4arch9wavefront6targetE0EEEvS11_.private_seg_size, 0
	.set _ZN7rocprim17ROCPRIM_400000_NS6detail17trampoline_kernelINS0_14default_configENS1_21merge_config_selectorINS0_5tupleIJyyEEENS0_10empty_typeEEEZNS1_10merge_implIS3_NS0_12zip_iteratorINS5_IJN6thrust23THRUST_200600_302600_NS6detail15normal_iteratorINSC_10device_ptrIKyEEEESI_EEEEESK_NSA_INS5_IJNSC_16discard_iteratorINSC_11use_defaultEEESN_EEEEEPS7_SQ_SQ_NSC_11hip_rocprim7__merge17predicate_wrapperIyyNSC_4lessIyEEEEEE10hipError_tPvRmT0_T1_T2_T3_T4_T5_mmT6_P12ihipStream_tbEUlT_E0_NS1_11comp_targetILNS1_3genE0ELNS1_11target_archE4294967295ELNS1_3gpuE0ELNS1_3repE0EEENS1_30default_config_static_selectorELNS0_4arch9wavefront6targetE0EEEvS11_.uses_vcc, 0
	.set _ZN7rocprim17ROCPRIM_400000_NS6detail17trampoline_kernelINS0_14default_configENS1_21merge_config_selectorINS0_5tupleIJyyEEENS0_10empty_typeEEEZNS1_10merge_implIS3_NS0_12zip_iteratorINS5_IJN6thrust23THRUST_200600_302600_NS6detail15normal_iteratorINSC_10device_ptrIKyEEEESI_EEEEESK_NSA_INS5_IJNSC_16discard_iteratorINSC_11use_defaultEEESN_EEEEEPS7_SQ_SQ_NSC_11hip_rocprim7__merge17predicate_wrapperIyyNSC_4lessIyEEEEEE10hipError_tPvRmT0_T1_T2_T3_T4_T5_mmT6_P12ihipStream_tbEUlT_E0_NS1_11comp_targetILNS1_3genE0ELNS1_11target_archE4294967295ELNS1_3gpuE0ELNS1_3repE0EEENS1_30default_config_static_selectorELNS0_4arch9wavefront6targetE0EEEvS11_.uses_flat_scratch, 0
	.set _ZN7rocprim17ROCPRIM_400000_NS6detail17trampoline_kernelINS0_14default_configENS1_21merge_config_selectorINS0_5tupleIJyyEEENS0_10empty_typeEEEZNS1_10merge_implIS3_NS0_12zip_iteratorINS5_IJN6thrust23THRUST_200600_302600_NS6detail15normal_iteratorINSC_10device_ptrIKyEEEESI_EEEEESK_NSA_INS5_IJNSC_16discard_iteratorINSC_11use_defaultEEESN_EEEEEPS7_SQ_SQ_NSC_11hip_rocprim7__merge17predicate_wrapperIyyNSC_4lessIyEEEEEE10hipError_tPvRmT0_T1_T2_T3_T4_T5_mmT6_P12ihipStream_tbEUlT_E0_NS1_11comp_targetILNS1_3genE0ELNS1_11target_archE4294967295ELNS1_3gpuE0ELNS1_3repE0EEENS1_30default_config_static_selectorELNS0_4arch9wavefront6targetE0EEEvS11_.has_dyn_sized_stack, 0
	.set _ZN7rocprim17ROCPRIM_400000_NS6detail17trampoline_kernelINS0_14default_configENS1_21merge_config_selectorINS0_5tupleIJyyEEENS0_10empty_typeEEEZNS1_10merge_implIS3_NS0_12zip_iteratorINS5_IJN6thrust23THRUST_200600_302600_NS6detail15normal_iteratorINSC_10device_ptrIKyEEEESI_EEEEESK_NSA_INS5_IJNSC_16discard_iteratorINSC_11use_defaultEEESN_EEEEEPS7_SQ_SQ_NSC_11hip_rocprim7__merge17predicate_wrapperIyyNSC_4lessIyEEEEEE10hipError_tPvRmT0_T1_T2_T3_T4_T5_mmT6_P12ihipStream_tbEUlT_E0_NS1_11comp_targetILNS1_3genE0ELNS1_11target_archE4294967295ELNS1_3gpuE0ELNS1_3repE0EEENS1_30default_config_static_selectorELNS0_4arch9wavefront6targetE0EEEvS11_.has_recursion, 0
	.set _ZN7rocprim17ROCPRIM_400000_NS6detail17trampoline_kernelINS0_14default_configENS1_21merge_config_selectorINS0_5tupleIJyyEEENS0_10empty_typeEEEZNS1_10merge_implIS3_NS0_12zip_iteratorINS5_IJN6thrust23THRUST_200600_302600_NS6detail15normal_iteratorINSC_10device_ptrIKyEEEESI_EEEEESK_NSA_INS5_IJNSC_16discard_iteratorINSC_11use_defaultEEESN_EEEEEPS7_SQ_SQ_NSC_11hip_rocprim7__merge17predicate_wrapperIyyNSC_4lessIyEEEEEE10hipError_tPvRmT0_T1_T2_T3_T4_T5_mmT6_P12ihipStream_tbEUlT_E0_NS1_11comp_targetILNS1_3genE0ELNS1_11target_archE4294967295ELNS1_3gpuE0ELNS1_3repE0EEENS1_30default_config_static_selectorELNS0_4arch9wavefront6targetE0EEEvS11_.has_indirect_call, 0
	.section	.AMDGPU.csdata,"",@progbits
; Kernel info:
; codeLenInByte = 0
; TotalNumSgprs: 0
; NumVgprs: 0
; ScratchSize: 0
; MemoryBound: 0
; FloatMode: 240
; IeeeMode: 1
; LDSByteSize: 0 bytes/workgroup (compile time only)
; SGPRBlocks: 0
; VGPRBlocks: 0
; NumSGPRsForWavesPerEU: 1
; NumVGPRsForWavesPerEU: 1
; Occupancy: 16
; WaveLimiterHint : 0
; COMPUTE_PGM_RSRC2:SCRATCH_EN: 0
; COMPUTE_PGM_RSRC2:USER_SGPR: 6
; COMPUTE_PGM_RSRC2:TRAP_HANDLER: 0
; COMPUTE_PGM_RSRC2:TGID_X_EN: 1
; COMPUTE_PGM_RSRC2:TGID_Y_EN: 0
; COMPUTE_PGM_RSRC2:TGID_Z_EN: 0
; COMPUTE_PGM_RSRC2:TIDIG_COMP_CNT: 0
	.section	.text._ZN7rocprim17ROCPRIM_400000_NS6detail17trampoline_kernelINS0_14default_configENS1_21merge_config_selectorINS0_5tupleIJyyEEENS0_10empty_typeEEEZNS1_10merge_implIS3_NS0_12zip_iteratorINS5_IJN6thrust23THRUST_200600_302600_NS6detail15normal_iteratorINSC_10device_ptrIKyEEEESI_EEEEESK_NSA_INS5_IJNSC_16discard_iteratorINSC_11use_defaultEEESN_EEEEEPS7_SQ_SQ_NSC_11hip_rocprim7__merge17predicate_wrapperIyyNSC_4lessIyEEEEEE10hipError_tPvRmT0_T1_T2_T3_T4_T5_mmT6_P12ihipStream_tbEUlT_E0_NS1_11comp_targetILNS1_3genE5ELNS1_11target_archE942ELNS1_3gpuE9ELNS1_3repE0EEENS1_30default_config_static_selectorELNS0_4arch9wavefront6targetE0EEEvS11_,"axG",@progbits,_ZN7rocprim17ROCPRIM_400000_NS6detail17trampoline_kernelINS0_14default_configENS1_21merge_config_selectorINS0_5tupleIJyyEEENS0_10empty_typeEEEZNS1_10merge_implIS3_NS0_12zip_iteratorINS5_IJN6thrust23THRUST_200600_302600_NS6detail15normal_iteratorINSC_10device_ptrIKyEEEESI_EEEEESK_NSA_INS5_IJNSC_16discard_iteratorINSC_11use_defaultEEESN_EEEEEPS7_SQ_SQ_NSC_11hip_rocprim7__merge17predicate_wrapperIyyNSC_4lessIyEEEEEE10hipError_tPvRmT0_T1_T2_T3_T4_T5_mmT6_P12ihipStream_tbEUlT_E0_NS1_11comp_targetILNS1_3genE5ELNS1_11target_archE942ELNS1_3gpuE9ELNS1_3repE0EEENS1_30default_config_static_selectorELNS0_4arch9wavefront6targetE0EEEvS11_,comdat
	.protected	_ZN7rocprim17ROCPRIM_400000_NS6detail17trampoline_kernelINS0_14default_configENS1_21merge_config_selectorINS0_5tupleIJyyEEENS0_10empty_typeEEEZNS1_10merge_implIS3_NS0_12zip_iteratorINS5_IJN6thrust23THRUST_200600_302600_NS6detail15normal_iteratorINSC_10device_ptrIKyEEEESI_EEEEESK_NSA_INS5_IJNSC_16discard_iteratorINSC_11use_defaultEEESN_EEEEEPS7_SQ_SQ_NSC_11hip_rocprim7__merge17predicate_wrapperIyyNSC_4lessIyEEEEEE10hipError_tPvRmT0_T1_T2_T3_T4_T5_mmT6_P12ihipStream_tbEUlT_E0_NS1_11comp_targetILNS1_3genE5ELNS1_11target_archE942ELNS1_3gpuE9ELNS1_3repE0EEENS1_30default_config_static_selectorELNS0_4arch9wavefront6targetE0EEEvS11_ ; -- Begin function _ZN7rocprim17ROCPRIM_400000_NS6detail17trampoline_kernelINS0_14default_configENS1_21merge_config_selectorINS0_5tupleIJyyEEENS0_10empty_typeEEEZNS1_10merge_implIS3_NS0_12zip_iteratorINS5_IJN6thrust23THRUST_200600_302600_NS6detail15normal_iteratorINSC_10device_ptrIKyEEEESI_EEEEESK_NSA_INS5_IJNSC_16discard_iteratorINSC_11use_defaultEEESN_EEEEEPS7_SQ_SQ_NSC_11hip_rocprim7__merge17predicate_wrapperIyyNSC_4lessIyEEEEEE10hipError_tPvRmT0_T1_T2_T3_T4_T5_mmT6_P12ihipStream_tbEUlT_E0_NS1_11comp_targetILNS1_3genE5ELNS1_11target_archE942ELNS1_3gpuE9ELNS1_3repE0EEENS1_30default_config_static_selectorELNS0_4arch9wavefront6targetE0EEEvS11_
	.globl	_ZN7rocprim17ROCPRIM_400000_NS6detail17trampoline_kernelINS0_14default_configENS1_21merge_config_selectorINS0_5tupleIJyyEEENS0_10empty_typeEEEZNS1_10merge_implIS3_NS0_12zip_iteratorINS5_IJN6thrust23THRUST_200600_302600_NS6detail15normal_iteratorINSC_10device_ptrIKyEEEESI_EEEEESK_NSA_INS5_IJNSC_16discard_iteratorINSC_11use_defaultEEESN_EEEEEPS7_SQ_SQ_NSC_11hip_rocprim7__merge17predicate_wrapperIyyNSC_4lessIyEEEEEE10hipError_tPvRmT0_T1_T2_T3_T4_T5_mmT6_P12ihipStream_tbEUlT_E0_NS1_11comp_targetILNS1_3genE5ELNS1_11target_archE942ELNS1_3gpuE9ELNS1_3repE0EEENS1_30default_config_static_selectorELNS0_4arch9wavefront6targetE0EEEvS11_
	.p2align	8
	.type	_ZN7rocprim17ROCPRIM_400000_NS6detail17trampoline_kernelINS0_14default_configENS1_21merge_config_selectorINS0_5tupleIJyyEEENS0_10empty_typeEEEZNS1_10merge_implIS3_NS0_12zip_iteratorINS5_IJN6thrust23THRUST_200600_302600_NS6detail15normal_iteratorINSC_10device_ptrIKyEEEESI_EEEEESK_NSA_INS5_IJNSC_16discard_iteratorINSC_11use_defaultEEESN_EEEEEPS7_SQ_SQ_NSC_11hip_rocprim7__merge17predicate_wrapperIyyNSC_4lessIyEEEEEE10hipError_tPvRmT0_T1_T2_T3_T4_T5_mmT6_P12ihipStream_tbEUlT_E0_NS1_11comp_targetILNS1_3genE5ELNS1_11target_archE942ELNS1_3gpuE9ELNS1_3repE0EEENS1_30default_config_static_selectorELNS0_4arch9wavefront6targetE0EEEvS11_,@function
_ZN7rocprim17ROCPRIM_400000_NS6detail17trampoline_kernelINS0_14default_configENS1_21merge_config_selectorINS0_5tupleIJyyEEENS0_10empty_typeEEEZNS1_10merge_implIS3_NS0_12zip_iteratorINS5_IJN6thrust23THRUST_200600_302600_NS6detail15normal_iteratorINSC_10device_ptrIKyEEEESI_EEEEESK_NSA_INS5_IJNSC_16discard_iteratorINSC_11use_defaultEEESN_EEEEEPS7_SQ_SQ_NSC_11hip_rocprim7__merge17predicate_wrapperIyyNSC_4lessIyEEEEEE10hipError_tPvRmT0_T1_T2_T3_T4_T5_mmT6_P12ihipStream_tbEUlT_E0_NS1_11comp_targetILNS1_3genE5ELNS1_11target_archE942ELNS1_3gpuE9ELNS1_3repE0EEENS1_30default_config_static_selectorELNS0_4arch9wavefront6targetE0EEEvS11_: ; @_ZN7rocprim17ROCPRIM_400000_NS6detail17trampoline_kernelINS0_14default_configENS1_21merge_config_selectorINS0_5tupleIJyyEEENS0_10empty_typeEEEZNS1_10merge_implIS3_NS0_12zip_iteratorINS5_IJN6thrust23THRUST_200600_302600_NS6detail15normal_iteratorINSC_10device_ptrIKyEEEESI_EEEEESK_NSA_INS5_IJNSC_16discard_iteratorINSC_11use_defaultEEESN_EEEEEPS7_SQ_SQ_NSC_11hip_rocprim7__merge17predicate_wrapperIyyNSC_4lessIyEEEEEE10hipError_tPvRmT0_T1_T2_T3_T4_T5_mmT6_P12ihipStream_tbEUlT_E0_NS1_11comp_targetILNS1_3genE5ELNS1_11target_archE942ELNS1_3gpuE9ELNS1_3repE0EEENS1_30default_config_static_selectorELNS0_4arch9wavefront6targetE0EEEvS11_
; %bb.0:
	.section	.rodata,"a",@progbits
	.p2align	6, 0x0
	.amdhsa_kernel _ZN7rocprim17ROCPRIM_400000_NS6detail17trampoline_kernelINS0_14default_configENS1_21merge_config_selectorINS0_5tupleIJyyEEENS0_10empty_typeEEEZNS1_10merge_implIS3_NS0_12zip_iteratorINS5_IJN6thrust23THRUST_200600_302600_NS6detail15normal_iteratorINSC_10device_ptrIKyEEEESI_EEEEESK_NSA_INS5_IJNSC_16discard_iteratorINSC_11use_defaultEEESN_EEEEEPS7_SQ_SQ_NSC_11hip_rocprim7__merge17predicate_wrapperIyyNSC_4lessIyEEEEEE10hipError_tPvRmT0_T1_T2_T3_T4_T5_mmT6_P12ihipStream_tbEUlT_E0_NS1_11comp_targetILNS1_3genE5ELNS1_11target_archE942ELNS1_3gpuE9ELNS1_3repE0EEENS1_30default_config_static_selectorELNS0_4arch9wavefront6targetE0EEEvS11_
		.amdhsa_group_segment_fixed_size 0
		.amdhsa_private_segment_fixed_size 0
		.amdhsa_kernarg_size 128
		.amdhsa_user_sgpr_count 6
		.amdhsa_user_sgpr_private_segment_buffer 1
		.amdhsa_user_sgpr_dispatch_ptr 0
		.amdhsa_user_sgpr_queue_ptr 0
		.amdhsa_user_sgpr_kernarg_segment_ptr 1
		.amdhsa_user_sgpr_dispatch_id 0
		.amdhsa_user_sgpr_flat_scratch_init 0
		.amdhsa_user_sgpr_private_segment_size 0
		.amdhsa_wavefront_size32 1
		.amdhsa_uses_dynamic_stack 0
		.amdhsa_system_sgpr_private_segment_wavefront_offset 0
		.amdhsa_system_sgpr_workgroup_id_x 1
		.amdhsa_system_sgpr_workgroup_id_y 0
		.amdhsa_system_sgpr_workgroup_id_z 0
		.amdhsa_system_sgpr_workgroup_info 0
		.amdhsa_system_vgpr_workitem_id 0
		.amdhsa_next_free_vgpr 1
		.amdhsa_next_free_sgpr 1
		.amdhsa_reserve_vcc 0
		.amdhsa_reserve_flat_scratch 0
		.amdhsa_float_round_mode_32 0
		.amdhsa_float_round_mode_16_64 0
		.amdhsa_float_denorm_mode_32 3
		.amdhsa_float_denorm_mode_16_64 3
		.amdhsa_dx10_clamp 1
		.amdhsa_ieee_mode 1
		.amdhsa_fp16_overflow 0
		.amdhsa_workgroup_processor_mode 1
		.amdhsa_memory_ordered 1
		.amdhsa_forward_progress 1
		.amdhsa_shared_vgpr_count 0
		.amdhsa_exception_fp_ieee_invalid_op 0
		.amdhsa_exception_fp_denorm_src 0
		.amdhsa_exception_fp_ieee_div_zero 0
		.amdhsa_exception_fp_ieee_overflow 0
		.amdhsa_exception_fp_ieee_underflow 0
		.amdhsa_exception_fp_ieee_inexact 0
		.amdhsa_exception_int_div_zero 0
	.end_amdhsa_kernel
	.section	.text._ZN7rocprim17ROCPRIM_400000_NS6detail17trampoline_kernelINS0_14default_configENS1_21merge_config_selectorINS0_5tupleIJyyEEENS0_10empty_typeEEEZNS1_10merge_implIS3_NS0_12zip_iteratorINS5_IJN6thrust23THRUST_200600_302600_NS6detail15normal_iteratorINSC_10device_ptrIKyEEEESI_EEEEESK_NSA_INS5_IJNSC_16discard_iteratorINSC_11use_defaultEEESN_EEEEEPS7_SQ_SQ_NSC_11hip_rocprim7__merge17predicate_wrapperIyyNSC_4lessIyEEEEEE10hipError_tPvRmT0_T1_T2_T3_T4_T5_mmT6_P12ihipStream_tbEUlT_E0_NS1_11comp_targetILNS1_3genE5ELNS1_11target_archE942ELNS1_3gpuE9ELNS1_3repE0EEENS1_30default_config_static_selectorELNS0_4arch9wavefront6targetE0EEEvS11_,"axG",@progbits,_ZN7rocprim17ROCPRIM_400000_NS6detail17trampoline_kernelINS0_14default_configENS1_21merge_config_selectorINS0_5tupleIJyyEEENS0_10empty_typeEEEZNS1_10merge_implIS3_NS0_12zip_iteratorINS5_IJN6thrust23THRUST_200600_302600_NS6detail15normal_iteratorINSC_10device_ptrIKyEEEESI_EEEEESK_NSA_INS5_IJNSC_16discard_iteratorINSC_11use_defaultEEESN_EEEEEPS7_SQ_SQ_NSC_11hip_rocprim7__merge17predicate_wrapperIyyNSC_4lessIyEEEEEE10hipError_tPvRmT0_T1_T2_T3_T4_T5_mmT6_P12ihipStream_tbEUlT_E0_NS1_11comp_targetILNS1_3genE5ELNS1_11target_archE942ELNS1_3gpuE9ELNS1_3repE0EEENS1_30default_config_static_selectorELNS0_4arch9wavefront6targetE0EEEvS11_,comdat
.Lfunc_end525:
	.size	_ZN7rocprim17ROCPRIM_400000_NS6detail17trampoline_kernelINS0_14default_configENS1_21merge_config_selectorINS0_5tupleIJyyEEENS0_10empty_typeEEEZNS1_10merge_implIS3_NS0_12zip_iteratorINS5_IJN6thrust23THRUST_200600_302600_NS6detail15normal_iteratorINSC_10device_ptrIKyEEEESI_EEEEESK_NSA_INS5_IJNSC_16discard_iteratorINSC_11use_defaultEEESN_EEEEEPS7_SQ_SQ_NSC_11hip_rocprim7__merge17predicate_wrapperIyyNSC_4lessIyEEEEEE10hipError_tPvRmT0_T1_T2_T3_T4_T5_mmT6_P12ihipStream_tbEUlT_E0_NS1_11comp_targetILNS1_3genE5ELNS1_11target_archE942ELNS1_3gpuE9ELNS1_3repE0EEENS1_30default_config_static_selectorELNS0_4arch9wavefront6targetE0EEEvS11_, .Lfunc_end525-_ZN7rocprim17ROCPRIM_400000_NS6detail17trampoline_kernelINS0_14default_configENS1_21merge_config_selectorINS0_5tupleIJyyEEENS0_10empty_typeEEEZNS1_10merge_implIS3_NS0_12zip_iteratorINS5_IJN6thrust23THRUST_200600_302600_NS6detail15normal_iteratorINSC_10device_ptrIKyEEEESI_EEEEESK_NSA_INS5_IJNSC_16discard_iteratorINSC_11use_defaultEEESN_EEEEEPS7_SQ_SQ_NSC_11hip_rocprim7__merge17predicate_wrapperIyyNSC_4lessIyEEEEEE10hipError_tPvRmT0_T1_T2_T3_T4_T5_mmT6_P12ihipStream_tbEUlT_E0_NS1_11comp_targetILNS1_3genE5ELNS1_11target_archE942ELNS1_3gpuE9ELNS1_3repE0EEENS1_30default_config_static_selectorELNS0_4arch9wavefront6targetE0EEEvS11_
                                        ; -- End function
	.set _ZN7rocprim17ROCPRIM_400000_NS6detail17trampoline_kernelINS0_14default_configENS1_21merge_config_selectorINS0_5tupleIJyyEEENS0_10empty_typeEEEZNS1_10merge_implIS3_NS0_12zip_iteratorINS5_IJN6thrust23THRUST_200600_302600_NS6detail15normal_iteratorINSC_10device_ptrIKyEEEESI_EEEEESK_NSA_INS5_IJNSC_16discard_iteratorINSC_11use_defaultEEESN_EEEEEPS7_SQ_SQ_NSC_11hip_rocprim7__merge17predicate_wrapperIyyNSC_4lessIyEEEEEE10hipError_tPvRmT0_T1_T2_T3_T4_T5_mmT6_P12ihipStream_tbEUlT_E0_NS1_11comp_targetILNS1_3genE5ELNS1_11target_archE942ELNS1_3gpuE9ELNS1_3repE0EEENS1_30default_config_static_selectorELNS0_4arch9wavefront6targetE0EEEvS11_.num_vgpr, 0
	.set _ZN7rocprim17ROCPRIM_400000_NS6detail17trampoline_kernelINS0_14default_configENS1_21merge_config_selectorINS0_5tupleIJyyEEENS0_10empty_typeEEEZNS1_10merge_implIS3_NS0_12zip_iteratorINS5_IJN6thrust23THRUST_200600_302600_NS6detail15normal_iteratorINSC_10device_ptrIKyEEEESI_EEEEESK_NSA_INS5_IJNSC_16discard_iteratorINSC_11use_defaultEEESN_EEEEEPS7_SQ_SQ_NSC_11hip_rocprim7__merge17predicate_wrapperIyyNSC_4lessIyEEEEEE10hipError_tPvRmT0_T1_T2_T3_T4_T5_mmT6_P12ihipStream_tbEUlT_E0_NS1_11comp_targetILNS1_3genE5ELNS1_11target_archE942ELNS1_3gpuE9ELNS1_3repE0EEENS1_30default_config_static_selectorELNS0_4arch9wavefront6targetE0EEEvS11_.num_agpr, 0
	.set _ZN7rocprim17ROCPRIM_400000_NS6detail17trampoline_kernelINS0_14default_configENS1_21merge_config_selectorINS0_5tupleIJyyEEENS0_10empty_typeEEEZNS1_10merge_implIS3_NS0_12zip_iteratorINS5_IJN6thrust23THRUST_200600_302600_NS6detail15normal_iteratorINSC_10device_ptrIKyEEEESI_EEEEESK_NSA_INS5_IJNSC_16discard_iteratorINSC_11use_defaultEEESN_EEEEEPS7_SQ_SQ_NSC_11hip_rocprim7__merge17predicate_wrapperIyyNSC_4lessIyEEEEEE10hipError_tPvRmT0_T1_T2_T3_T4_T5_mmT6_P12ihipStream_tbEUlT_E0_NS1_11comp_targetILNS1_3genE5ELNS1_11target_archE942ELNS1_3gpuE9ELNS1_3repE0EEENS1_30default_config_static_selectorELNS0_4arch9wavefront6targetE0EEEvS11_.numbered_sgpr, 0
	.set _ZN7rocprim17ROCPRIM_400000_NS6detail17trampoline_kernelINS0_14default_configENS1_21merge_config_selectorINS0_5tupleIJyyEEENS0_10empty_typeEEEZNS1_10merge_implIS3_NS0_12zip_iteratorINS5_IJN6thrust23THRUST_200600_302600_NS6detail15normal_iteratorINSC_10device_ptrIKyEEEESI_EEEEESK_NSA_INS5_IJNSC_16discard_iteratorINSC_11use_defaultEEESN_EEEEEPS7_SQ_SQ_NSC_11hip_rocprim7__merge17predicate_wrapperIyyNSC_4lessIyEEEEEE10hipError_tPvRmT0_T1_T2_T3_T4_T5_mmT6_P12ihipStream_tbEUlT_E0_NS1_11comp_targetILNS1_3genE5ELNS1_11target_archE942ELNS1_3gpuE9ELNS1_3repE0EEENS1_30default_config_static_selectorELNS0_4arch9wavefront6targetE0EEEvS11_.num_named_barrier, 0
	.set _ZN7rocprim17ROCPRIM_400000_NS6detail17trampoline_kernelINS0_14default_configENS1_21merge_config_selectorINS0_5tupleIJyyEEENS0_10empty_typeEEEZNS1_10merge_implIS3_NS0_12zip_iteratorINS5_IJN6thrust23THRUST_200600_302600_NS6detail15normal_iteratorINSC_10device_ptrIKyEEEESI_EEEEESK_NSA_INS5_IJNSC_16discard_iteratorINSC_11use_defaultEEESN_EEEEEPS7_SQ_SQ_NSC_11hip_rocprim7__merge17predicate_wrapperIyyNSC_4lessIyEEEEEE10hipError_tPvRmT0_T1_T2_T3_T4_T5_mmT6_P12ihipStream_tbEUlT_E0_NS1_11comp_targetILNS1_3genE5ELNS1_11target_archE942ELNS1_3gpuE9ELNS1_3repE0EEENS1_30default_config_static_selectorELNS0_4arch9wavefront6targetE0EEEvS11_.private_seg_size, 0
	.set _ZN7rocprim17ROCPRIM_400000_NS6detail17trampoline_kernelINS0_14default_configENS1_21merge_config_selectorINS0_5tupleIJyyEEENS0_10empty_typeEEEZNS1_10merge_implIS3_NS0_12zip_iteratorINS5_IJN6thrust23THRUST_200600_302600_NS6detail15normal_iteratorINSC_10device_ptrIKyEEEESI_EEEEESK_NSA_INS5_IJNSC_16discard_iteratorINSC_11use_defaultEEESN_EEEEEPS7_SQ_SQ_NSC_11hip_rocprim7__merge17predicate_wrapperIyyNSC_4lessIyEEEEEE10hipError_tPvRmT0_T1_T2_T3_T4_T5_mmT6_P12ihipStream_tbEUlT_E0_NS1_11comp_targetILNS1_3genE5ELNS1_11target_archE942ELNS1_3gpuE9ELNS1_3repE0EEENS1_30default_config_static_selectorELNS0_4arch9wavefront6targetE0EEEvS11_.uses_vcc, 0
	.set _ZN7rocprim17ROCPRIM_400000_NS6detail17trampoline_kernelINS0_14default_configENS1_21merge_config_selectorINS0_5tupleIJyyEEENS0_10empty_typeEEEZNS1_10merge_implIS3_NS0_12zip_iteratorINS5_IJN6thrust23THRUST_200600_302600_NS6detail15normal_iteratorINSC_10device_ptrIKyEEEESI_EEEEESK_NSA_INS5_IJNSC_16discard_iteratorINSC_11use_defaultEEESN_EEEEEPS7_SQ_SQ_NSC_11hip_rocprim7__merge17predicate_wrapperIyyNSC_4lessIyEEEEEE10hipError_tPvRmT0_T1_T2_T3_T4_T5_mmT6_P12ihipStream_tbEUlT_E0_NS1_11comp_targetILNS1_3genE5ELNS1_11target_archE942ELNS1_3gpuE9ELNS1_3repE0EEENS1_30default_config_static_selectorELNS0_4arch9wavefront6targetE0EEEvS11_.uses_flat_scratch, 0
	.set _ZN7rocprim17ROCPRIM_400000_NS6detail17trampoline_kernelINS0_14default_configENS1_21merge_config_selectorINS0_5tupleIJyyEEENS0_10empty_typeEEEZNS1_10merge_implIS3_NS0_12zip_iteratorINS5_IJN6thrust23THRUST_200600_302600_NS6detail15normal_iteratorINSC_10device_ptrIKyEEEESI_EEEEESK_NSA_INS5_IJNSC_16discard_iteratorINSC_11use_defaultEEESN_EEEEEPS7_SQ_SQ_NSC_11hip_rocprim7__merge17predicate_wrapperIyyNSC_4lessIyEEEEEE10hipError_tPvRmT0_T1_T2_T3_T4_T5_mmT6_P12ihipStream_tbEUlT_E0_NS1_11comp_targetILNS1_3genE5ELNS1_11target_archE942ELNS1_3gpuE9ELNS1_3repE0EEENS1_30default_config_static_selectorELNS0_4arch9wavefront6targetE0EEEvS11_.has_dyn_sized_stack, 0
	.set _ZN7rocprim17ROCPRIM_400000_NS6detail17trampoline_kernelINS0_14default_configENS1_21merge_config_selectorINS0_5tupleIJyyEEENS0_10empty_typeEEEZNS1_10merge_implIS3_NS0_12zip_iteratorINS5_IJN6thrust23THRUST_200600_302600_NS6detail15normal_iteratorINSC_10device_ptrIKyEEEESI_EEEEESK_NSA_INS5_IJNSC_16discard_iteratorINSC_11use_defaultEEESN_EEEEEPS7_SQ_SQ_NSC_11hip_rocprim7__merge17predicate_wrapperIyyNSC_4lessIyEEEEEE10hipError_tPvRmT0_T1_T2_T3_T4_T5_mmT6_P12ihipStream_tbEUlT_E0_NS1_11comp_targetILNS1_3genE5ELNS1_11target_archE942ELNS1_3gpuE9ELNS1_3repE0EEENS1_30default_config_static_selectorELNS0_4arch9wavefront6targetE0EEEvS11_.has_recursion, 0
	.set _ZN7rocprim17ROCPRIM_400000_NS6detail17trampoline_kernelINS0_14default_configENS1_21merge_config_selectorINS0_5tupleIJyyEEENS0_10empty_typeEEEZNS1_10merge_implIS3_NS0_12zip_iteratorINS5_IJN6thrust23THRUST_200600_302600_NS6detail15normal_iteratorINSC_10device_ptrIKyEEEESI_EEEEESK_NSA_INS5_IJNSC_16discard_iteratorINSC_11use_defaultEEESN_EEEEEPS7_SQ_SQ_NSC_11hip_rocprim7__merge17predicate_wrapperIyyNSC_4lessIyEEEEEE10hipError_tPvRmT0_T1_T2_T3_T4_T5_mmT6_P12ihipStream_tbEUlT_E0_NS1_11comp_targetILNS1_3genE5ELNS1_11target_archE942ELNS1_3gpuE9ELNS1_3repE0EEENS1_30default_config_static_selectorELNS0_4arch9wavefront6targetE0EEEvS11_.has_indirect_call, 0
	.section	.AMDGPU.csdata,"",@progbits
; Kernel info:
; codeLenInByte = 0
; TotalNumSgprs: 0
; NumVgprs: 0
; ScratchSize: 0
; MemoryBound: 0
; FloatMode: 240
; IeeeMode: 1
; LDSByteSize: 0 bytes/workgroup (compile time only)
; SGPRBlocks: 0
; VGPRBlocks: 0
; NumSGPRsForWavesPerEU: 1
; NumVGPRsForWavesPerEU: 1
; Occupancy: 16
; WaveLimiterHint : 0
; COMPUTE_PGM_RSRC2:SCRATCH_EN: 0
; COMPUTE_PGM_RSRC2:USER_SGPR: 6
; COMPUTE_PGM_RSRC2:TRAP_HANDLER: 0
; COMPUTE_PGM_RSRC2:TGID_X_EN: 1
; COMPUTE_PGM_RSRC2:TGID_Y_EN: 0
; COMPUTE_PGM_RSRC2:TGID_Z_EN: 0
; COMPUTE_PGM_RSRC2:TIDIG_COMP_CNT: 0
	.section	.text._ZN7rocprim17ROCPRIM_400000_NS6detail17trampoline_kernelINS0_14default_configENS1_21merge_config_selectorINS0_5tupleIJyyEEENS0_10empty_typeEEEZNS1_10merge_implIS3_NS0_12zip_iteratorINS5_IJN6thrust23THRUST_200600_302600_NS6detail15normal_iteratorINSC_10device_ptrIKyEEEESI_EEEEESK_NSA_INS5_IJNSC_16discard_iteratorINSC_11use_defaultEEESN_EEEEEPS7_SQ_SQ_NSC_11hip_rocprim7__merge17predicate_wrapperIyyNSC_4lessIyEEEEEE10hipError_tPvRmT0_T1_T2_T3_T4_T5_mmT6_P12ihipStream_tbEUlT_E0_NS1_11comp_targetILNS1_3genE4ELNS1_11target_archE910ELNS1_3gpuE8ELNS1_3repE0EEENS1_30default_config_static_selectorELNS0_4arch9wavefront6targetE0EEEvS11_,"axG",@progbits,_ZN7rocprim17ROCPRIM_400000_NS6detail17trampoline_kernelINS0_14default_configENS1_21merge_config_selectorINS0_5tupleIJyyEEENS0_10empty_typeEEEZNS1_10merge_implIS3_NS0_12zip_iteratorINS5_IJN6thrust23THRUST_200600_302600_NS6detail15normal_iteratorINSC_10device_ptrIKyEEEESI_EEEEESK_NSA_INS5_IJNSC_16discard_iteratorINSC_11use_defaultEEESN_EEEEEPS7_SQ_SQ_NSC_11hip_rocprim7__merge17predicate_wrapperIyyNSC_4lessIyEEEEEE10hipError_tPvRmT0_T1_T2_T3_T4_T5_mmT6_P12ihipStream_tbEUlT_E0_NS1_11comp_targetILNS1_3genE4ELNS1_11target_archE910ELNS1_3gpuE8ELNS1_3repE0EEENS1_30default_config_static_selectorELNS0_4arch9wavefront6targetE0EEEvS11_,comdat
	.protected	_ZN7rocprim17ROCPRIM_400000_NS6detail17trampoline_kernelINS0_14default_configENS1_21merge_config_selectorINS0_5tupleIJyyEEENS0_10empty_typeEEEZNS1_10merge_implIS3_NS0_12zip_iteratorINS5_IJN6thrust23THRUST_200600_302600_NS6detail15normal_iteratorINSC_10device_ptrIKyEEEESI_EEEEESK_NSA_INS5_IJNSC_16discard_iteratorINSC_11use_defaultEEESN_EEEEEPS7_SQ_SQ_NSC_11hip_rocprim7__merge17predicate_wrapperIyyNSC_4lessIyEEEEEE10hipError_tPvRmT0_T1_T2_T3_T4_T5_mmT6_P12ihipStream_tbEUlT_E0_NS1_11comp_targetILNS1_3genE4ELNS1_11target_archE910ELNS1_3gpuE8ELNS1_3repE0EEENS1_30default_config_static_selectorELNS0_4arch9wavefront6targetE0EEEvS11_ ; -- Begin function _ZN7rocprim17ROCPRIM_400000_NS6detail17trampoline_kernelINS0_14default_configENS1_21merge_config_selectorINS0_5tupleIJyyEEENS0_10empty_typeEEEZNS1_10merge_implIS3_NS0_12zip_iteratorINS5_IJN6thrust23THRUST_200600_302600_NS6detail15normal_iteratorINSC_10device_ptrIKyEEEESI_EEEEESK_NSA_INS5_IJNSC_16discard_iteratorINSC_11use_defaultEEESN_EEEEEPS7_SQ_SQ_NSC_11hip_rocprim7__merge17predicate_wrapperIyyNSC_4lessIyEEEEEE10hipError_tPvRmT0_T1_T2_T3_T4_T5_mmT6_P12ihipStream_tbEUlT_E0_NS1_11comp_targetILNS1_3genE4ELNS1_11target_archE910ELNS1_3gpuE8ELNS1_3repE0EEENS1_30default_config_static_selectorELNS0_4arch9wavefront6targetE0EEEvS11_
	.globl	_ZN7rocprim17ROCPRIM_400000_NS6detail17trampoline_kernelINS0_14default_configENS1_21merge_config_selectorINS0_5tupleIJyyEEENS0_10empty_typeEEEZNS1_10merge_implIS3_NS0_12zip_iteratorINS5_IJN6thrust23THRUST_200600_302600_NS6detail15normal_iteratorINSC_10device_ptrIKyEEEESI_EEEEESK_NSA_INS5_IJNSC_16discard_iteratorINSC_11use_defaultEEESN_EEEEEPS7_SQ_SQ_NSC_11hip_rocprim7__merge17predicate_wrapperIyyNSC_4lessIyEEEEEE10hipError_tPvRmT0_T1_T2_T3_T4_T5_mmT6_P12ihipStream_tbEUlT_E0_NS1_11comp_targetILNS1_3genE4ELNS1_11target_archE910ELNS1_3gpuE8ELNS1_3repE0EEENS1_30default_config_static_selectorELNS0_4arch9wavefront6targetE0EEEvS11_
	.p2align	8
	.type	_ZN7rocprim17ROCPRIM_400000_NS6detail17trampoline_kernelINS0_14default_configENS1_21merge_config_selectorINS0_5tupleIJyyEEENS0_10empty_typeEEEZNS1_10merge_implIS3_NS0_12zip_iteratorINS5_IJN6thrust23THRUST_200600_302600_NS6detail15normal_iteratorINSC_10device_ptrIKyEEEESI_EEEEESK_NSA_INS5_IJNSC_16discard_iteratorINSC_11use_defaultEEESN_EEEEEPS7_SQ_SQ_NSC_11hip_rocprim7__merge17predicate_wrapperIyyNSC_4lessIyEEEEEE10hipError_tPvRmT0_T1_T2_T3_T4_T5_mmT6_P12ihipStream_tbEUlT_E0_NS1_11comp_targetILNS1_3genE4ELNS1_11target_archE910ELNS1_3gpuE8ELNS1_3repE0EEENS1_30default_config_static_selectorELNS0_4arch9wavefront6targetE0EEEvS11_,@function
_ZN7rocprim17ROCPRIM_400000_NS6detail17trampoline_kernelINS0_14default_configENS1_21merge_config_selectorINS0_5tupleIJyyEEENS0_10empty_typeEEEZNS1_10merge_implIS3_NS0_12zip_iteratorINS5_IJN6thrust23THRUST_200600_302600_NS6detail15normal_iteratorINSC_10device_ptrIKyEEEESI_EEEEESK_NSA_INS5_IJNSC_16discard_iteratorINSC_11use_defaultEEESN_EEEEEPS7_SQ_SQ_NSC_11hip_rocprim7__merge17predicate_wrapperIyyNSC_4lessIyEEEEEE10hipError_tPvRmT0_T1_T2_T3_T4_T5_mmT6_P12ihipStream_tbEUlT_E0_NS1_11comp_targetILNS1_3genE4ELNS1_11target_archE910ELNS1_3gpuE8ELNS1_3repE0EEENS1_30default_config_static_selectorELNS0_4arch9wavefront6targetE0EEEvS11_: ; @_ZN7rocprim17ROCPRIM_400000_NS6detail17trampoline_kernelINS0_14default_configENS1_21merge_config_selectorINS0_5tupleIJyyEEENS0_10empty_typeEEEZNS1_10merge_implIS3_NS0_12zip_iteratorINS5_IJN6thrust23THRUST_200600_302600_NS6detail15normal_iteratorINSC_10device_ptrIKyEEEESI_EEEEESK_NSA_INS5_IJNSC_16discard_iteratorINSC_11use_defaultEEESN_EEEEEPS7_SQ_SQ_NSC_11hip_rocprim7__merge17predicate_wrapperIyyNSC_4lessIyEEEEEE10hipError_tPvRmT0_T1_T2_T3_T4_T5_mmT6_P12ihipStream_tbEUlT_E0_NS1_11comp_targetILNS1_3genE4ELNS1_11target_archE910ELNS1_3gpuE8ELNS1_3repE0EEENS1_30default_config_static_selectorELNS0_4arch9wavefront6targetE0EEEvS11_
; %bb.0:
	.section	.rodata,"a",@progbits
	.p2align	6, 0x0
	.amdhsa_kernel _ZN7rocprim17ROCPRIM_400000_NS6detail17trampoline_kernelINS0_14default_configENS1_21merge_config_selectorINS0_5tupleIJyyEEENS0_10empty_typeEEEZNS1_10merge_implIS3_NS0_12zip_iteratorINS5_IJN6thrust23THRUST_200600_302600_NS6detail15normal_iteratorINSC_10device_ptrIKyEEEESI_EEEEESK_NSA_INS5_IJNSC_16discard_iteratorINSC_11use_defaultEEESN_EEEEEPS7_SQ_SQ_NSC_11hip_rocprim7__merge17predicate_wrapperIyyNSC_4lessIyEEEEEE10hipError_tPvRmT0_T1_T2_T3_T4_T5_mmT6_P12ihipStream_tbEUlT_E0_NS1_11comp_targetILNS1_3genE4ELNS1_11target_archE910ELNS1_3gpuE8ELNS1_3repE0EEENS1_30default_config_static_selectorELNS0_4arch9wavefront6targetE0EEEvS11_
		.amdhsa_group_segment_fixed_size 0
		.amdhsa_private_segment_fixed_size 0
		.amdhsa_kernarg_size 128
		.amdhsa_user_sgpr_count 6
		.amdhsa_user_sgpr_private_segment_buffer 1
		.amdhsa_user_sgpr_dispatch_ptr 0
		.amdhsa_user_sgpr_queue_ptr 0
		.amdhsa_user_sgpr_kernarg_segment_ptr 1
		.amdhsa_user_sgpr_dispatch_id 0
		.amdhsa_user_sgpr_flat_scratch_init 0
		.amdhsa_user_sgpr_private_segment_size 0
		.amdhsa_wavefront_size32 1
		.amdhsa_uses_dynamic_stack 0
		.amdhsa_system_sgpr_private_segment_wavefront_offset 0
		.amdhsa_system_sgpr_workgroup_id_x 1
		.amdhsa_system_sgpr_workgroup_id_y 0
		.amdhsa_system_sgpr_workgroup_id_z 0
		.amdhsa_system_sgpr_workgroup_info 0
		.amdhsa_system_vgpr_workitem_id 0
		.amdhsa_next_free_vgpr 1
		.amdhsa_next_free_sgpr 1
		.amdhsa_reserve_vcc 0
		.amdhsa_reserve_flat_scratch 0
		.amdhsa_float_round_mode_32 0
		.amdhsa_float_round_mode_16_64 0
		.amdhsa_float_denorm_mode_32 3
		.amdhsa_float_denorm_mode_16_64 3
		.amdhsa_dx10_clamp 1
		.amdhsa_ieee_mode 1
		.amdhsa_fp16_overflow 0
		.amdhsa_workgroup_processor_mode 1
		.amdhsa_memory_ordered 1
		.amdhsa_forward_progress 1
		.amdhsa_shared_vgpr_count 0
		.amdhsa_exception_fp_ieee_invalid_op 0
		.amdhsa_exception_fp_denorm_src 0
		.amdhsa_exception_fp_ieee_div_zero 0
		.amdhsa_exception_fp_ieee_overflow 0
		.amdhsa_exception_fp_ieee_underflow 0
		.amdhsa_exception_fp_ieee_inexact 0
		.amdhsa_exception_int_div_zero 0
	.end_amdhsa_kernel
	.section	.text._ZN7rocprim17ROCPRIM_400000_NS6detail17trampoline_kernelINS0_14default_configENS1_21merge_config_selectorINS0_5tupleIJyyEEENS0_10empty_typeEEEZNS1_10merge_implIS3_NS0_12zip_iteratorINS5_IJN6thrust23THRUST_200600_302600_NS6detail15normal_iteratorINSC_10device_ptrIKyEEEESI_EEEEESK_NSA_INS5_IJNSC_16discard_iteratorINSC_11use_defaultEEESN_EEEEEPS7_SQ_SQ_NSC_11hip_rocprim7__merge17predicate_wrapperIyyNSC_4lessIyEEEEEE10hipError_tPvRmT0_T1_T2_T3_T4_T5_mmT6_P12ihipStream_tbEUlT_E0_NS1_11comp_targetILNS1_3genE4ELNS1_11target_archE910ELNS1_3gpuE8ELNS1_3repE0EEENS1_30default_config_static_selectorELNS0_4arch9wavefront6targetE0EEEvS11_,"axG",@progbits,_ZN7rocprim17ROCPRIM_400000_NS6detail17trampoline_kernelINS0_14default_configENS1_21merge_config_selectorINS0_5tupleIJyyEEENS0_10empty_typeEEEZNS1_10merge_implIS3_NS0_12zip_iteratorINS5_IJN6thrust23THRUST_200600_302600_NS6detail15normal_iteratorINSC_10device_ptrIKyEEEESI_EEEEESK_NSA_INS5_IJNSC_16discard_iteratorINSC_11use_defaultEEESN_EEEEEPS7_SQ_SQ_NSC_11hip_rocprim7__merge17predicate_wrapperIyyNSC_4lessIyEEEEEE10hipError_tPvRmT0_T1_T2_T3_T4_T5_mmT6_P12ihipStream_tbEUlT_E0_NS1_11comp_targetILNS1_3genE4ELNS1_11target_archE910ELNS1_3gpuE8ELNS1_3repE0EEENS1_30default_config_static_selectorELNS0_4arch9wavefront6targetE0EEEvS11_,comdat
.Lfunc_end526:
	.size	_ZN7rocprim17ROCPRIM_400000_NS6detail17trampoline_kernelINS0_14default_configENS1_21merge_config_selectorINS0_5tupleIJyyEEENS0_10empty_typeEEEZNS1_10merge_implIS3_NS0_12zip_iteratorINS5_IJN6thrust23THRUST_200600_302600_NS6detail15normal_iteratorINSC_10device_ptrIKyEEEESI_EEEEESK_NSA_INS5_IJNSC_16discard_iteratorINSC_11use_defaultEEESN_EEEEEPS7_SQ_SQ_NSC_11hip_rocprim7__merge17predicate_wrapperIyyNSC_4lessIyEEEEEE10hipError_tPvRmT0_T1_T2_T3_T4_T5_mmT6_P12ihipStream_tbEUlT_E0_NS1_11comp_targetILNS1_3genE4ELNS1_11target_archE910ELNS1_3gpuE8ELNS1_3repE0EEENS1_30default_config_static_selectorELNS0_4arch9wavefront6targetE0EEEvS11_, .Lfunc_end526-_ZN7rocprim17ROCPRIM_400000_NS6detail17trampoline_kernelINS0_14default_configENS1_21merge_config_selectorINS0_5tupleIJyyEEENS0_10empty_typeEEEZNS1_10merge_implIS3_NS0_12zip_iteratorINS5_IJN6thrust23THRUST_200600_302600_NS6detail15normal_iteratorINSC_10device_ptrIKyEEEESI_EEEEESK_NSA_INS5_IJNSC_16discard_iteratorINSC_11use_defaultEEESN_EEEEEPS7_SQ_SQ_NSC_11hip_rocprim7__merge17predicate_wrapperIyyNSC_4lessIyEEEEEE10hipError_tPvRmT0_T1_T2_T3_T4_T5_mmT6_P12ihipStream_tbEUlT_E0_NS1_11comp_targetILNS1_3genE4ELNS1_11target_archE910ELNS1_3gpuE8ELNS1_3repE0EEENS1_30default_config_static_selectorELNS0_4arch9wavefront6targetE0EEEvS11_
                                        ; -- End function
	.set _ZN7rocprim17ROCPRIM_400000_NS6detail17trampoline_kernelINS0_14default_configENS1_21merge_config_selectorINS0_5tupleIJyyEEENS0_10empty_typeEEEZNS1_10merge_implIS3_NS0_12zip_iteratorINS5_IJN6thrust23THRUST_200600_302600_NS6detail15normal_iteratorINSC_10device_ptrIKyEEEESI_EEEEESK_NSA_INS5_IJNSC_16discard_iteratorINSC_11use_defaultEEESN_EEEEEPS7_SQ_SQ_NSC_11hip_rocprim7__merge17predicate_wrapperIyyNSC_4lessIyEEEEEE10hipError_tPvRmT0_T1_T2_T3_T4_T5_mmT6_P12ihipStream_tbEUlT_E0_NS1_11comp_targetILNS1_3genE4ELNS1_11target_archE910ELNS1_3gpuE8ELNS1_3repE0EEENS1_30default_config_static_selectorELNS0_4arch9wavefront6targetE0EEEvS11_.num_vgpr, 0
	.set _ZN7rocprim17ROCPRIM_400000_NS6detail17trampoline_kernelINS0_14default_configENS1_21merge_config_selectorINS0_5tupleIJyyEEENS0_10empty_typeEEEZNS1_10merge_implIS3_NS0_12zip_iteratorINS5_IJN6thrust23THRUST_200600_302600_NS6detail15normal_iteratorINSC_10device_ptrIKyEEEESI_EEEEESK_NSA_INS5_IJNSC_16discard_iteratorINSC_11use_defaultEEESN_EEEEEPS7_SQ_SQ_NSC_11hip_rocprim7__merge17predicate_wrapperIyyNSC_4lessIyEEEEEE10hipError_tPvRmT0_T1_T2_T3_T4_T5_mmT6_P12ihipStream_tbEUlT_E0_NS1_11comp_targetILNS1_3genE4ELNS1_11target_archE910ELNS1_3gpuE8ELNS1_3repE0EEENS1_30default_config_static_selectorELNS0_4arch9wavefront6targetE0EEEvS11_.num_agpr, 0
	.set _ZN7rocprim17ROCPRIM_400000_NS6detail17trampoline_kernelINS0_14default_configENS1_21merge_config_selectorINS0_5tupleIJyyEEENS0_10empty_typeEEEZNS1_10merge_implIS3_NS0_12zip_iteratorINS5_IJN6thrust23THRUST_200600_302600_NS6detail15normal_iteratorINSC_10device_ptrIKyEEEESI_EEEEESK_NSA_INS5_IJNSC_16discard_iteratorINSC_11use_defaultEEESN_EEEEEPS7_SQ_SQ_NSC_11hip_rocprim7__merge17predicate_wrapperIyyNSC_4lessIyEEEEEE10hipError_tPvRmT0_T1_T2_T3_T4_T5_mmT6_P12ihipStream_tbEUlT_E0_NS1_11comp_targetILNS1_3genE4ELNS1_11target_archE910ELNS1_3gpuE8ELNS1_3repE0EEENS1_30default_config_static_selectorELNS0_4arch9wavefront6targetE0EEEvS11_.numbered_sgpr, 0
	.set _ZN7rocprim17ROCPRIM_400000_NS6detail17trampoline_kernelINS0_14default_configENS1_21merge_config_selectorINS0_5tupleIJyyEEENS0_10empty_typeEEEZNS1_10merge_implIS3_NS0_12zip_iteratorINS5_IJN6thrust23THRUST_200600_302600_NS6detail15normal_iteratorINSC_10device_ptrIKyEEEESI_EEEEESK_NSA_INS5_IJNSC_16discard_iteratorINSC_11use_defaultEEESN_EEEEEPS7_SQ_SQ_NSC_11hip_rocprim7__merge17predicate_wrapperIyyNSC_4lessIyEEEEEE10hipError_tPvRmT0_T1_T2_T3_T4_T5_mmT6_P12ihipStream_tbEUlT_E0_NS1_11comp_targetILNS1_3genE4ELNS1_11target_archE910ELNS1_3gpuE8ELNS1_3repE0EEENS1_30default_config_static_selectorELNS0_4arch9wavefront6targetE0EEEvS11_.num_named_barrier, 0
	.set _ZN7rocprim17ROCPRIM_400000_NS6detail17trampoline_kernelINS0_14default_configENS1_21merge_config_selectorINS0_5tupleIJyyEEENS0_10empty_typeEEEZNS1_10merge_implIS3_NS0_12zip_iteratorINS5_IJN6thrust23THRUST_200600_302600_NS6detail15normal_iteratorINSC_10device_ptrIKyEEEESI_EEEEESK_NSA_INS5_IJNSC_16discard_iteratorINSC_11use_defaultEEESN_EEEEEPS7_SQ_SQ_NSC_11hip_rocprim7__merge17predicate_wrapperIyyNSC_4lessIyEEEEEE10hipError_tPvRmT0_T1_T2_T3_T4_T5_mmT6_P12ihipStream_tbEUlT_E0_NS1_11comp_targetILNS1_3genE4ELNS1_11target_archE910ELNS1_3gpuE8ELNS1_3repE0EEENS1_30default_config_static_selectorELNS0_4arch9wavefront6targetE0EEEvS11_.private_seg_size, 0
	.set _ZN7rocprim17ROCPRIM_400000_NS6detail17trampoline_kernelINS0_14default_configENS1_21merge_config_selectorINS0_5tupleIJyyEEENS0_10empty_typeEEEZNS1_10merge_implIS3_NS0_12zip_iteratorINS5_IJN6thrust23THRUST_200600_302600_NS6detail15normal_iteratorINSC_10device_ptrIKyEEEESI_EEEEESK_NSA_INS5_IJNSC_16discard_iteratorINSC_11use_defaultEEESN_EEEEEPS7_SQ_SQ_NSC_11hip_rocprim7__merge17predicate_wrapperIyyNSC_4lessIyEEEEEE10hipError_tPvRmT0_T1_T2_T3_T4_T5_mmT6_P12ihipStream_tbEUlT_E0_NS1_11comp_targetILNS1_3genE4ELNS1_11target_archE910ELNS1_3gpuE8ELNS1_3repE0EEENS1_30default_config_static_selectorELNS0_4arch9wavefront6targetE0EEEvS11_.uses_vcc, 0
	.set _ZN7rocprim17ROCPRIM_400000_NS6detail17trampoline_kernelINS0_14default_configENS1_21merge_config_selectorINS0_5tupleIJyyEEENS0_10empty_typeEEEZNS1_10merge_implIS3_NS0_12zip_iteratorINS5_IJN6thrust23THRUST_200600_302600_NS6detail15normal_iteratorINSC_10device_ptrIKyEEEESI_EEEEESK_NSA_INS5_IJNSC_16discard_iteratorINSC_11use_defaultEEESN_EEEEEPS7_SQ_SQ_NSC_11hip_rocprim7__merge17predicate_wrapperIyyNSC_4lessIyEEEEEE10hipError_tPvRmT0_T1_T2_T3_T4_T5_mmT6_P12ihipStream_tbEUlT_E0_NS1_11comp_targetILNS1_3genE4ELNS1_11target_archE910ELNS1_3gpuE8ELNS1_3repE0EEENS1_30default_config_static_selectorELNS0_4arch9wavefront6targetE0EEEvS11_.uses_flat_scratch, 0
	.set _ZN7rocprim17ROCPRIM_400000_NS6detail17trampoline_kernelINS0_14default_configENS1_21merge_config_selectorINS0_5tupleIJyyEEENS0_10empty_typeEEEZNS1_10merge_implIS3_NS0_12zip_iteratorINS5_IJN6thrust23THRUST_200600_302600_NS6detail15normal_iteratorINSC_10device_ptrIKyEEEESI_EEEEESK_NSA_INS5_IJNSC_16discard_iteratorINSC_11use_defaultEEESN_EEEEEPS7_SQ_SQ_NSC_11hip_rocprim7__merge17predicate_wrapperIyyNSC_4lessIyEEEEEE10hipError_tPvRmT0_T1_T2_T3_T4_T5_mmT6_P12ihipStream_tbEUlT_E0_NS1_11comp_targetILNS1_3genE4ELNS1_11target_archE910ELNS1_3gpuE8ELNS1_3repE0EEENS1_30default_config_static_selectorELNS0_4arch9wavefront6targetE0EEEvS11_.has_dyn_sized_stack, 0
	.set _ZN7rocprim17ROCPRIM_400000_NS6detail17trampoline_kernelINS0_14default_configENS1_21merge_config_selectorINS0_5tupleIJyyEEENS0_10empty_typeEEEZNS1_10merge_implIS3_NS0_12zip_iteratorINS5_IJN6thrust23THRUST_200600_302600_NS6detail15normal_iteratorINSC_10device_ptrIKyEEEESI_EEEEESK_NSA_INS5_IJNSC_16discard_iteratorINSC_11use_defaultEEESN_EEEEEPS7_SQ_SQ_NSC_11hip_rocprim7__merge17predicate_wrapperIyyNSC_4lessIyEEEEEE10hipError_tPvRmT0_T1_T2_T3_T4_T5_mmT6_P12ihipStream_tbEUlT_E0_NS1_11comp_targetILNS1_3genE4ELNS1_11target_archE910ELNS1_3gpuE8ELNS1_3repE0EEENS1_30default_config_static_selectorELNS0_4arch9wavefront6targetE0EEEvS11_.has_recursion, 0
	.set _ZN7rocprim17ROCPRIM_400000_NS6detail17trampoline_kernelINS0_14default_configENS1_21merge_config_selectorINS0_5tupleIJyyEEENS0_10empty_typeEEEZNS1_10merge_implIS3_NS0_12zip_iteratorINS5_IJN6thrust23THRUST_200600_302600_NS6detail15normal_iteratorINSC_10device_ptrIKyEEEESI_EEEEESK_NSA_INS5_IJNSC_16discard_iteratorINSC_11use_defaultEEESN_EEEEEPS7_SQ_SQ_NSC_11hip_rocprim7__merge17predicate_wrapperIyyNSC_4lessIyEEEEEE10hipError_tPvRmT0_T1_T2_T3_T4_T5_mmT6_P12ihipStream_tbEUlT_E0_NS1_11comp_targetILNS1_3genE4ELNS1_11target_archE910ELNS1_3gpuE8ELNS1_3repE0EEENS1_30default_config_static_selectorELNS0_4arch9wavefront6targetE0EEEvS11_.has_indirect_call, 0
	.section	.AMDGPU.csdata,"",@progbits
; Kernel info:
; codeLenInByte = 0
; TotalNumSgprs: 0
; NumVgprs: 0
; ScratchSize: 0
; MemoryBound: 0
; FloatMode: 240
; IeeeMode: 1
; LDSByteSize: 0 bytes/workgroup (compile time only)
; SGPRBlocks: 0
; VGPRBlocks: 0
; NumSGPRsForWavesPerEU: 1
; NumVGPRsForWavesPerEU: 1
; Occupancy: 16
; WaveLimiterHint : 0
; COMPUTE_PGM_RSRC2:SCRATCH_EN: 0
; COMPUTE_PGM_RSRC2:USER_SGPR: 6
; COMPUTE_PGM_RSRC2:TRAP_HANDLER: 0
; COMPUTE_PGM_RSRC2:TGID_X_EN: 1
; COMPUTE_PGM_RSRC2:TGID_Y_EN: 0
; COMPUTE_PGM_RSRC2:TGID_Z_EN: 0
; COMPUTE_PGM_RSRC2:TIDIG_COMP_CNT: 0
	.section	.text._ZN7rocprim17ROCPRIM_400000_NS6detail17trampoline_kernelINS0_14default_configENS1_21merge_config_selectorINS0_5tupleIJyyEEENS0_10empty_typeEEEZNS1_10merge_implIS3_NS0_12zip_iteratorINS5_IJN6thrust23THRUST_200600_302600_NS6detail15normal_iteratorINSC_10device_ptrIKyEEEESI_EEEEESK_NSA_INS5_IJNSC_16discard_iteratorINSC_11use_defaultEEESN_EEEEEPS7_SQ_SQ_NSC_11hip_rocprim7__merge17predicate_wrapperIyyNSC_4lessIyEEEEEE10hipError_tPvRmT0_T1_T2_T3_T4_T5_mmT6_P12ihipStream_tbEUlT_E0_NS1_11comp_targetILNS1_3genE3ELNS1_11target_archE908ELNS1_3gpuE7ELNS1_3repE0EEENS1_30default_config_static_selectorELNS0_4arch9wavefront6targetE0EEEvS11_,"axG",@progbits,_ZN7rocprim17ROCPRIM_400000_NS6detail17trampoline_kernelINS0_14default_configENS1_21merge_config_selectorINS0_5tupleIJyyEEENS0_10empty_typeEEEZNS1_10merge_implIS3_NS0_12zip_iteratorINS5_IJN6thrust23THRUST_200600_302600_NS6detail15normal_iteratorINSC_10device_ptrIKyEEEESI_EEEEESK_NSA_INS5_IJNSC_16discard_iteratorINSC_11use_defaultEEESN_EEEEEPS7_SQ_SQ_NSC_11hip_rocprim7__merge17predicate_wrapperIyyNSC_4lessIyEEEEEE10hipError_tPvRmT0_T1_T2_T3_T4_T5_mmT6_P12ihipStream_tbEUlT_E0_NS1_11comp_targetILNS1_3genE3ELNS1_11target_archE908ELNS1_3gpuE7ELNS1_3repE0EEENS1_30default_config_static_selectorELNS0_4arch9wavefront6targetE0EEEvS11_,comdat
	.protected	_ZN7rocprim17ROCPRIM_400000_NS6detail17trampoline_kernelINS0_14default_configENS1_21merge_config_selectorINS0_5tupleIJyyEEENS0_10empty_typeEEEZNS1_10merge_implIS3_NS0_12zip_iteratorINS5_IJN6thrust23THRUST_200600_302600_NS6detail15normal_iteratorINSC_10device_ptrIKyEEEESI_EEEEESK_NSA_INS5_IJNSC_16discard_iteratorINSC_11use_defaultEEESN_EEEEEPS7_SQ_SQ_NSC_11hip_rocprim7__merge17predicate_wrapperIyyNSC_4lessIyEEEEEE10hipError_tPvRmT0_T1_T2_T3_T4_T5_mmT6_P12ihipStream_tbEUlT_E0_NS1_11comp_targetILNS1_3genE3ELNS1_11target_archE908ELNS1_3gpuE7ELNS1_3repE0EEENS1_30default_config_static_selectorELNS0_4arch9wavefront6targetE0EEEvS11_ ; -- Begin function _ZN7rocprim17ROCPRIM_400000_NS6detail17trampoline_kernelINS0_14default_configENS1_21merge_config_selectorINS0_5tupleIJyyEEENS0_10empty_typeEEEZNS1_10merge_implIS3_NS0_12zip_iteratorINS5_IJN6thrust23THRUST_200600_302600_NS6detail15normal_iteratorINSC_10device_ptrIKyEEEESI_EEEEESK_NSA_INS5_IJNSC_16discard_iteratorINSC_11use_defaultEEESN_EEEEEPS7_SQ_SQ_NSC_11hip_rocprim7__merge17predicate_wrapperIyyNSC_4lessIyEEEEEE10hipError_tPvRmT0_T1_T2_T3_T4_T5_mmT6_P12ihipStream_tbEUlT_E0_NS1_11comp_targetILNS1_3genE3ELNS1_11target_archE908ELNS1_3gpuE7ELNS1_3repE0EEENS1_30default_config_static_selectorELNS0_4arch9wavefront6targetE0EEEvS11_
	.globl	_ZN7rocprim17ROCPRIM_400000_NS6detail17trampoline_kernelINS0_14default_configENS1_21merge_config_selectorINS0_5tupleIJyyEEENS0_10empty_typeEEEZNS1_10merge_implIS3_NS0_12zip_iteratorINS5_IJN6thrust23THRUST_200600_302600_NS6detail15normal_iteratorINSC_10device_ptrIKyEEEESI_EEEEESK_NSA_INS5_IJNSC_16discard_iteratorINSC_11use_defaultEEESN_EEEEEPS7_SQ_SQ_NSC_11hip_rocprim7__merge17predicate_wrapperIyyNSC_4lessIyEEEEEE10hipError_tPvRmT0_T1_T2_T3_T4_T5_mmT6_P12ihipStream_tbEUlT_E0_NS1_11comp_targetILNS1_3genE3ELNS1_11target_archE908ELNS1_3gpuE7ELNS1_3repE0EEENS1_30default_config_static_selectorELNS0_4arch9wavefront6targetE0EEEvS11_
	.p2align	8
	.type	_ZN7rocprim17ROCPRIM_400000_NS6detail17trampoline_kernelINS0_14default_configENS1_21merge_config_selectorINS0_5tupleIJyyEEENS0_10empty_typeEEEZNS1_10merge_implIS3_NS0_12zip_iteratorINS5_IJN6thrust23THRUST_200600_302600_NS6detail15normal_iteratorINSC_10device_ptrIKyEEEESI_EEEEESK_NSA_INS5_IJNSC_16discard_iteratorINSC_11use_defaultEEESN_EEEEEPS7_SQ_SQ_NSC_11hip_rocprim7__merge17predicate_wrapperIyyNSC_4lessIyEEEEEE10hipError_tPvRmT0_T1_T2_T3_T4_T5_mmT6_P12ihipStream_tbEUlT_E0_NS1_11comp_targetILNS1_3genE3ELNS1_11target_archE908ELNS1_3gpuE7ELNS1_3repE0EEENS1_30default_config_static_selectorELNS0_4arch9wavefront6targetE0EEEvS11_,@function
_ZN7rocprim17ROCPRIM_400000_NS6detail17trampoline_kernelINS0_14default_configENS1_21merge_config_selectorINS0_5tupleIJyyEEENS0_10empty_typeEEEZNS1_10merge_implIS3_NS0_12zip_iteratorINS5_IJN6thrust23THRUST_200600_302600_NS6detail15normal_iteratorINSC_10device_ptrIKyEEEESI_EEEEESK_NSA_INS5_IJNSC_16discard_iteratorINSC_11use_defaultEEESN_EEEEEPS7_SQ_SQ_NSC_11hip_rocprim7__merge17predicate_wrapperIyyNSC_4lessIyEEEEEE10hipError_tPvRmT0_T1_T2_T3_T4_T5_mmT6_P12ihipStream_tbEUlT_E0_NS1_11comp_targetILNS1_3genE3ELNS1_11target_archE908ELNS1_3gpuE7ELNS1_3repE0EEENS1_30default_config_static_selectorELNS0_4arch9wavefront6targetE0EEEvS11_: ; @_ZN7rocprim17ROCPRIM_400000_NS6detail17trampoline_kernelINS0_14default_configENS1_21merge_config_selectorINS0_5tupleIJyyEEENS0_10empty_typeEEEZNS1_10merge_implIS3_NS0_12zip_iteratorINS5_IJN6thrust23THRUST_200600_302600_NS6detail15normal_iteratorINSC_10device_ptrIKyEEEESI_EEEEESK_NSA_INS5_IJNSC_16discard_iteratorINSC_11use_defaultEEESN_EEEEEPS7_SQ_SQ_NSC_11hip_rocprim7__merge17predicate_wrapperIyyNSC_4lessIyEEEEEE10hipError_tPvRmT0_T1_T2_T3_T4_T5_mmT6_P12ihipStream_tbEUlT_E0_NS1_11comp_targetILNS1_3genE3ELNS1_11target_archE908ELNS1_3gpuE7ELNS1_3repE0EEENS1_30default_config_static_selectorELNS0_4arch9wavefront6targetE0EEEvS11_
; %bb.0:
	.section	.rodata,"a",@progbits
	.p2align	6, 0x0
	.amdhsa_kernel _ZN7rocprim17ROCPRIM_400000_NS6detail17trampoline_kernelINS0_14default_configENS1_21merge_config_selectorINS0_5tupleIJyyEEENS0_10empty_typeEEEZNS1_10merge_implIS3_NS0_12zip_iteratorINS5_IJN6thrust23THRUST_200600_302600_NS6detail15normal_iteratorINSC_10device_ptrIKyEEEESI_EEEEESK_NSA_INS5_IJNSC_16discard_iteratorINSC_11use_defaultEEESN_EEEEEPS7_SQ_SQ_NSC_11hip_rocprim7__merge17predicate_wrapperIyyNSC_4lessIyEEEEEE10hipError_tPvRmT0_T1_T2_T3_T4_T5_mmT6_P12ihipStream_tbEUlT_E0_NS1_11comp_targetILNS1_3genE3ELNS1_11target_archE908ELNS1_3gpuE7ELNS1_3repE0EEENS1_30default_config_static_selectorELNS0_4arch9wavefront6targetE0EEEvS11_
		.amdhsa_group_segment_fixed_size 0
		.amdhsa_private_segment_fixed_size 0
		.amdhsa_kernarg_size 128
		.amdhsa_user_sgpr_count 6
		.amdhsa_user_sgpr_private_segment_buffer 1
		.amdhsa_user_sgpr_dispatch_ptr 0
		.amdhsa_user_sgpr_queue_ptr 0
		.amdhsa_user_sgpr_kernarg_segment_ptr 1
		.amdhsa_user_sgpr_dispatch_id 0
		.amdhsa_user_sgpr_flat_scratch_init 0
		.amdhsa_user_sgpr_private_segment_size 0
		.amdhsa_wavefront_size32 1
		.amdhsa_uses_dynamic_stack 0
		.amdhsa_system_sgpr_private_segment_wavefront_offset 0
		.amdhsa_system_sgpr_workgroup_id_x 1
		.amdhsa_system_sgpr_workgroup_id_y 0
		.amdhsa_system_sgpr_workgroup_id_z 0
		.amdhsa_system_sgpr_workgroup_info 0
		.amdhsa_system_vgpr_workitem_id 0
		.amdhsa_next_free_vgpr 1
		.amdhsa_next_free_sgpr 1
		.amdhsa_reserve_vcc 0
		.amdhsa_reserve_flat_scratch 0
		.amdhsa_float_round_mode_32 0
		.amdhsa_float_round_mode_16_64 0
		.amdhsa_float_denorm_mode_32 3
		.amdhsa_float_denorm_mode_16_64 3
		.amdhsa_dx10_clamp 1
		.amdhsa_ieee_mode 1
		.amdhsa_fp16_overflow 0
		.amdhsa_workgroup_processor_mode 1
		.amdhsa_memory_ordered 1
		.amdhsa_forward_progress 1
		.amdhsa_shared_vgpr_count 0
		.amdhsa_exception_fp_ieee_invalid_op 0
		.amdhsa_exception_fp_denorm_src 0
		.amdhsa_exception_fp_ieee_div_zero 0
		.amdhsa_exception_fp_ieee_overflow 0
		.amdhsa_exception_fp_ieee_underflow 0
		.amdhsa_exception_fp_ieee_inexact 0
		.amdhsa_exception_int_div_zero 0
	.end_amdhsa_kernel
	.section	.text._ZN7rocprim17ROCPRIM_400000_NS6detail17trampoline_kernelINS0_14default_configENS1_21merge_config_selectorINS0_5tupleIJyyEEENS0_10empty_typeEEEZNS1_10merge_implIS3_NS0_12zip_iteratorINS5_IJN6thrust23THRUST_200600_302600_NS6detail15normal_iteratorINSC_10device_ptrIKyEEEESI_EEEEESK_NSA_INS5_IJNSC_16discard_iteratorINSC_11use_defaultEEESN_EEEEEPS7_SQ_SQ_NSC_11hip_rocprim7__merge17predicate_wrapperIyyNSC_4lessIyEEEEEE10hipError_tPvRmT0_T1_T2_T3_T4_T5_mmT6_P12ihipStream_tbEUlT_E0_NS1_11comp_targetILNS1_3genE3ELNS1_11target_archE908ELNS1_3gpuE7ELNS1_3repE0EEENS1_30default_config_static_selectorELNS0_4arch9wavefront6targetE0EEEvS11_,"axG",@progbits,_ZN7rocprim17ROCPRIM_400000_NS6detail17trampoline_kernelINS0_14default_configENS1_21merge_config_selectorINS0_5tupleIJyyEEENS0_10empty_typeEEEZNS1_10merge_implIS3_NS0_12zip_iteratorINS5_IJN6thrust23THRUST_200600_302600_NS6detail15normal_iteratorINSC_10device_ptrIKyEEEESI_EEEEESK_NSA_INS5_IJNSC_16discard_iteratorINSC_11use_defaultEEESN_EEEEEPS7_SQ_SQ_NSC_11hip_rocprim7__merge17predicate_wrapperIyyNSC_4lessIyEEEEEE10hipError_tPvRmT0_T1_T2_T3_T4_T5_mmT6_P12ihipStream_tbEUlT_E0_NS1_11comp_targetILNS1_3genE3ELNS1_11target_archE908ELNS1_3gpuE7ELNS1_3repE0EEENS1_30default_config_static_selectorELNS0_4arch9wavefront6targetE0EEEvS11_,comdat
.Lfunc_end527:
	.size	_ZN7rocprim17ROCPRIM_400000_NS6detail17trampoline_kernelINS0_14default_configENS1_21merge_config_selectorINS0_5tupleIJyyEEENS0_10empty_typeEEEZNS1_10merge_implIS3_NS0_12zip_iteratorINS5_IJN6thrust23THRUST_200600_302600_NS6detail15normal_iteratorINSC_10device_ptrIKyEEEESI_EEEEESK_NSA_INS5_IJNSC_16discard_iteratorINSC_11use_defaultEEESN_EEEEEPS7_SQ_SQ_NSC_11hip_rocprim7__merge17predicate_wrapperIyyNSC_4lessIyEEEEEE10hipError_tPvRmT0_T1_T2_T3_T4_T5_mmT6_P12ihipStream_tbEUlT_E0_NS1_11comp_targetILNS1_3genE3ELNS1_11target_archE908ELNS1_3gpuE7ELNS1_3repE0EEENS1_30default_config_static_selectorELNS0_4arch9wavefront6targetE0EEEvS11_, .Lfunc_end527-_ZN7rocprim17ROCPRIM_400000_NS6detail17trampoline_kernelINS0_14default_configENS1_21merge_config_selectorINS0_5tupleIJyyEEENS0_10empty_typeEEEZNS1_10merge_implIS3_NS0_12zip_iteratorINS5_IJN6thrust23THRUST_200600_302600_NS6detail15normal_iteratorINSC_10device_ptrIKyEEEESI_EEEEESK_NSA_INS5_IJNSC_16discard_iteratorINSC_11use_defaultEEESN_EEEEEPS7_SQ_SQ_NSC_11hip_rocprim7__merge17predicate_wrapperIyyNSC_4lessIyEEEEEE10hipError_tPvRmT0_T1_T2_T3_T4_T5_mmT6_P12ihipStream_tbEUlT_E0_NS1_11comp_targetILNS1_3genE3ELNS1_11target_archE908ELNS1_3gpuE7ELNS1_3repE0EEENS1_30default_config_static_selectorELNS0_4arch9wavefront6targetE0EEEvS11_
                                        ; -- End function
	.set _ZN7rocprim17ROCPRIM_400000_NS6detail17trampoline_kernelINS0_14default_configENS1_21merge_config_selectorINS0_5tupleIJyyEEENS0_10empty_typeEEEZNS1_10merge_implIS3_NS0_12zip_iteratorINS5_IJN6thrust23THRUST_200600_302600_NS6detail15normal_iteratorINSC_10device_ptrIKyEEEESI_EEEEESK_NSA_INS5_IJNSC_16discard_iteratorINSC_11use_defaultEEESN_EEEEEPS7_SQ_SQ_NSC_11hip_rocprim7__merge17predicate_wrapperIyyNSC_4lessIyEEEEEE10hipError_tPvRmT0_T1_T2_T3_T4_T5_mmT6_P12ihipStream_tbEUlT_E0_NS1_11comp_targetILNS1_3genE3ELNS1_11target_archE908ELNS1_3gpuE7ELNS1_3repE0EEENS1_30default_config_static_selectorELNS0_4arch9wavefront6targetE0EEEvS11_.num_vgpr, 0
	.set _ZN7rocprim17ROCPRIM_400000_NS6detail17trampoline_kernelINS0_14default_configENS1_21merge_config_selectorINS0_5tupleIJyyEEENS0_10empty_typeEEEZNS1_10merge_implIS3_NS0_12zip_iteratorINS5_IJN6thrust23THRUST_200600_302600_NS6detail15normal_iteratorINSC_10device_ptrIKyEEEESI_EEEEESK_NSA_INS5_IJNSC_16discard_iteratorINSC_11use_defaultEEESN_EEEEEPS7_SQ_SQ_NSC_11hip_rocprim7__merge17predicate_wrapperIyyNSC_4lessIyEEEEEE10hipError_tPvRmT0_T1_T2_T3_T4_T5_mmT6_P12ihipStream_tbEUlT_E0_NS1_11comp_targetILNS1_3genE3ELNS1_11target_archE908ELNS1_3gpuE7ELNS1_3repE0EEENS1_30default_config_static_selectorELNS0_4arch9wavefront6targetE0EEEvS11_.num_agpr, 0
	.set _ZN7rocprim17ROCPRIM_400000_NS6detail17trampoline_kernelINS0_14default_configENS1_21merge_config_selectorINS0_5tupleIJyyEEENS0_10empty_typeEEEZNS1_10merge_implIS3_NS0_12zip_iteratorINS5_IJN6thrust23THRUST_200600_302600_NS6detail15normal_iteratorINSC_10device_ptrIKyEEEESI_EEEEESK_NSA_INS5_IJNSC_16discard_iteratorINSC_11use_defaultEEESN_EEEEEPS7_SQ_SQ_NSC_11hip_rocprim7__merge17predicate_wrapperIyyNSC_4lessIyEEEEEE10hipError_tPvRmT0_T1_T2_T3_T4_T5_mmT6_P12ihipStream_tbEUlT_E0_NS1_11comp_targetILNS1_3genE3ELNS1_11target_archE908ELNS1_3gpuE7ELNS1_3repE0EEENS1_30default_config_static_selectorELNS0_4arch9wavefront6targetE0EEEvS11_.numbered_sgpr, 0
	.set _ZN7rocprim17ROCPRIM_400000_NS6detail17trampoline_kernelINS0_14default_configENS1_21merge_config_selectorINS0_5tupleIJyyEEENS0_10empty_typeEEEZNS1_10merge_implIS3_NS0_12zip_iteratorINS5_IJN6thrust23THRUST_200600_302600_NS6detail15normal_iteratorINSC_10device_ptrIKyEEEESI_EEEEESK_NSA_INS5_IJNSC_16discard_iteratorINSC_11use_defaultEEESN_EEEEEPS7_SQ_SQ_NSC_11hip_rocprim7__merge17predicate_wrapperIyyNSC_4lessIyEEEEEE10hipError_tPvRmT0_T1_T2_T3_T4_T5_mmT6_P12ihipStream_tbEUlT_E0_NS1_11comp_targetILNS1_3genE3ELNS1_11target_archE908ELNS1_3gpuE7ELNS1_3repE0EEENS1_30default_config_static_selectorELNS0_4arch9wavefront6targetE0EEEvS11_.num_named_barrier, 0
	.set _ZN7rocprim17ROCPRIM_400000_NS6detail17trampoline_kernelINS0_14default_configENS1_21merge_config_selectorINS0_5tupleIJyyEEENS0_10empty_typeEEEZNS1_10merge_implIS3_NS0_12zip_iteratorINS5_IJN6thrust23THRUST_200600_302600_NS6detail15normal_iteratorINSC_10device_ptrIKyEEEESI_EEEEESK_NSA_INS5_IJNSC_16discard_iteratorINSC_11use_defaultEEESN_EEEEEPS7_SQ_SQ_NSC_11hip_rocprim7__merge17predicate_wrapperIyyNSC_4lessIyEEEEEE10hipError_tPvRmT0_T1_T2_T3_T4_T5_mmT6_P12ihipStream_tbEUlT_E0_NS1_11comp_targetILNS1_3genE3ELNS1_11target_archE908ELNS1_3gpuE7ELNS1_3repE0EEENS1_30default_config_static_selectorELNS0_4arch9wavefront6targetE0EEEvS11_.private_seg_size, 0
	.set _ZN7rocprim17ROCPRIM_400000_NS6detail17trampoline_kernelINS0_14default_configENS1_21merge_config_selectorINS0_5tupleIJyyEEENS0_10empty_typeEEEZNS1_10merge_implIS3_NS0_12zip_iteratorINS5_IJN6thrust23THRUST_200600_302600_NS6detail15normal_iteratorINSC_10device_ptrIKyEEEESI_EEEEESK_NSA_INS5_IJNSC_16discard_iteratorINSC_11use_defaultEEESN_EEEEEPS7_SQ_SQ_NSC_11hip_rocprim7__merge17predicate_wrapperIyyNSC_4lessIyEEEEEE10hipError_tPvRmT0_T1_T2_T3_T4_T5_mmT6_P12ihipStream_tbEUlT_E0_NS1_11comp_targetILNS1_3genE3ELNS1_11target_archE908ELNS1_3gpuE7ELNS1_3repE0EEENS1_30default_config_static_selectorELNS0_4arch9wavefront6targetE0EEEvS11_.uses_vcc, 0
	.set _ZN7rocprim17ROCPRIM_400000_NS6detail17trampoline_kernelINS0_14default_configENS1_21merge_config_selectorINS0_5tupleIJyyEEENS0_10empty_typeEEEZNS1_10merge_implIS3_NS0_12zip_iteratorINS5_IJN6thrust23THRUST_200600_302600_NS6detail15normal_iteratorINSC_10device_ptrIKyEEEESI_EEEEESK_NSA_INS5_IJNSC_16discard_iteratorINSC_11use_defaultEEESN_EEEEEPS7_SQ_SQ_NSC_11hip_rocprim7__merge17predicate_wrapperIyyNSC_4lessIyEEEEEE10hipError_tPvRmT0_T1_T2_T3_T4_T5_mmT6_P12ihipStream_tbEUlT_E0_NS1_11comp_targetILNS1_3genE3ELNS1_11target_archE908ELNS1_3gpuE7ELNS1_3repE0EEENS1_30default_config_static_selectorELNS0_4arch9wavefront6targetE0EEEvS11_.uses_flat_scratch, 0
	.set _ZN7rocprim17ROCPRIM_400000_NS6detail17trampoline_kernelINS0_14default_configENS1_21merge_config_selectorINS0_5tupleIJyyEEENS0_10empty_typeEEEZNS1_10merge_implIS3_NS0_12zip_iteratorINS5_IJN6thrust23THRUST_200600_302600_NS6detail15normal_iteratorINSC_10device_ptrIKyEEEESI_EEEEESK_NSA_INS5_IJNSC_16discard_iteratorINSC_11use_defaultEEESN_EEEEEPS7_SQ_SQ_NSC_11hip_rocprim7__merge17predicate_wrapperIyyNSC_4lessIyEEEEEE10hipError_tPvRmT0_T1_T2_T3_T4_T5_mmT6_P12ihipStream_tbEUlT_E0_NS1_11comp_targetILNS1_3genE3ELNS1_11target_archE908ELNS1_3gpuE7ELNS1_3repE0EEENS1_30default_config_static_selectorELNS0_4arch9wavefront6targetE0EEEvS11_.has_dyn_sized_stack, 0
	.set _ZN7rocprim17ROCPRIM_400000_NS6detail17trampoline_kernelINS0_14default_configENS1_21merge_config_selectorINS0_5tupleIJyyEEENS0_10empty_typeEEEZNS1_10merge_implIS3_NS0_12zip_iteratorINS5_IJN6thrust23THRUST_200600_302600_NS6detail15normal_iteratorINSC_10device_ptrIKyEEEESI_EEEEESK_NSA_INS5_IJNSC_16discard_iteratorINSC_11use_defaultEEESN_EEEEEPS7_SQ_SQ_NSC_11hip_rocprim7__merge17predicate_wrapperIyyNSC_4lessIyEEEEEE10hipError_tPvRmT0_T1_T2_T3_T4_T5_mmT6_P12ihipStream_tbEUlT_E0_NS1_11comp_targetILNS1_3genE3ELNS1_11target_archE908ELNS1_3gpuE7ELNS1_3repE0EEENS1_30default_config_static_selectorELNS0_4arch9wavefront6targetE0EEEvS11_.has_recursion, 0
	.set _ZN7rocprim17ROCPRIM_400000_NS6detail17trampoline_kernelINS0_14default_configENS1_21merge_config_selectorINS0_5tupleIJyyEEENS0_10empty_typeEEEZNS1_10merge_implIS3_NS0_12zip_iteratorINS5_IJN6thrust23THRUST_200600_302600_NS6detail15normal_iteratorINSC_10device_ptrIKyEEEESI_EEEEESK_NSA_INS5_IJNSC_16discard_iteratorINSC_11use_defaultEEESN_EEEEEPS7_SQ_SQ_NSC_11hip_rocprim7__merge17predicate_wrapperIyyNSC_4lessIyEEEEEE10hipError_tPvRmT0_T1_T2_T3_T4_T5_mmT6_P12ihipStream_tbEUlT_E0_NS1_11comp_targetILNS1_3genE3ELNS1_11target_archE908ELNS1_3gpuE7ELNS1_3repE0EEENS1_30default_config_static_selectorELNS0_4arch9wavefront6targetE0EEEvS11_.has_indirect_call, 0
	.section	.AMDGPU.csdata,"",@progbits
; Kernel info:
; codeLenInByte = 0
; TotalNumSgprs: 0
; NumVgprs: 0
; ScratchSize: 0
; MemoryBound: 0
; FloatMode: 240
; IeeeMode: 1
; LDSByteSize: 0 bytes/workgroup (compile time only)
; SGPRBlocks: 0
; VGPRBlocks: 0
; NumSGPRsForWavesPerEU: 1
; NumVGPRsForWavesPerEU: 1
; Occupancy: 16
; WaveLimiterHint : 0
; COMPUTE_PGM_RSRC2:SCRATCH_EN: 0
; COMPUTE_PGM_RSRC2:USER_SGPR: 6
; COMPUTE_PGM_RSRC2:TRAP_HANDLER: 0
; COMPUTE_PGM_RSRC2:TGID_X_EN: 1
; COMPUTE_PGM_RSRC2:TGID_Y_EN: 0
; COMPUTE_PGM_RSRC2:TGID_Z_EN: 0
; COMPUTE_PGM_RSRC2:TIDIG_COMP_CNT: 0
	.section	.text._ZN7rocprim17ROCPRIM_400000_NS6detail17trampoline_kernelINS0_14default_configENS1_21merge_config_selectorINS0_5tupleIJyyEEENS0_10empty_typeEEEZNS1_10merge_implIS3_NS0_12zip_iteratorINS5_IJN6thrust23THRUST_200600_302600_NS6detail15normal_iteratorINSC_10device_ptrIKyEEEESI_EEEEESK_NSA_INS5_IJNSC_16discard_iteratorINSC_11use_defaultEEESN_EEEEEPS7_SQ_SQ_NSC_11hip_rocprim7__merge17predicate_wrapperIyyNSC_4lessIyEEEEEE10hipError_tPvRmT0_T1_T2_T3_T4_T5_mmT6_P12ihipStream_tbEUlT_E0_NS1_11comp_targetILNS1_3genE2ELNS1_11target_archE906ELNS1_3gpuE6ELNS1_3repE0EEENS1_30default_config_static_selectorELNS0_4arch9wavefront6targetE0EEEvS11_,"axG",@progbits,_ZN7rocprim17ROCPRIM_400000_NS6detail17trampoline_kernelINS0_14default_configENS1_21merge_config_selectorINS0_5tupleIJyyEEENS0_10empty_typeEEEZNS1_10merge_implIS3_NS0_12zip_iteratorINS5_IJN6thrust23THRUST_200600_302600_NS6detail15normal_iteratorINSC_10device_ptrIKyEEEESI_EEEEESK_NSA_INS5_IJNSC_16discard_iteratorINSC_11use_defaultEEESN_EEEEEPS7_SQ_SQ_NSC_11hip_rocprim7__merge17predicate_wrapperIyyNSC_4lessIyEEEEEE10hipError_tPvRmT0_T1_T2_T3_T4_T5_mmT6_P12ihipStream_tbEUlT_E0_NS1_11comp_targetILNS1_3genE2ELNS1_11target_archE906ELNS1_3gpuE6ELNS1_3repE0EEENS1_30default_config_static_selectorELNS0_4arch9wavefront6targetE0EEEvS11_,comdat
	.protected	_ZN7rocprim17ROCPRIM_400000_NS6detail17trampoline_kernelINS0_14default_configENS1_21merge_config_selectorINS0_5tupleIJyyEEENS0_10empty_typeEEEZNS1_10merge_implIS3_NS0_12zip_iteratorINS5_IJN6thrust23THRUST_200600_302600_NS6detail15normal_iteratorINSC_10device_ptrIKyEEEESI_EEEEESK_NSA_INS5_IJNSC_16discard_iteratorINSC_11use_defaultEEESN_EEEEEPS7_SQ_SQ_NSC_11hip_rocprim7__merge17predicate_wrapperIyyNSC_4lessIyEEEEEE10hipError_tPvRmT0_T1_T2_T3_T4_T5_mmT6_P12ihipStream_tbEUlT_E0_NS1_11comp_targetILNS1_3genE2ELNS1_11target_archE906ELNS1_3gpuE6ELNS1_3repE0EEENS1_30default_config_static_selectorELNS0_4arch9wavefront6targetE0EEEvS11_ ; -- Begin function _ZN7rocprim17ROCPRIM_400000_NS6detail17trampoline_kernelINS0_14default_configENS1_21merge_config_selectorINS0_5tupleIJyyEEENS0_10empty_typeEEEZNS1_10merge_implIS3_NS0_12zip_iteratorINS5_IJN6thrust23THRUST_200600_302600_NS6detail15normal_iteratorINSC_10device_ptrIKyEEEESI_EEEEESK_NSA_INS5_IJNSC_16discard_iteratorINSC_11use_defaultEEESN_EEEEEPS7_SQ_SQ_NSC_11hip_rocprim7__merge17predicate_wrapperIyyNSC_4lessIyEEEEEE10hipError_tPvRmT0_T1_T2_T3_T4_T5_mmT6_P12ihipStream_tbEUlT_E0_NS1_11comp_targetILNS1_3genE2ELNS1_11target_archE906ELNS1_3gpuE6ELNS1_3repE0EEENS1_30default_config_static_selectorELNS0_4arch9wavefront6targetE0EEEvS11_
	.globl	_ZN7rocprim17ROCPRIM_400000_NS6detail17trampoline_kernelINS0_14default_configENS1_21merge_config_selectorINS0_5tupleIJyyEEENS0_10empty_typeEEEZNS1_10merge_implIS3_NS0_12zip_iteratorINS5_IJN6thrust23THRUST_200600_302600_NS6detail15normal_iteratorINSC_10device_ptrIKyEEEESI_EEEEESK_NSA_INS5_IJNSC_16discard_iteratorINSC_11use_defaultEEESN_EEEEEPS7_SQ_SQ_NSC_11hip_rocprim7__merge17predicate_wrapperIyyNSC_4lessIyEEEEEE10hipError_tPvRmT0_T1_T2_T3_T4_T5_mmT6_P12ihipStream_tbEUlT_E0_NS1_11comp_targetILNS1_3genE2ELNS1_11target_archE906ELNS1_3gpuE6ELNS1_3repE0EEENS1_30default_config_static_selectorELNS0_4arch9wavefront6targetE0EEEvS11_
	.p2align	8
	.type	_ZN7rocprim17ROCPRIM_400000_NS6detail17trampoline_kernelINS0_14default_configENS1_21merge_config_selectorINS0_5tupleIJyyEEENS0_10empty_typeEEEZNS1_10merge_implIS3_NS0_12zip_iteratorINS5_IJN6thrust23THRUST_200600_302600_NS6detail15normal_iteratorINSC_10device_ptrIKyEEEESI_EEEEESK_NSA_INS5_IJNSC_16discard_iteratorINSC_11use_defaultEEESN_EEEEEPS7_SQ_SQ_NSC_11hip_rocprim7__merge17predicate_wrapperIyyNSC_4lessIyEEEEEE10hipError_tPvRmT0_T1_T2_T3_T4_T5_mmT6_P12ihipStream_tbEUlT_E0_NS1_11comp_targetILNS1_3genE2ELNS1_11target_archE906ELNS1_3gpuE6ELNS1_3repE0EEENS1_30default_config_static_selectorELNS0_4arch9wavefront6targetE0EEEvS11_,@function
_ZN7rocprim17ROCPRIM_400000_NS6detail17trampoline_kernelINS0_14default_configENS1_21merge_config_selectorINS0_5tupleIJyyEEENS0_10empty_typeEEEZNS1_10merge_implIS3_NS0_12zip_iteratorINS5_IJN6thrust23THRUST_200600_302600_NS6detail15normal_iteratorINSC_10device_ptrIKyEEEESI_EEEEESK_NSA_INS5_IJNSC_16discard_iteratorINSC_11use_defaultEEESN_EEEEEPS7_SQ_SQ_NSC_11hip_rocprim7__merge17predicate_wrapperIyyNSC_4lessIyEEEEEE10hipError_tPvRmT0_T1_T2_T3_T4_T5_mmT6_P12ihipStream_tbEUlT_E0_NS1_11comp_targetILNS1_3genE2ELNS1_11target_archE906ELNS1_3gpuE6ELNS1_3repE0EEENS1_30default_config_static_selectorELNS0_4arch9wavefront6targetE0EEEvS11_: ; @_ZN7rocprim17ROCPRIM_400000_NS6detail17trampoline_kernelINS0_14default_configENS1_21merge_config_selectorINS0_5tupleIJyyEEENS0_10empty_typeEEEZNS1_10merge_implIS3_NS0_12zip_iteratorINS5_IJN6thrust23THRUST_200600_302600_NS6detail15normal_iteratorINSC_10device_ptrIKyEEEESI_EEEEESK_NSA_INS5_IJNSC_16discard_iteratorINSC_11use_defaultEEESN_EEEEEPS7_SQ_SQ_NSC_11hip_rocprim7__merge17predicate_wrapperIyyNSC_4lessIyEEEEEE10hipError_tPvRmT0_T1_T2_T3_T4_T5_mmT6_P12ihipStream_tbEUlT_E0_NS1_11comp_targetILNS1_3genE2ELNS1_11target_archE906ELNS1_3gpuE6ELNS1_3repE0EEENS1_30default_config_static_selectorELNS0_4arch9wavefront6targetE0EEEvS11_
; %bb.0:
	.section	.rodata,"a",@progbits
	.p2align	6, 0x0
	.amdhsa_kernel _ZN7rocprim17ROCPRIM_400000_NS6detail17trampoline_kernelINS0_14default_configENS1_21merge_config_selectorINS0_5tupleIJyyEEENS0_10empty_typeEEEZNS1_10merge_implIS3_NS0_12zip_iteratorINS5_IJN6thrust23THRUST_200600_302600_NS6detail15normal_iteratorINSC_10device_ptrIKyEEEESI_EEEEESK_NSA_INS5_IJNSC_16discard_iteratorINSC_11use_defaultEEESN_EEEEEPS7_SQ_SQ_NSC_11hip_rocprim7__merge17predicate_wrapperIyyNSC_4lessIyEEEEEE10hipError_tPvRmT0_T1_T2_T3_T4_T5_mmT6_P12ihipStream_tbEUlT_E0_NS1_11comp_targetILNS1_3genE2ELNS1_11target_archE906ELNS1_3gpuE6ELNS1_3repE0EEENS1_30default_config_static_selectorELNS0_4arch9wavefront6targetE0EEEvS11_
		.amdhsa_group_segment_fixed_size 0
		.amdhsa_private_segment_fixed_size 0
		.amdhsa_kernarg_size 128
		.amdhsa_user_sgpr_count 6
		.amdhsa_user_sgpr_private_segment_buffer 1
		.amdhsa_user_sgpr_dispatch_ptr 0
		.amdhsa_user_sgpr_queue_ptr 0
		.amdhsa_user_sgpr_kernarg_segment_ptr 1
		.amdhsa_user_sgpr_dispatch_id 0
		.amdhsa_user_sgpr_flat_scratch_init 0
		.amdhsa_user_sgpr_private_segment_size 0
		.amdhsa_wavefront_size32 1
		.amdhsa_uses_dynamic_stack 0
		.amdhsa_system_sgpr_private_segment_wavefront_offset 0
		.amdhsa_system_sgpr_workgroup_id_x 1
		.amdhsa_system_sgpr_workgroup_id_y 0
		.amdhsa_system_sgpr_workgroup_id_z 0
		.amdhsa_system_sgpr_workgroup_info 0
		.amdhsa_system_vgpr_workitem_id 0
		.amdhsa_next_free_vgpr 1
		.amdhsa_next_free_sgpr 1
		.amdhsa_reserve_vcc 0
		.amdhsa_reserve_flat_scratch 0
		.amdhsa_float_round_mode_32 0
		.amdhsa_float_round_mode_16_64 0
		.amdhsa_float_denorm_mode_32 3
		.amdhsa_float_denorm_mode_16_64 3
		.amdhsa_dx10_clamp 1
		.amdhsa_ieee_mode 1
		.amdhsa_fp16_overflow 0
		.amdhsa_workgroup_processor_mode 1
		.amdhsa_memory_ordered 1
		.amdhsa_forward_progress 1
		.amdhsa_shared_vgpr_count 0
		.amdhsa_exception_fp_ieee_invalid_op 0
		.amdhsa_exception_fp_denorm_src 0
		.amdhsa_exception_fp_ieee_div_zero 0
		.amdhsa_exception_fp_ieee_overflow 0
		.amdhsa_exception_fp_ieee_underflow 0
		.amdhsa_exception_fp_ieee_inexact 0
		.amdhsa_exception_int_div_zero 0
	.end_amdhsa_kernel
	.section	.text._ZN7rocprim17ROCPRIM_400000_NS6detail17trampoline_kernelINS0_14default_configENS1_21merge_config_selectorINS0_5tupleIJyyEEENS0_10empty_typeEEEZNS1_10merge_implIS3_NS0_12zip_iteratorINS5_IJN6thrust23THRUST_200600_302600_NS6detail15normal_iteratorINSC_10device_ptrIKyEEEESI_EEEEESK_NSA_INS5_IJNSC_16discard_iteratorINSC_11use_defaultEEESN_EEEEEPS7_SQ_SQ_NSC_11hip_rocprim7__merge17predicate_wrapperIyyNSC_4lessIyEEEEEE10hipError_tPvRmT0_T1_T2_T3_T4_T5_mmT6_P12ihipStream_tbEUlT_E0_NS1_11comp_targetILNS1_3genE2ELNS1_11target_archE906ELNS1_3gpuE6ELNS1_3repE0EEENS1_30default_config_static_selectorELNS0_4arch9wavefront6targetE0EEEvS11_,"axG",@progbits,_ZN7rocprim17ROCPRIM_400000_NS6detail17trampoline_kernelINS0_14default_configENS1_21merge_config_selectorINS0_5tupleIJyyEEENS0_10empty_typeEEEZNS1_10merge_implIS3_NS0_12zip_iteratorINS5_IJN6thrust23THRUST_200600_302600_NS6detail15normal_iteratorINSC_10device_ptrIKyEEEESI_EEEEESK_NSA_INS5_IJNSC_16discard_iteratorINSC_11use_defaultEEESN_EEEEEPS7_SQ_SQ_NSC_11hip_rocprim7__merge17predicate_wrapperIyyNSC_4lessIyEEEEEE10hipError_tPvRmT0_T1_T2_T3_T4_T5_mmT6_P12ihipStream_tbEUlT_E0_NS1_11comp_targetILNS1_3genE2ELNS1_11target_archE906ELNS1_3gpuE6ELNS1_3repE0EEENS1_30default_config_static_selectorELNS0_4arch9wavefront6targetE0EEEvS11_,comdat
.Lfunc_end528:
	.size	_ZN7rocprim17ROCPRIM_400000_NS6detail17trampoline_kernelINS0_14default_configENS1_21merge_config_selectorINS0_5tupleIJyyEEENS0_10empty_typeEEEZNS1_10merge_implIS3_NS0_12zip_iteratorINS5_IJN6thrust23THRUST_200600_302600_NS6detail15normal_iteratorINSC_10device_ptrIKyEEEESI_EEEEESK_NSA_INS5_IJNSC_16discard_iteratorINSC_11use_defaultEEESN_EEEEEPS7_SQ_SQ_NSC_11hip_rocprim7__merge17predicate_wrapperIyyNSC_4lessIyEEEEEE10hipError_tPvRmT0_T1_T2_T3_T4_T5_mmT6_P12ihipStream_tbEUlT_E0_NS1_11comp_targetILNS1_3genE2ELNS1_11target_archE906ELNS1_3gpuE6ELNS1_3repE0EEENS1_30default_config_static_selectorELNS0_4arch9wavefront6targetE0EEEvS11_, .Lfunc_end528-_ZN7rocprim17ROCPRIM_400000_NS6detail17trampoline_kernelINS0_14default_configENS1_21merge_config_selectorINS0_5tupleIJyyEEENS0_10empty_typeEEEZNS1_10merge_implIS3_NS0_12zip_iteratorINS5_IJN6thrust23THRUST_200600_302600_NS6detail15normal_iteratorINSC_10device_ptrIKyEEEESI_EEEEESK_NSA_INS5_IJNSC_16discard_iteratorINSC_11use_defaultEEESN_EEEEEPS7_SQ_SQ_NSC_11hip_rocprim7__merge17predicate_wrapperIyyNSC_4lessIyEEEEEE10hipError_tPvRmT0_T1_T2_T3_T4_T5_mmT6_P12ihipStream_tbEUlT_E0_NS1_11comp_targetILNS1_3genE2ELNS1_11target_archE906ELNS1_3gpuE6ELNS1_3repE0EEENS1_30default_config_static_selectorELNS0_4arch9wavefront6targetE0EEEvS11_
                                        ; -- End function
	.set _ZN7rocprim17ROCPRIM_400000_NS6detail17trampoline_kernelINS0_14default_configENS1_21merge_config_selectorINS0_5tupleIJyyEEENS0_10empty_typeEEEZNS1_10merge_implIS3_NS0_12zip_iteratorINS5_IJN6thrust23THRUST_200600_302600_NS6detail15normal_iteratorINSC_10device_ptrIKyEEEESI_EEEEESK_NSA_INS5_IJNSC_16discard_iteratorINSC_11use_defaultEEESN_EEEEEPS7_SQ_SQ_NSC_11hip_rocprim7__merge17predicate_wrapperIyyNSC_4lessIyEEEEEE10hipError_tPvRmT0_T1_T2_T3_T4_T5_mmT6_P12ihipStream_tbEUlT_E0_NS1_11comp_targetILNS1_3genE2ELNS1_11target_archE906ELNS1_3gpuE6ELNS1_3repE0EEENS1_30default_config_static_selectorELNS0_4arch9wavefront6targetE0EEEvS11_.num_vgpr, 0
	.set _ZN7rocprim17ROCPRIM_400000_NS6detail17trampoline_kernelINS0_14default_configENS1_21merge_config_selectorINS0_5tupleIJyyEEENS0_10empty_typeEEEZNS1_10merge_implIS3_NS0_12zip_iteratorINS5_IJN6thrust23THRUST_200600_302600_NS6detail15normal_iteratorINSC_10device_ptrIKyEEEESI_EEEEESK_NSA_INS5_IJNSC_16discard_iteratorINSC_11use_defaultEEESN_EEEEEPS7_SQ_SQ_NSC_11hip_rocprim7__merge17predicate_wrapperIyyNSC_4lessIyEEEEEE10hipError_tPvRmT0_T1_T2_T3_T4_T5_mmT6_P12ihipStream_tbEUlT_E0_NS1_11comp_targetILNS1_3genE2ELNS1_11target_archE906ELNS1_3gpuE6ELNS1_3repE0EEENS1_30default_config_static_selectorELNS0_4arch9wavefront6targetE0EEEvS11_.num_agpr, 0
	.set _ZN7rocprim17ROCPRIM_400000_NS6detail17trampoline_kernelINS0_14default_configENS1_21merge_config_selectorINS0_5tupleIJyyEEENS0_10empty_typeEEEZNS1_10merge_implIS3_NS0_12zip_iteratorINS5_IJN6thrust23THRUST_200600_302600_NS6detail15normal_iteratorINSC_10device_ptrIKyEEEESI_EEEEESK_NSA_INS5_IJNSC_16discard_iteratorINSC_11use_defaultEEESN_EEEEEPS7_SQ_SQ_NSC_11hip_rocprim7__merge17predicate_wrapperIyyNSC_4lessIyEEEEEE10hipError_tPvRmT0_T1_T2_T3_T4_T5_mmT6_P12ihipStream_tbEUlT_E0_NS1_11comp_targetILNS1_3genE2ELNS1_11target_archE906ELNS1_3gpuE6ELNS1_3repE0EEENS1_30default_config_static_selectorELNS0_4arch9wavefront6targetE0EEEvS11_.numbered_sgpr, 0
	.set _ZN7rocprim17ROCPRIM_400000_NS6detail17trampoline_kernelINS0_14default_configENS1_21merge_config_selectorINS0_5tupleIJyyEEENS0_10empty_typeEEEZNS1_10merge_implIS3_NS0_12zip_iteratorINS5_IJN6thrust23THRUST_200600_302600_NS6detail15normal_iteratorINSC_10device_ptrIKyEEEESI_EEEEESK_NSA_INS5_IJNSC_16discard_iteratorINSC_11use_defaultEEESN_EEEEEPS7_SQ_SQ_NSC_11hip_rocprim7__merge17predicate_wrapperIyyNSC_4lessIyEEEEEE10hipError_tPvRmT0_T1_T2_T3_T4_T5_mmT6_P12ihipStream_tbEUlT_E0_NS1_11comp_targetILNS1_3genE2ELNS1_11target_archE906ELNS1_3gpuE6ELNS1_3repE0EEENS1_30default_config_static_selectorELNS0_4arch9wavefront6targetE0EEEvS11_.num_named_barrier, 0
	.set _ZN7rocprim17ROCPRIM_400000_NS6detail17trampoline_kernelINS0_14default_configENS1_21merge_config_selectorINS0_5tupleIJyyEEENS0_10empty_typeEEEZNS1_10merge_implIS3_NS0_12zip_iteratorINS5_IJN6thrust23THRUST_200600_302600_NS6detail15normal_iteratorINSC_10device_ptrIKyEEEESI_EEEEESK_NSA_INS5_IJNSC_16discard_iteratorINSC_11use_defaultEEESN_EEEEEPS7_SQ_SQ_NSC_11hip_rocprim7__merge17predicate_wrapperIyyNSC_4lessIyEEEEEE10hipError_tPvRmT0_T1_T2_T3_T4_T5_mmT6_P12ihipStream_tbEUlT_E0_NS1_11comp_targetILNS1_3genE2ELNS1_11target_archE906ELNS1_3gpuE6ELNS1_3repE0EEENS1_30default_config_static_selectorELNS0_4arch9wavefront6targetE0EEEvS11_.private_seg_size, 0
	.set _ZN7rocprim17ROCPRIM_400000_NS6detail17trampoline_kernelINS0_14default_configENS1_21merge_config_selectorINS0_5tupleIJyyEEENS0_10empty_typeEEEZNS1_10merge_implIS3_NS0_12zip_iteratorINS5_IJN6thrust23THRUST_200600_302600_NS6detail15normal_iteratorINSC_10device_ptrIKyEEEESI_EEEEESK_NSA_INS5_IJNSC_16discard_iteratorINSC_11use_defaultEEESN_EEEEEPS7_SQ_SQ_NSC_11hip_rocprim7__merge17predicate_wrapperIyyNSC_4lessIyEEEEEE10hipError_tPvRmT0_T1_T2_T3_T4_T5_mmT6_P12ihipStream_tbEUlT_E0_NS1_11comp_targetILNS1_3genE2ELNS1_11target_archE906ELNS1_3gpuE6ELNS1_3repE0EEENS1_30default_config_static_selectorELNS0_4arch9wavefront6targetE0EEEvS11_.uses_vcc, 0
	.set _ZN7rocprim17ROCPRIM_400000_NS6detail17trampoline_kernelINS0_14default_configENS1_21merge_config_selectorINS0_5tupleIJyyEEENS0_10empty_typeEEEZNS1_10merge_implIS3_NS0_12zip_iteratorINS5_IJN6thrust23THRUST_200600_302600_NS6detail15normal_iteratorINSC_10device_ptrIKyEEEESI_EEEEESK_NSA_INS5_IJNSC_16discard_iteratorINSC_11use_defaultEEESN_EEEEEPS7_SQ_SQ_NSC_11hip_rocprim7__merge17predicate_wrapperIyyNSC_4lessIyEEEEEE10hipError_tPvRmT0_T1_T2_T3_T4_T5_mmT6_P12ihipStream_tbEUlT_E0_NS1_11comp_targetILNS1_3genE2ELNS1_11target_archE906ELNS1_3gpuE6ELNS1_3repE0EEENS1_30default_config_static_selectorELNS0_4arch9wavefront6targetE0EEEvS11_.uses_flat_scratch, 0
	.set _ZN7rocprim17ROCPRIM_400000_NS6detail17trampoline_kernelINS0_14default_configENS1_21merge_config_selectorINS0_5tupleIJyyEEENS0_10empty_typeEEEZNS1_10merge_implIS3_NS0_12zip_iteratorINS5_IJN6thrust23THRUST_200600_302600_NS6detail15normal_iteratorINSC_10device_ptrIKyEEEESI_EEEEESK_NSA_INS5_IJNSC_16discard_iteratorINSC_11use_defaultEEESN_EEEEEPS7_SQ_SQ_NSC_11hip_rocprim7__merge17predicate_wrapperIyyNSC_4lessIyEEEEEE10hipError_tPvRmT0_T1_T2_T3_T4_T5_mmT6_P12ihipStream_tbEUlT_E0_NS1_11comp_targetILNS1_3genE2ELNS1_11target_archE906ELNS1_3gpuE6ELNS1_3repE0EEENS1_30default_config_static_selectorELNS0_4arch9wavefront6targetE0EEEvS11_.has_dyn_sized_stack, 0
	.set _ZN7rocprim17ROCPRIM_400000_NS6detail17trampoline_kernelINS0_14default_configENS1_21merge_config_selectorINS0_5tupleIJyyEEENS0_10empty_typeEEEZNS1_10merge_implIS3_NS0_12zip_iteratorINS5_IJN6thrust23THRUST_200600_302600_NS6detail15normal_iteratorINSC_10device_ptrIKyEEEESI_EEEEESK_NSA_INS5_IJNSC_16discard_iteratorINSC_11use_defaultEEESN_EEEEEPS7_SQ_SQ_NSC_11hip_rocprim7__merge17predicate_wrapperIyyNSC_4lessIyEEEEEE10hipError_tPvRmT0_T1_T2_T3_T4_T5_mmT6_P12ihipStream_tbEUlT_E0_NS1_11comp_targetILNS1_3genE2ELNS1_11target_archE906ELNS1_3gpuE6ELNS1_3repE0EEENS1_30default_config_static_selectorELNS0_4arch9wavefront6targetE0EEEvS11_.has_recursion, 0
	.set _ZN7rocprim17ROCPRIM_400000_NS6detail17trampoline_kernelINS0_14default_configENS1_21merge_config_selectorINS0_5tupleIJyyEEENS0_10empty_typeEEEZNS1_10merge_implIS3_NS0_12zip_iteratorINS5_IJN6thrust23THRUST_200600_302600_NS6detail15normal_iteratorINSC_10device_ptrIKyEEEESI_EEEEESK_NSA_INS5_IJNSC_16discard_iteratorINSC_11use_defaultEEESN_EEEEEPS7_SQ_SQ_NSC_11hip_rocprim7__merge17predicate_wrapperIyyNSC_4lessIyEEEEEE10hipError_tPvRmT0_T1_T2_T3_T4_T5_mmT6_P12ihipStream_tbEUlT_E0_NS1_11comp_targetILNS1_3genE2ELNS1_11target_archE906ELNS1_3gpuE6ELNS1_3repE0EEENS1_30default_config_static_selectorELNS0_4arch9wavefront6targetE0EEEvS11_.has_indirect_call, 0
	.section	.AMDGPU.csdata,"",@progbits
; Kernel info:
; codeLenInByte = 0
; TotalNumSgprs: 0
; NumVgprs: 0
; ScratchSize: 0
; MemoryBound: 0
; FloatMode: 240
; IeeeMode: 1
; LDSByteSize: 0 bytes/workgroup (compile time only)
; SGPRBlocks: 0
; VGPRBlocks: 0
; NumSGPRsForWavesPerEU: 1
; NumVGPRsForWavesPerEU: 1
; Occupancy: 16
; WaveLimiterHint : 0
; COMPUTE_PGM_RSRC2:SCRATCH_EN: 0
; COMPUTE_PGM_RSRC2:USER_SGPR: 6
; COMPUTE_PGM_RSRC2:TRAP_HANDLER: 0
; COMPUTE_PGM_RSRC2:TGID_X_EN: 1
; COMPUTE_PGM_RSRC2:TGID_Y_EN: 0
; COMPUTE_PGM_RSRC2:TGID_Z_EN: 0
; COMPUTE_PGM_RSRC2:TIDIG_COMP_CNT: 0
	.section	.text._ZN7rocprim17ROCPRIM_400000_NS6detail17trampoline_kernelINS0_14default_configENS1_21merge_config_selectorINS0_5tupleIJyyEEENS0_10empty_typeEEEZNS1_10merge_implIS3_NS0_12zip_iteratorINS5_IJN6thrust23THRUST_200600_302600_NS6detail15normal_iteratorINSC_10device_ptrIKyEEEESI_EEEEESK_NSA_INS5_IJNSC_16discard_iteratorINSC_11use_defaultEEESN_EEEEEPS7_SQ_SQ_NSC_11hip_rocprim7__merge17predicate_wrapperIyyNSC_4lessIyEEEEEE10hipError_tPvRmT0_T1_T2_T3_T4_T5_mmT6_P12ihipStream_tbEUlT_E0_NS1_11comp_targetILNS1_3genE10ELNS1_11target_archE1201ELNS1_3gpuE5ELNS1_3repE0EEENS1_30default_config_static_selectorELNS0_4arch9wavefront6targetE0EEEvS11_,"axG",@progbits,_ZN7rocprim17ROCPRIM_400000_NS6detail17trampoline_kernelINS0_14default_configENS1_21merge_config_selectorINS0_5tupleIJyyEEENS0_10empty_typeEEEZNS1_10merge_implIS3_NS0_12zip_iteratorINS5_IJN6thrust23THRUST_200600_302600_NS6detail15normal_iteratorINSC_10device_ptrIKyEEEESI_EEEEESK_NSA_INS5_IJNSC_16discard_iteratorINSC_11use_defaultEEESN_EEEEEPS7_SQ_SQ_NSC_11hip_rocprim7__merge17predicate_wrapperIyyNSC_4lessIyEEEEEE10hipError_tPvRmT0_T1_T2_T3_T4_T5_mmT6_P12ihipStream_tbEUlT_E0_NS1_11comp_targetILNS1_3genE10ELNS1_11target_archE1201ELNS1_3gpuE5ELNS1_3repE0EEENS1_30default_config_static_selectorELNS0_4arch9wavefront6targetE0EEEvS11_,comdat
	.protected	_ZN7rocprim17ROCPRIM_400000_NS6detail17trampoline_kernelINS0_14default_configENS1_21merge_config_selectorINS0_5tupleIJyyEEENS0_10empty_typeEEEZNS1_10merge_implIS3_NS0_12zip_iteratorINS5_IJN6thrust23THRUST_200600_302600_NS6detail15normal_iteratorINSC_10device_ptrIKyEEEESI_EEEEESK_NSA_INS5_IJNSC_16discard_iteratorINSC_11use_defaultEEESN_EEEEEPS7_SQ_SQ_NSC_11hip_rocprim7__merge17predicate_wrapperIyyNSC_4lessIyEEEEEE10hipError_tPvRmT0_T1_T2_T3_T4_T5_mmT6_P12ihipStream_tbEUlT_E0_NS1_11comp_targetILNS1_3genE10ELNS1_11target_archE1201ELNS1_3gpuE5ELNS1_3repE0EEENS1_30default_config_static_selectorELNS0_4arch9wavefront6targetE0EEEvS11_ ; -- Begin function _ZN7rocprim17ROCPRIM_400000_NS6detail17trampoline_kernelINS0_14default_configENS1_21merge_config_selectorINS0_5tupleIJyyEEENS0_10empty_typeEEEZNS1_10merge_implIS3_NS0_12zip_iteratorINS5_IJN6thrust23THRUST_200600_302600_NS6detail15normal_iteratorINSC_10device_ptrIKyEEEESI_EEEEESK_NSA_INS5_IJNSC_16discard_iteratorINSC_11use_defaultEEESN_EEEEEPS7_SQ_SQ_NSC_11hip_rocprim7__merge17predicate_wrapperIyyNSC_4lessIyEEEEEE10hipError_tPvRmT0_T1_T2_T3_T4_T5_mmT6_P12ihipStream_tbEUlT_E0_NS1_11comp_targetILNS1_3genE10ELNS1_11target_archE1201ELNS1_3gpuE5ELNS1_3repE0EEENS1_30default_config_static_selectorELNS0_4arch9wavefront6targetE0EEEvS11_
	.globl	_ZN7rocprim17ROCPRIM_400000_NS6detail17trampoline_kernelINS0_14default_configENS1_21merge_config_selectorINS0_5tupleIJyyEEENS0_10empty_typeEEEZNS1_10merge_implIS3_NS0_12zip_iteratorINS5_IJN6thrust23THRUST_200600_302600_NS6detail15normal_iteratorINSC_10device_ptrIKyEEEESI_EEEEESK_NSA_INS5_IJNSC_16discard_iteratorINSC_11use_defaultEEESN_EEEEEPS7_SQ_SQ_NSC_11hip_rocprim7__merge17predicate_wrapperIyyNSC_4lessIyEEEEEE10hipError_tPvRmT0_T1_T2_T3_T4_T5_mmT6_P12ihipStream_tbEUlT_E0_NS1_11comp_targetILNS1_3genE10ELNS1_11target_archE1201ELNS1_3gpuE5ELNS1_3repE0EEENS1_30default_config_static_selectorELNS0_4arch9wavefront6targetE0EEEvS11_
	.p2align	8
	.type	_ZN7rocprim17ROCPRIM_400000_NS6detail17trampoline_kernelINS0_14default_configENS1_21merge_config_selectorINS0_5tupleIJyyEEENS0_10empty_typeEEEZNS1_10merge_implIS3_NS0_12zip_iteratorINS5_IJN6thrust23THRUST_200600_302600_NS6detail15normal_iteratorINSC_10device_ptrIKyEEEESI_EEEEESK_NSA_INS5_IJNSC_16discard_iteratorINSC_11use_defaultEEESN_EEEEEPS7_SQ_SQ_NSC_11hip_rocprim7__merge17predicate_wrapperIyyNSC_4lessIyEEEEEE10hipError_tPvRmT0_T1_T2_T3_T4_T5_mmT6_P12ihipStream_tbEUlT_E0_NS1_11comp_targetILNS1_3genE10ELNS1_11target_archE1201ELNS1_3gpuE5ELNS1_3repE0EEENS1_30default_config_static_selectorELNS0_4arch9wavefront6targetE0EEEvS11_,@function
_ZN7rocprim17ROCPRIM_400000_NS6detail17trampoline_kernelINS0_14default_configENS1_21merge_config_selectorINS0_5tupleIJyyEEENS0_10empty_typeEEEZNS1_10merge_implIS3_NS0_12zip_iteratorINS5_IJN6thrust23THRUST_200600_302600_NS6detail15normal_iteratorINSC_10device_ptrIKyEEEESI_EEEEESK_NSA_INS5_IJNSC_16discard_iteratorINSC_11use_defaultEEESN_EEEEEPS7_SQ_SQ_NSC_11hip_rocprim7__merge17predicate_wrapperIyyNSC_4lessIyEEEEEE10hipError_tPvRmT0_T1_T2_T3_T4_T5_mmT6_P12ihipStream_tbEUlT_E0_NS1_11comp_targetILNS1_3genE10ELNS1_11target_archE1201ELNS1_3gpuE5ELNS1_3repE0EEENS1_30default_config_static_selectorELNS0_4arch9wavefront6targetE0EEEvS11_: ; @_ZN7rocprim17ROCPRIM_400000_NS6detail17trampoline_kernelINS0_14default_configENS1_21merge_config_selectorINS0_5tupleIJyyEEENS0_10empty_typeEEEZNS1_10merge_implIS3_NS0_12zip_iteratorINS5_IJN6thrust23THRUST_200600_302600_NS6detail15normal_iteratorINSC_10device_ptrIKyEEEESI_EEEEESK_NSA_INS5_IJNSC_16discard_iteratorINSC_11use_defaultEEESN_EEEEEPS7_SQ_SQ_NSC_11hip_rocprim7__merge17predicate_wrapperIyyNSC_4lessIyEEEEEE10hipError_tPvRmT0_T1_T2_T3_T4_T5_mmT6_P12ihipStream_tbEUlT_E0_NS1_11comp_targetILNS1_3genE10ELNS1_11target_archE1201ELNS1_3gpuE5ELNS1_3repE0EEENS1_30default_config_static_selectorELNS0_4arch9wavefront6targetE0EEEvS11_
; %bb.0:
	.section	.rodata,"a",@progbits
	.p2align	6, 0x0
	.amdhsa_kernel _ZN7rocprim17ROCPRIM_400000_NS6detail17trampoline_kernelINS0_14default_configENS1_21merge_config_selectorINS0_5tupleIJyyEEENS0_10empty_typeEEEZNS1_10merge_implIS3_NS0_12zip_iteratorINS5_IJN6thrust23THRUST_200600_302600_NS6detail15normal_iteratorINSC_10device_ptrIKyEEEESI_EEEEESK_NSA_INS5_IJNSC_16discard_iteratorINSC_11use_defaultEEESN_EEEEEPS7_SQ_SQ_NSC_11hip_rocprim7__merge17predicate_wrapperIyyNSC_4lessIyEEEEEE10hipError_tPvRmT0_T1_T2_T3_T4_T5_mmT6_P12ihipStream_tbEUlT_E0_NS1_11comp_targetILNS1_3genE10ELNS1_11target_archE1201ELNS1_3gpuE5ELNS1_3repE0EEENS1_30default_config_static_selectorELNS0_4arch9wavefront6targetE0EEEvS11_
		.amdhsa_group_segment_fixed_size 0
		.amdhsa_private_segment_fixed_size 0
		.amdhsa_kernarg_size 128
		.amdhsa_user_sgpr_count 6
		.amdhsa_user_sgpr_private_segment_buffer 1
		.amdhsa_user_sgpr_dispatch_ptr 0
		.amdhsa_user_sgpr_queue_ptr 0
		.amdhsa_user_sgpr_kernarg_segment_ptr 1
		.amdhsa_user_sgpr_dispatch_id 0
		.amdhsa_user_sgpr_flat_scratch_init 0
		.amdhsa_user_sgpr_private_segment_size 0
		.amdhsa_wavefront_size32 1
		.amdhsa_uses_dynamic_stack 0
		.amdhsa_system_sgpr_private_segment_wavefront_offset 0
		.amdhsa_system_sgpr_workgroup_id_x 1
		.amdhsa_system_sgpr_workgroup_id_y 0
		.amdhsa_system_sgpr_workgroup_id_z 0
		.amdhsa_system_sgpr_workgroup_info 0
		.amdhsa_system_vgpr_workitem_id 0
		.amdhsa_next_free_vgpr 1
		.amdhsa_next_free_sgpr 1
		.amdhsa_reserve_vcc 0
		.amdhsa_reserve_flat_scratch 0
		.amdhsa_float_round_mode_32 0
		.amdhsa_float_round_mode_16_64 0
		.amdhsa_float_denorm_mode_32 3
		.amdhsa_float_denorm_mode_16_64 3
		.amdhsa_dx10_clamp 1
		.amdhsa_ieee_mode 1
		.amdhsa_fp16_overflow 0
		.amdhsa_workgroup_processor_mode 1
		.amdhsa_memory_ordered 1
		.amdhsa_forward_progress 1
		.amdhsa_shared_vgpr_count 0
		.amdhsa_exception_fp_ieee_invalid_op 0
		.amdhsa_exception_fp_denorm_src 0
		.amdhsa_exception_fp_ieee_div_zero 0
		.amdhsa_exception_fp_ieee_overflow 0
		.amdhsa_exception_fp_ieee_underflow 0
		.amdhsa_exception_fp_ieee_inexact 0
		.amdhsa_exception_int_div_zero 0
	.end_amdhsa_kernel
	.section	.text._ZN7rocprim17ROCPRIM_400000_NS6detail17trampoline_kernelINS0_14default_configENS1_21merge_config_selectorINS0_5tupleIJyyEEENS0_10empty_typeEEEZNS1_10merge_implIS3_NS0_12zip_iteratorINS5_IJN6thrust23THRUST_200600_302600_NS6detail15normal_iteratorINSC_10device_ptrIKyEEEESI_EEEEESK_NSA_INS5_IJNSC_16discard_iteratorINSC_11use_defaultEEESN_EEEEEPS7_SQ_SQ_NSC_11hip_rocprim7__merge17predicate_wrapperIyyNSC_4lessIyEEEEEE10hipError_tPvRmT0_T1_T2_T3_T4_T5_mmT6_P12ihipStream_tbEUlT_E0_NS1_11comp_targetILNS1_3genE10ELNS1_11target_archE1201ELNS1_3gpuE5ELNS1_3repE0EEENS1_30default_config_static_selectorELNS0_4arch9wavefront6targetE0EEEvS11_,"axG",@progbits,_ZN7rocprim17ROCPRIM_400000_NS6detail17trampoline_kernelINS0_14default_configENS1_21merge_config_selectorINS0_5tupleIJyyEEENS0_10empty_typeEEEZNS1_10merge_implIS3_NS0_12zip_iteratorINS5_IJN6thrust23THRUST_200600_302600_NS6detail15normal_iteratorINSC_10device_ptrIKyEEEESI_EEEEESK_NSA_INS5_IJNSC_16discard_iteratorINSC_11use_defaultEEESN_EEEEEPS7_SQ_SQ_NSC_11hip_rocprim7__merge17predicate_wrapperIyyNSC_4lessIyEEEEEE10hipError_tPvRmT0_T1_T2_T3_T4_T5_mmT6_P12ihipStream_tbEUlT_E0_NS1_11comp_targetILNS1_3genE10ELNS1_11target_archE1201ELNS1_3gpuE5ELNS1_3repE0EEENS1_30default_config_static_selectorELNS0_4arch9wavefront6targetE0EEEvS11_,comdat
.Lfunc_end529:
	.size	_ZN7rocprim17ROCPRIM_400000_NS6detail17trampoline_kernelINS0_14default_configENS1_21merge_config_selectorINS0_5tupleIJyyEEENS0_10empty_typeEEEZNS1_10merge_implIS3_NS0_12zip_iteratorINS5_IJN6thrust23THRUST_200600_302600_NS6detail15normal_iteratorINSC_10device_ptrIKyEEEESI_EEEEESK_NSA_INS5_IJNSC_16discard_iteratorINSC_11use_defaultEEESN_EEEEEPS7_SQ_SQ_NSC_11hip_rocprim7__merge17predicate_wrapperIyyNSC_4lessIyEEEEEE10hipError_tPvRmT0_T1_T2_T3_T4_T5_mmT6_P12ihipStream_tbEUlT_E0_NS1_11comp_targetILNS1_3genE10ELNS1_11target_archE1201ELNS1_3gpuE5ELNS1_3repE0EEENS1_30default_config_static_selectorELNS0_4arch9wavefront6targetE0EEEvS11_, .Lfunc_end529-_ZN7rocprim17ROCPRIM_400000_NS6detail17trampoline_kernelINS0_14default_configENS1_21merge_config_selectorINS0_5tupleIJyyEEENS0_10empty_typeEEEZNS1_10merge_implIS3_NS0_12zip_iteratorINS5_IJN6thrust23THRUST_200600_302600_NS6detail15normal_iteratorINSC_10device_ptrIKyEEEESI_EEEEESK_NSA_INS5_IJNSC_16discard_iteratorINSC_11use_defaultEEESN_EEEEEPS7_SQ_SQ_NSC_11hip_rocprim7__merge17predicate_wrapperIyyNSC_4lessIyEEEEEE10hipError_tPvRmT0_T1_T2_T3_T4_T5_mmT6_P12ihipStream_tbEUlT_E0_NS1_11comp_targetILNS1_3genE10ELNS1_11target_archE1201ELNS1_3gpuE5ELNS1_3repE0EEENS1_30default_config_static_selectorELNS0_4arch9wavefront6targetE0EEEvS11_
                                        ; -- End function
	.set _ZN7rocprim17ROCPRIM_400000_NS6detail17trampoline_kernelINS0_14default_configENS1_21merge_config_selectorINS0_5tupleIJyyEEENS0_10empty_typeEEEZNS1_10merge_implIS3_NS0_12zip_iteratorINS5_IJN6thrust23THRUST_200600_302600_NS6detail15normal_iteratorINSC_10device_ptrIKyEEEESI_EEEEESK_NSA_INS5_IJNSC_16discard_iteratorINSC_11use_defaultEEESN_EEEEEPS7_SQ_SQ_NSC_11hip_rocprim7__merge17predicate_wrapperIyyNSC_4lessIyEEEEEE10hipError_tPvRmT0_T1_T2_T3_T4_T5_mmT6_P12ihipStream_tbEUlT_E0_NS1_11comp_targetILNS1_3genE10ELNS1_11target_archE1201ELNS1_3gpuE5ELNS1_3repE0EEENS1_30default_config_static_selectorELNS0_4arch9wavefront6targetE0EEEvS11_.num_vgpr, 0
	.set _ZN7rocprim17ROCPRIM_400000_NS6detail17trampoline_kernelINS0_14default_configENS1_21merge_config_selectorINS0_5tupleIJyyEEENS0_10empty_typeEEEZNS1_10merge_implIS3_NS0_12zip_iteratorINS5_IJN6thrust23THRUST_200600_302600_NS6detail15normal_iteratorINSC_10device_ptrIKyEEEESI_EEEEESK_NSA_INS5_IJNSC_16discard_iteratorINSC_11use_defaultEEESN_EEEEEPS7_SQ_SQ_NSC_11hip_rocprim7__merge17predicate_wrapperIyyNSC_4lessIyEEEEEE10hipError_tPvRmT0_T1_T2_T3_T4_T5_mmT6_P12ihipStream_tbEUlT_E0_NS1_11comp_targetILNS1_3genE10ELNS1_11target_archE1201ELNS1_3gpuE5ELNS1_3repE0EEENS1_30default_config_static_selectorELNS0_4arch9wavefront6targetE0EEEvS11_.num_agpr, 0
	.set _ZN7rocprim17ROCPRIM_400000_NS6detail17trampoline_kernelINS0_14default_configENS1_21merge_config_selectorINS0_5tupleIJyyEEENS0_10empty_typeEEEZNS1_10merge_implIS3_NS0_12zip_iteratorINS5_IJN6thrust23THRUST_200600_302600_NS6detail15normal_iteratorINSC_10device_ptrIKyEEEESI_EEEEESK_NSA_INS5_IJNSC_16discard_iteratorINSC_11use_defaultEEESN_EEEEEPS7_SQ_SQ_NSC_11hip_rocprim7__merge17predicate_wrapperIyyNSC_4lessIyEEEEEE10hipError_tPvRmT0_T1_T2_T3_T4_T5_mmT6_P12ihipStream_tbEUlT_E0_NS1_11comp_targetILNS1_3genE10ELNS1_11target_archE1201ELNS1_3gpuE5ELNS1_3repE0EEENS1_30default_config_static_selectorELNS0_4arch9wavefront6targetE0EEEvS11_.numbered_sgpr, 0
	.set _ZN7rocprim17ROCPRIM_400000_NS6detail17trampoline_kernelINS0_14default_configENS1_21merge_config_selectorINS0_5tupleIJyyEEENS0_10empty_typeEEEZNS1_10merge_implIS3_NS0_12zip_iteratorINS5_IJN6thrust23THRUST_200600_302600_NS6detail15normal_iteratorINSC_10device_ptrIKyEEEESI_EEEEESK_NSA_INS5_IJNSC_16discard_iteratorINSC_11use_defaultEEESN_EEEEEPS7_SQ_SQ_NSC_11hip_rocprim7__merge17predicate_wrapperIyyNSC_4lessIyEEEEEE10hipError_tPvRmT0_T1_T2_T3_T4_T5_mmT6_P12ihipStream_tbEUlT_E0_NS1_11comp_targetILNS1_3genE10ELNS1_11target_archE1201ELNS1_3gpuE5ELNS1_3repE0EEENS1_30default_config_static_selectorELNS0_4arch9wavefront6targetE0EEEvS11_.num_named_barrier, 0
	.set _ZN7rocprim17ROCPRIM_400000_NS6detail17trampoline_kernelINS0_14default_configENS1_21merge_config_selectorINS0_5tupleIJyyEEENS0_10empty_typeEEEZNS1_10merge_implIS3_NS0_12zip_iteratorINS5_IJN6thrust23THRUST_200600_302600_NS6detail15normal_iteratorINSC_10device_ptrIKyEEEESI_EEEEESK_NSA_INS5_IJNSC_16discard_iteratorINSC_11use_defaultEEESN_EEEEEPS7_SQ_SQ_NSC_11hip_rocprim7__merge17predicate_wrapperIyyNSC_4lessIyEEEEEE10hipError_tPvRmT0_T1_T2_T3_T4_T5_mmT6_P12ihipStream_tbEUlT_E0_NS1_11comp_targetILNS1_3genE10ELNS1_11target_archE1201ELNS1_3gpuE5ELNS1_3repE0EEENS1_30default_config_static_selectorELNS0_4arch9wavefront6targetE0EEEvS11_.private_seg_size, 0
	.set _ZN7rocprim17ROCPRIM_400000_NS6detail17trampoline_kernelINS0_14default_configENS1_21merge_config_selectorINS0_5tupleIJyyEEENS0_10empty_typeEEEZNS1_10merge_implIS3_NS0_12zip_iteratorINS5_IJN6thrust23THRUST_200600_302600_NS6detail15normal_iteratorINSC_10device_ptrIKyEEEESI_EEEEESK_NSA_INS5_IJNSC_16discard_iteratorINSC_11use_defaultEEESN_EEEEEPS7_SQ_SQ_NSC_11hip_rocprim7__merge17predicate_wrapperIyyNSC_4lessIyEEEEEE10hipError_tPvRmT0_T1_T2_T3_T4_T5_mmT6_P12ihipStream_tbEUlT_E0_NS1_11comp_targetILNS1_3genE10ELNS1_11target_archE1201ELNS1_3gpuE5ELNS1_3repE0EEENS1_30default_config_static_selectorELNS0_4arch9wavefront6targetE0EEEvS11_.uses_vcc, 0
	.set _ZN7rocprim17ROCPRIM_400000_NS6detail17trampoline_kernelINS0_14default_configENS1_21merge_config_selectorINS0_5tupleIJyyEEENS0_10empty_typeEEEZNS1_10merge_implIS3_NS0_12zip_iteratorINS5_IJN6thrust23THRUST_200600_302600_NS6detail15normal_iteratorINSC_10device_ptrIKyEEEESI_EEEEESK_NSA_INS5_IJNSC_16discard_iteratorINSC_11use_defaultEEESN_EEEEEPS7_SQ_SQ_NSC_11hip_rocprim7__merge17predicate_wrapperIyyNSC_4lessIyEEEEEE10hipError_tPvRmT0_T1_T2_T3_T4_T5_mmT6_P12ihipStream_tbEUlT_E0_NS1_11comp_targetILNS1_3genE10ELNS1_11target_archE1201ELNS1_3gpuE5ELNS1_3repE0EEENS1_30default_config_static_selectorELNS0_4arch9wavefront6targetE0EEEvS11_.uses_flat_scratch, 0
	.set _ZN7rocprim17ROCPRIM_400000_NS6detail17trampoline_kernelINS0_14default_configENS1_21merge_config_selectorINS0_5tupleIJyyEEENS0_10empty_typeEEEZNS1_10merge_implIS3_NS0_12zip_iteratorINS5_IJN6thrust23THRUST_200600_302600_NS6detail15normal_iteratorINSC_10device_ptrIKyEEEESI_EEEEESK_NSA_INS5_IJNSC_16discard_iteratorINSC_11use_defaultEEESN_EEEEEPS7_SQ_SQ_NSC_11hip_rocprim7__merge17predicate_wrapperIyyNSC_4lessIyEEEEEE10hipError_tPvRmT0_T1_T2_T3_T4_T5_mmT6_P12ihipStream_tbEUlT_E0_NS1_11comp_targetILNS1_3genE10ELNS1_11target_archE1201ELNS1_3gpuE5ELNS1_3repE0EEENS1_30default_config_static_selectorELNS0_4arch9wavefront6targetE0EEEvS11_.has_dyn_sized_stack, 0
	.set _ZN7rocprim17ROCPRIM_400000_NS6detail17trampoline_kernelINS0_14default_configENS1_21merge_config_selectorINS0_5tupleIJyyEEENS0_10empty_typeEEEZNS1_10merge_implIS3_NS0_12zip_iteratorINS5_IJN6thrust23THRUST_200600_302600_NS6detail15normal_iteratorINSC_10device_ptrIKyEEEESI_EEEEESK_NSA_INS5_IJNSC_16discard_iteratorINSC_11use_defaultEEESN_EEEEEPS7_SQ_SQ_NSC_11hip_rocprim7__merge17predicate_wrapperIyyNSC_4lessIyEEEEEE10hipError_tPvRmT0_T1_T2_T3_T4_T5_mmT6_P12ihipStream_tbEUlT_E0_NS1_11comp_targetILNS1_3genE10ELNS1_11target_archE1201ELNS1_3gpuE5ELNS1_3repE0EEENS1_30default_config_static_selectorELNS0_4arch9wavefront6targetE0EEEvS11_.has_recursion, 0
	.set _ZN7rocprim17ROCPRIM_400000_NS6detail17trampoline_kernelINS0_14default_configENS1_21merge_config_selectorINS0_5tupleIJyyEEENS0_10empty_typeEEEZNS1_10merge_implIS3_NS0_12zip_iteratorINS5_IJN6thrust23THRUST_200600_302600_NS6detail15normal_iteratorINSC_10device_ptrIKyEEEESI_EEEEESK_NSA_INS5_IJNSC_16discard_iteratorINSC_11use_defaultEEESN_EEEEEPS7_SQ_SQ_NSC_11hip_rocprim7__merge17predicate_wrapperIyyNSC_4lessIyEEEEEE10hipError_tPvRmT0_T1_T2_T3_T4_T5_mmT6_P12ihipStream_tbEUlT_E0_NS1_11comp_targetILNS1_3genE10ELNS1_11target_archE1201ELNS1_3gpuE5ELNS1_3repE0EEENS1_30default_config_static_selectorELNS0_4arch9wavefront6targetE0EEEvS11_.has_indirect_call, 0
	.section	.AMDGPU.csdata,"",@progbits
; Kernel info:
; codeLenInByte = 0
; TotalNumSgprs: 0
; NumVgprs: 0
; ScratchSize: 0
; MemoryBound: 0
; FloatMode: 240
; IeeeMode: 1
; LDSByteSize: 0 bytes/workgroup (compile time only)
; SGPRBlocks: 0
; VGPRBlocks: 0
; NumSGPRsForWavesPerEU: 1
; NumVGPRsForWavesPerEU: 1
; Occupancy: 16
; WaveLimiterHint : 0
; COMPUTE_PGM_RSRC2:SCRATCH_EN: 0
; COMPUTE_PGM_RSRC2:USER_SGPR: 6
; COMPUTE_PGM_RSRC2:TRAP_HANDLER: 0
; COMPUTE_PGM_RSRC2:TGID_X_EN: 1
; COMPUTE_PGM_RSRC2:TGID_Y_EN: 0
; COMPUTE_PGM_RSRC2:TGID_Z_EN: 0
; COMPUTE_PGM_RSRC2:TIDIG_COMP_CNT: 0
	.section	.text._ZN7rocprim17ROCPRIM_400000_NS6detail17trampoline_kernelINS0_14default_configENS1_21merge_config_selectorINS0_5tupleIJyyEEENS0_10empty_typeEEEZNS1_10merge_implIS3_NS0_12zip_iteratorINS5_IJN6thrust23THRUST_200600_302600_NS6detail15normal_iteratorINSC_10device_ptrIKyEEEESI_EEEEESK_NSA_INS5_IJNSC_16discard_iteratorINSC_11use_defaultEEESN_EEEEEPS7_SQ_SQ_NSC_11hip_rocprim7__merge17predicate_wrapperIyyNSC_4lessIyEEEEEE10hipError_tPvRmT0_T1_T2_T3_T4_T5_mmT6_P12ihipStream_tbEUlT_E0_NS1_11comp_targetILNS1_3genE10ELNS1_11target_archE1200ELNS1_3gpuE4ELNS1_3repE0EEENS1_30default_config_static_selectorELNS0_4arch9wavefront6targetE0EEEvS11_,"axG",@progbits,_ZN7rocprim17ROCPRIM_400000_NS6detail17trampoline_kernelINS0_14default_configENS1_21merge_config_selectorINS0_5tupleIJyyEEENS0_10empty_typeEEEZNS1_10merge_implIS3_NS0_12zip_iteratorINS5_IJN6thrust23THRUST_200600_302600_NS6detail15normal_iteratorINSC_10device_ptrIKyEEEESI_EEEEESK_NSA_INS5_IJNSC_16discard_iteratorINSC_11use_defaultEEESN_EEEEEPS7_SQ_SQ_NSC_11hip_rocprim7__merge17predicate_wrapperIyyNSC_4lessIyEEEEEE10hipError_tPvRmT0_T1_T2_T3_T4_T5_mmT6_P12ihipStream_tbEUlT_E0_NS1_11comp_targetILNS1_3genE10ELNS1_11target_archE1200ELNS1_3gpuE4ELNS1_3repE0EEENS1_30default_config_static_selectorELNS0_4arch9wavefront6targetE0EEEvS11_,comdat
	.protected	_ZN7rocprim17ROCPRIM_400000_NS6detail17trampoline_kernelINS0_14default_configENS1_21merge_config_selectorINS0_5tupleIJyyEEENS0_10empty_typeEEEZNS1_10merge_implIS3_NS0_12zip_iteratorINS5_IJN6thrust23THRUST_200600_302600_NS6detail15normal_iteratorINSC_10device_ptrIKyEEEESI_EEEEESK_NSA_INS5_IJNSC_16discard_iteratorINSC_11use_defaultEEESN_EEEEEPS7_SQ_SQ_NSC_11hip_rocprim7__merge17predicate_wrapperIyyNSC_4lessIyEEEEEE10hipError_tPvRmT0_T1_T2_T3_T4_T5_mmT6_P12ihipStream_tbEUlT_E0_NS1_11comp_targetILNS1_3genE10ELNS1_11target_archE1200ELNS1_3gpuE4ELNS1_3repE0EEENS1_30default_config_static_selectorELNS0_4arch9wavefront6targetE0EEEvS11_ ; -- Begin function _ZN7rocprim17ROCPRIM_400000_NS6detail17trampoline_kernelINS0_14default_configENS1_21merge_config_selectorINS0_5tupleIJyyEEENS0_10empty_typeEEEZNS1_10merge_implIS3_NS0_12zip_iteratorINS5_IJN6thrust23THRUST_200600_302600_NS6detail15normal_iteratorINSC_10device_ptrIKyEEEESI_EEEEESK_NSA_INS5_IJNSC_16discard_iteratorINSC_11use_defaultEEESN_EEEEEPS7_SQ_SQ_NSC_11hip_rocprim7__merge17predicate_wrapperIyyNSC_4lessIyEEEEEE10hipError_tPvRmT0_T1_T2_T3_T4_T5_mmT6_P12ihipStream_tbEUlT_E0_NS1_11comp_targetILNS1_3genE10ELNS1_11target_archE1200ELNS1_3gpuE4ELNS1_3repE0EEENS1_30default_config_static_selectorELNS0_4arch9wavefront6targetE0EEEvS11_
	.globl	_ZN7rocprim17ROCPRIM_400000_NS6detail17trampoline_kernelINS0_14default_configENS1_21merge_config_selectorINS0_5tupleIJyyEEENS0_10empty_typeEEEZNS1_10merge_implIS3_NS0_12zip_iteratorINS5_IJN6thrust23THRUST_200600_302600_NS6detail15normal_iteratorINSC_10device_ptrIKyEEEESI_EEEEESK_NSA_INS5_IJNSC_16discard_iteratorINSC_11use_defaultEEESN_EEEEEPS7_SQ_SQ_NSC_11hip_rocprim7__merge17predicate_wrapperIyyNSC_4lessIyEEEEEE10hipError_tPvRmT0_T1_T2_T3_T4_T5_mmT6_P12ihipStream_tbEUlT_E0_NS1_11comp_targetILNS1_3genE10ELNS1_11target_archE1200ELNS1_3gpuE4ELNS1_3repE0EEENS1_30default_config_static_selectorELNS0_4arch9wavefront6targetE0EEEvS11_
	.p2align	8
	.type	_ZN7rocprim17ROCPRIM_400000_NS6detail17trampoline_kernelINS0_14default_configENS1_21merge_config_selectorINS0_5tupleIJyyEEENS0_10empty_typeEEEZNS1_10merge_implIS3_NS0_12zip_iteratorINS5_IJN6thrust23THRUST_200600_302600_NS6detail15normal_iteratorINSC_10device_ptrIKyEEEESI_EEEEESK_NSA_INS5_IJNSC_16discard_iteratorINSC_11use_defaultEEESN_EEEEEPS7_SQ_SQ_NSC_11hip_rocprim7__merge17predicate_wrapperIyyNSC_4lessIyEEEEEE10hipError_tPvRmT0_T1_T2_T3_T4_T5_mmT6_P12ihipStream_tbEUlT_E0_NS1_11comp_targetILNS1_3genE10ELNS1_11target_archE1200ELNS1_3gpuE4ELNS1_3repE0EEENS1_30default_config_static_selectorELNS0_4arch9wavefront6targetE0EEEvS11_,@function
_ZN7rocprim17ROCPRIM_400000_NS6detail17trampoline_kernelINS0_14default_configENS1_21merge_config_selectorINS0_5tupleIJyyEEENS0_10empty_typeEEEZNS1_10merge_implIS3_NS0_12zip_iteratorINS5_IJN6thrust23THRUST_200600_302600_NS6detail15normal_iteratorINSC_10device_ptrIKyEEEESI_EEEEESK_NSA_INS5_IJNSC_16discard_iteratorINSC_11use_defaultEEESN_EEEEEPS7_SQ_SQ_NSC_11hip_rocprim7__merge17predicate_wrapperIyyNSC_4lessIyEEEEEE10hipError_tPvRmT0_T1_T2_T3_T4_T5_mmT6_P12ihipStream_tbEUlT_E0_NS1_11comp_targetILNS1_3genE10ELNS1_11target_archE1200ELNS1_3gpuE4ELNS1_3repE0EEENS1_30default_config_static_selectorELNS0_4arch9wavefront6targetE0EEEvS11_: ; @_ZN7rocprim17ROCPRIM_400000_NS6detail17trampoline_kernelINS0_14default_configENS1_21merge_config_selectorINS0_5tupleIJyyEEENS0_10empty_typeEEEZNS1_10merge_implIS3_NS0_12zip_iteratorINS5_IJN6thrust23THRUST_200600_302600_NS6detail15normal_iteratorINSC_10device_ptrIKyEEEESI_EEEEESK_NSA_INS5_IJNSC_16discard_iteratorINSC_11use_defaultEEESN_EEEEEPS7_SQ_SQ_NSC_11hip_rocprim7__merge17predicate_wrapperIyyNSC_4lessIyEEEEEE10hipError_tPvRmT0_T1_T2_T3_T4_T5_mmT6_P12ihipStream_tbEUlT_E0_NS1_11comp_targetILNS1_3genE10ELNS1_11target_archE1200ELNS1_3gpuE4ELNS1_3repE0EEENS1_30default_config_static_selectorELNS0_4arch9wavefront6targetE0EEEvS11_
; %bb.0:
	.section	.rodata,"a",@progbits
	.p2align	6, 0x0
	.amdhsa_kernel _ZN7rocprim17ROCPRIM_400000_NS6detail17trampoline_kernelINS0_14default_configENS1_21merge_config_selectorINS0_5tupleIJyyEEENS0_10empty_typeEEEZNS1_10merge_implIS3_NS0_12zip_iteratorINS5_IJN6thrust23THRUST_200600_302600_NS6detail15normal_iteratorINSC_10device_ptrIKyEEEESI_EEEEESK_NSA_INS5_IJNSC_16discard_iteratorINSC_11use_defaultEEESN_EEEEEPS7_SQ_SQ_NSC_11hip_rocprim7__merge17predicate_wrapperIyyNSC_4lessIyEEEEEE10hipError_tPvRmT0_T1_T2_T3_T4_T5_mmT6_P12ihipStream_tbEUlT_E0_NS1_11comp_targetILNS1_3genE10ELNS1_11target_archE1200ELNS1_3gpuE4ELNS1_3repE0EEENS1_30default_config_static_selectorELNS0_4arch9wavefront6targetE0EEEvS11_
		.amdhsa_group_segment_fixed_size 0
		.amdhsa_private_segment_fixed_size 0
		.amdhsa_kernarg_size 128
		.amdhsa_user_sgpr_count 6
		.amdhsa_user_sgpr_private_segment_buffer 1
		.amdhsa_user_sgpr_dispatch_ptr 0
		.amdhsa_user_sgpr_queue_ptr 0
		.amdhsa_user_sgpr_kernarg_segment_ptr 1
		.amdhsa_user_sgpr_dispatch_id 0
		.amdhsa_user_sgpr_flat_scratch_init 0
		.amdhsa_user_sgpr_private_segment_size 0
		.amdhsa_wavefront_size32 1
		.amdhsa_uses_dynamic_stack 0
		.amdhsa_system_sgpr_private_segment_wavefront_offset 0
		.amdhsa_system_sgpr_workgroup_id_x 1
		.amdhsa_system_sgpr_workgroup_id_y 0
		.amdhsa_system_sgpr_workgroup_id_z 0
		.amdhsa_system_sgpr_workgroup_info 0
		.amdhsa_system_vgpr_workitem_id 0
		.amdhsa_next_free_vgpr 1
		.amdhsa_next_free_sgpr 1
		.amdhsa_reserve_vcc 0
		.amdhsa_reserve_flat_scratch 0
		.amdhsa_float_round_mode_32 0
		.amdhsa_float_round_mode_16_64 0
		.amdhsa_float_denorm_mode_32 3
		.amdhsa_float_denorm_mode_16_64 3
		.amdhsa_dx10_clamp 1
		.amdhsa_ieee_mode 1
		.amdhsa_fp16_overflow 0
		.amdhsa_workgroup_processor_mode 1
		.amdhsa_memory_ordered 1
		.amdhsa_forward_progress 1
		.amdhsa_shared_vgpr_count 0
		.amdhsa_exception_fp_ieee_invalid_op 0
		.amdhsa_exception_fp_denorm_src 0
		.amdhsa_exception_fp_ieee_div_zero 0
		.amdhsa_exception_fp_ieee_overflow 0
		.amdhsa_exception_fp_ieee_underflow 0
		.amdhsa_exception_fp_ieee_inexact 0
		.amdhsa_exception_int_div_zero 0
	.end_amdhsa_kernel
	.section	.text._ZN7rocprim17ROCPRIM_400000_NS6detail17trampoline_kernelINS0_14default_configENS1_21merge_config_selectorINS0_5tupleIJyyEEENS0_10empty_typeEEEZNS1_10merge_implIS3_NS0_12zip_iteratorINS5_IJN6thrust23THRUST_200600_302600_NS6detail15normal_iteratorINSC_10device_ptrIKyEEEESI_EEEEESK_NSA_INS5_IJNSC_16discard_iteratorINSC_11use_defaultEEESN_EEEEEPS7_SQ_SQ_NSC_11hip_rocprim7__merge17predicate_wrapperIyyNSC_4lessIyEEEEEE10hipError_tPvRmT0_T1_T2_T3_T4_T5_mmT6_P12ihipStream_tbEUlT_E0_NS1_11comp_targetILNS1_3genE10ELNS1_11target_archE1200ELNS1_3gpuE4ELNS1_3repE0EEENS1_30default_config_static_selectorELNS0_4arch9wavefront6targetE0EEEvS11_,"axG",@progbits,_ZN7rocprim17ROCPRIM_400000_NS6detail17trampoline_kernelINS0_14default_configENS1_21merge_config_selectorINS0_5tupleIJyyEEENS0_10empty_typeEEEZNS1_10merge_implIS3_NS0_12zip_iteratorINS5_IJN6thrust23THRUST_200600_302600_NS6detail15normal_iteratorINSC_10device_ptrIKyEEEESI_EEEEESK_NSA_INS5_IJNSC_16discard_iteratorINSC_11use_defaultEEESN_EEEEEPS7_SQ_SQ_NSC_11hip_rocprim7__merge17predicate_wrapperIyyNSC_4lessIyEEEEEE10hipError_tPvRmT0_T1_T2_T3_T4_T5_mmT6_P12ihipStream_tbEUlT_E0_NS1_11comp_targetILNS1_3genE10ELNS1_11target_archE1200ELNS1_3gpuE4ELNS1_3repE0EEENS1_30default_config_static_selectorELNS0_4arch9wavefront6targetE0EEEvS11_,comdat
.Lfunc_end530:
	.size	_ZN7rocprim17ROCPRIM_400000_NS6detail17trampoline_kernelINS0_14default_configENS1_21merge_config_selectorINS0_5tupleIJyyEEENS0_10empty_typeEEEZNS1_10merge_implIS3_NS0_12zip_iteratorINS5_IJN6thrust23THRUST_200600_302600_NS6detail15normal_iteratorINSC_10device_ptrIKyEEEESI_EEEEESK_NSA_INS5_IJNSC_16discard_iteratorINSC_11use_defaultEEESN_EEEEEPS7_SQ_SQ_NSC_11hip_rocprim7__merge17predicate_wrapperIyyNSC_4lessIyEEEEEE10hipError_tPvRmT0_T1_T2_T3_T4_T5_mmT6_P12ihipStream_tbEUlT_E0_NS1_11comp_targetILNS1_3genE10ELNS1_11target_archE1200ELNS1_3gpuE4ELNS1_3repE0EEENS1_30default_config_static_selectorELNS0_4arch9wavefront6targetE0EEEvS11_, .Lfunc_end530-_ZN7rocprim17ROCPRIM_400000_NS6detail17trampoline_kernelINS0_14default_configENS1_21merge_config_selectorINS0_5tupleIJyyEEENS0_10empty_typeEEEZNS1_10merge_implIS3_NS0_12zip_iteratorINS5_IJN6thrust23THRUST_200600_302600_NS6detail15normal_iteratorINSC_10device_ptrIKyEEEESI_EEEEESK_NSA_INS5_IJNSC_16discard_iteratorINSC_11use_defaultEEESN_EEEEEPS7_SQ_SQ_NSC_11hip_rocprim7__merge17predicate_wrapperIyyNSC_4lessIyEEEEEE10hipError_tPvRmT0_T1_T2_T3_T4_T5_mmT6_P12ihipStream_tbEUlT_E0_NS1_11comp_targetILNS1_3genE10ELNS1_11target_archE1200ELNS1_3gpuE4ELNS1_3repE0EEENS1_30default_config_static_selectorELNS0_4arch9wavefront6targetE0EEEvS11_
                                        ; -- End function
	.set _ZN7rocprim17ROCPRIM_400000_NS6detail17trampoline_kernelINS0_14default_configENS1_21merge_config_selectorINS0_5tupleIJyyEEENS0_10empty_typeEEEZNS1_10merge_implIS3_NS0_12zip_iteratorINS5_IJN6thrust23THRUST_200600_302600_NS6detail15normal_iteratorINSC_10device_ptrIKyEEEESI_EEEEESK_NSA_INS5_IJNSC_16discard_iteratorINSC_11use_defaultEEESN_EEEEEPS7_SQ_SQ_NSC_11hip_rocprim7__merge17predicate_wrapperIyyNSC_4lessIyEEEEEE10hipError_tPvRmT0_T1_T2_T3_T4_T5_mmT6_P12ihipStream_tbEUlT_E0_NS1_11comp_targetILNS1_3genE10ELNS1_11target_archE1200ELNS1_3gpuE4ELNS1_3repE0EEENS1_30default_config_static_selectorELNS0_4arch9wavefront6targetE0EEEvS11_.num_vgpr, 0
	.set _ZN7rocprim17ROCPRIM_400000_NS6detail17trampoline_kernelINS0_14default_configENS1_21merge_config_selectorINS0_5tupleIJyyEEENS0_10empty_typeEEEZNS1_10merge_implIS3_NS0_12zip_iteratorINS5_IJN6thrust23THRUST_200600_302600_NS6detail15normal_iteratorINSC_10device_ptrIKyEEEESI_EEEEESK_NSA_INS5_IJNSC_16discard_iteratorINSC_11use_defaultEEESN_EEEEEPS7_SQ_SQ_NSC_11hip_rocprim7__merge17predicate_wrapperIyyNSC_4lessIyEEEEEE10hipError_tPvRmT0_T1_T2_T3_T4_T5_mmT6_P12ihipStream_tbEUlT_E0_NS1_11comp_targetILNS1_3genE10ELNS1_11target_archE1200ELNS1_3gpuE4ELNS1_3repE0EEENS1_30default_config_static_selectorELNS0_4arch9wavefront6targetE0EEEvS11_.num_agpr, 0
	.set _ZN7rocprim17ROCPRIM_400000_NS6detail17trampoline_kernelINS0_14default_configENS1_21merge_config_selectorINS0_5tupleIJyyEEENS0_10empty_typeEEEZNS1_10merge_implIS3_NS0_12zip_iteratorINS5_IJN6thrust23THRUST_200600_302600_NS6detail15normal_iteratorINSC_10device_ptrIKyEEEESI_EEEEESK_NSA_INS5_IJNSC_16discard_iteratorINSC_11use_defaultEEESN_EEEEEPS7_SQ_SQ_NSC_11hip_rocprim7__merge17predicate_wrapperIyyNSC_4lessIyEEEEEE10hipError_tPvRmT0_T1_T2_T3_T4_T5_mmT6_P12ihipStream_tbEUlT_E0_NS1_11comp_targetILNS1_3genE10ELNS1_11target_archE1200ELNS1_3gpuE4ELNS1_3repE0EEENS1_30default_config_static_selectorELNS0_4arch9wavefront6targetE0EEEvS11_.numbered_sgpr, 0
	.set _ZN7rocprim17ROCPRIM_400000_NS6detail17trampoline_kernelINS0_14default_configENS1_21merge_config_selectorINS0_5tupleIJyyEEENS0_10empty_typeEEEZNS1_10merge_implIS3_NS0_12zip_iteratorINS5_IJN6thrust23THRUST_200600_302600_NS6detail15normal_iteratorINSC_10device_ptrIKyEEEESI_EEEEESK_NSA_INS5_IJNSC_16discard_iteratorINSC_11use_defaultEEESN_EEEEEPS7_SQ_SQ_NSC_11hip_rocprim7__merge17predicate_wrapperIyyNSC_4lessIyEEEEEE10hipError_tPvRmT0_T1_T2_T3_T4_T5_mmT6_P12ihipStream_tbEUlT_E0_NS1_11comp_targetILNS1_3genE10ELNS1_11target_archE1200ELNS1_3gpuE4ELNS1_3repE0EEENS1_30default_config_static_selectorELNS0_4arch9wavefront6targetE0EEEvS11_.num_named_barrier, 0
	.set _ZN7rocprim17ROCPRIM_400000_NS6detail17trampoline_kernelINS0_14default_configENS1_21merge_config_selectorINS0_5tupleIJyyEEENS0_10empty_typeEEEZNS1_10merge_implIS3_NS0_12zip_iteratorINS5_IJN6thrust23THRUST_200600_302600_NS6detail15normal_iteratorINSC_10device_ptrIKyEEEESI_EEEEESK_NSA_INS5_IJNSC_16discard_iteratorINSC_11use_defaultEEESN_EEEEEPS7_SQ_SQ_NSC_11hip_rocprim7__merge17predicate_wrapperIyyNSC_4lessIyEEEEEE10hipError_tPvRmT0_T1_T2_T3_T4_T5_mmT6_P12ihipStream_tbEUlT_E0_NS1_11comp_targetILNS1_3genE10ELNS1_11target_archE1200ELNS1_3gpuE4ELNS1_3repE0EEENS1_30default_config_static_selectorELNS0_4arch9wavefront6targetE0EEEvS11_.private_seg_size, 0
	.set _ZN7rocprim17ROCPRIM_400000_NS6detail17trampoline_kernelINS0_14default_configENS1_21merge_config_selectorINS0_5tupleIJyyEEENS0_10empty_typeEEEZNS1_10merge_implIS3_NS0_12zip_iteratorINS5_IJN6thrust23THRUST_200600_302600_NS6detail15normal_iteratorINSC_10device_ptrIKyEEEESI_EEEEESK_NSA_INS5_IJNSC_16discard_iteratorINSC_11use_defaultEEESN_EEEEEPS7_SQ_SQ_NSC_11hip_rocprim7__merge17predicate_wrapperIyyNSC_4lessIyEEEEEE10hipError_tPvRmT0_T1_T2_T3_T4_T5_mmT6_P12ihipStream_tbEUlT_E0_NS1_11comp_targetILNS1_3genE10ELNS1_11target_archE1200ELNS1_3gpuE4ELNS1_3repE0EEENS1_30default_config_static_selectorELNS0_4arch9wavefront6targetE0EEEvS11_.uses_vcc, 0
	.set _ZN7rocprim17ROCPRIM_400000_NS6detail17trampoline_kernelINS0_14default_configENS1_21merge_config_selectorINS0_5tupleIJyyEEENS0_10empty_typeEEEZNS1_10merge_implIS3_NS0_12zip_iteratorINS5_IJN6thrust23THRUST_200600_302600_NS6detail15normal_iteratorINSC_10device_ptrIKyEEEESI_EEEEESK_NSA_INS5_IJNSC_16discard_iteratorINSC_11use_defaultEEESN_EEEEEPS7_SQ_SQ_NSC_11hip_rocprim7__merge17predicate_wrapperIyyNSC_4lessIyEEEEEE10hipError_tPvRmT0_T1_T2_T3_T4_T5_mmT6_P12ihipStream_tbEUlT_E0_NS1_11comp_targetILNS1_3genE10ELNS1_11target_archE1200ELNS1_3gpuE4ELNS1_3repE0EEENS1_30default_config_static_selectorELNS0_4arch9wavefront6targetE0EEEvS11_.uses_flat_scratch, 0
	.set _ZN7rocprim17ROCPRIM_400000_NS6detail17trampoline_kernelINS0_14default_configENS1_21merge_config_selectorINS0_5tupleIJyyEEENS0_10empty_typeEEEZNS1_10merge_implIS3_NS0_12zip_iteratorINS5_IJN6thrust23THRUST_200600_302600_NS6detail15normal_iteratorINSC_10device_ptrIKyEEEESI_EEEEESK_NSA_INS5_IJNSC_16discard_iteratorINSC_11use_defaultEEESN_EEEEEPS7_SQ_SQ_NSC_11hip_rocprim7__merge17predicate_wrapperIyyNSC_4lessIyEEEEEE10hipError_tPvRmT0_T1_T2_T3_T4_T5_mmT6_P12ihipStream_tbEUlT_E0_NS1_11comp_targetILNS1_3genE10ELNS1_11target_archE1200ELNS1_3gpuE4ELNS1_3repE0EEENS1_30default_config_static_selectorELNS0_4arch9wavefront6targetE0EEEvS11_.has_dyn_sized_stack, 0
	.set _ZN7rocprim17ROCPRIM_400000_NS6detail17trampoline_kernelINS0_14default_configENS1_21merge_config_selectorINS0_5tupleIJyyEEENS0_10empty_typeEEEZNS1_10merge_implIS3_NS0_12zip_iteratorINS5_IJN6thrust23THRUST_200600_302600_NS6detail15normal_iteratorINSC_10device_ptrIKyEEEESI_EEEEESK_NSA_INS5_IJNSC_16discard_iteratorINSC_11use_defaultEEESN_EEEEEPS7_SQ_SQ_NSC_11hip_rocprim7__merge17predicate_wrapperIyyNSC_4lessIyEEEEEE10hipError_tPvRmT0_T1_T2_T3_T4_T5_mmT6_P12ihipStream_tbEUlT_E0_NS1_11comp_targetILNS1_3genE10ELNS1_11target_archE1200ELNS1_3gpuE4ELNS1_3repE0EEENS1_30default_config_static_selectorELNS0_4arch9wavefront6targetE0EEEvS11_.has_recursion, 0
	.set _ZN7rocprim17ROCPRIM_400000_NS6detail17trampoline_kernelINS0_14default_configENS1_21merge_config_selectorINS0_5tupleIJyyEEENS0_10empty_typeEEEZNS1_10merge_implIS3_NS0_12zip_iteratorINS5_IJN6thrust23THRUST_200600_302600_NS6detail15normal_iteratorINSC_10device_ptrIKyEEEESI_EEEEESK_NSA_INS5_IJNSC_16discard_iteratorINSC_11use_defaultEEESN_EEEEEPS7_SQ_SQ_NSC_11hip_rocprim7__merge17predicate_wrapperIyyNSC_4lessIyEEEEEE10hipError_tPvRmT0_T1_T2_T3_T4_T5_mmT6_P12ihipStream_tbEUlT_E0_NS1_11comp_targetILNS1_3genE10ELNS1_11target_archE1200ELNS1_3gpuE4ELNS1_3repE0EEENS1_30default_config_static_selectorELNS0_4arch9wavefront6targetE0EEEvS11_.has_indirect_call, 0
	.section	.AMDGPU.csdata,"",@progbits
; Kernel info:
; codeLenInByte = 0
; TotalNumSgprs: 0
; NumVgprs: 0
; ScratchSize: 0
; MemoryBound: 0
; FloatMode: 240
; IeeeMode: 1
; LDSByteSize: 0 bytes/workgroup (compile time only)
; SGPRBlocks: 0
; VGPRBlocks: 0
; NumSGPRsForWavesPerEU: 1
; NumVGPRsForWavesPerEU: 1
; Occupancy: 16
; WaveLimiterHint : 0
; COMPUTE_PGM_RSRC2:SCRATCH_EN: 0
; COMPUTE_PGM_RSRC2:USER_SGPR: 6
; COMPUTE_PGM_RSRC2:TRAP_HANDLER: 0
; COMPUTE_PGM_RSRC2:TGID_X_EN: 1
; COMPUTE_PGM_RSRC2:TGID_Y_EN: 0
; COMPUTE_PGM_RSRC2:TGID_Z_EN: 0
; COMPUTE_PGM_RSRC2:TIDIG_COMP_CNT: 0
	.section	.text._ZN7rocprim17ROCPRIM_400000_NS6detail17trampoline_kernelINS0_14default_configENS1_21merge_config_selectorINS0_5tupleIJyyEEENS0_10empty_typeEEEZNS1_10merge_implIS3_NS0_12zip_iteratorINS5_IJN6thrust23THRUST_200600_302600_NS6detail15normal_iteratorINSC_10device_ptrIKyEEEESI_EEEEESK_NSA_INS5_IJNSC_16discard_iteratorINSC_11use_defaultEEESN_EEEEEPS7_SQ_SQ_NSC_11hip_rocprim7__merge17predicate_wrapperIyyNSC_4lessIyEEEEEE10hipError_tPvRmT0_T1_T2_T3_T4_T5_mmT6_P12ihipStream_tbEUlT_E0_NS1_11comp_targetILNS1_3genE9ELNS1_11target_archE1100ELNS1_3gpuE3ELNS1_3repE0EEENS1_30default_config_static_selectorELNS0_4arch9wavefront6targetE0EEEvS11_,"axG",@progbits,_ZN7rocprim17ROCPRIM_400000_NS6detail17trampoline_kernelINS0_14default_configENS1_21merge_config_selectorINS0_5tupleIJyyEEENS0_10empty_typeEEEZNS1_10merge_implIS3_NS0_12zip_iteratorINS5_IJN6thrust23THRUST_200600_302600_NS6detail15normal_iteratorINSC_10device_ptrIKyEEEESI_EEEEESK_NSA_INS5_IJNSC_16discard_iteratorINSC_11use_defaultEEESN_EEEEEPS7_SQ_SQ_NSC_11hip_rocprim7__merge17predicate_wrapperIyyNSC_4lessIyEEEEEE10hipError_tPvRmT0_T1_T2_T3_T4_T5_mmT6_P12ihipStream_tbEUlT_E0_NS1_11comp_targetILNS1_3genE9ELNS1_11target_archE1100ELNS1_3gpuE3ELNS1_3repE0EEENS1_30default_config_static_selectorELNS0_4arch9wavefront6targetE0EEEvS11_,comdat
	.protected	_ZN7rocprim17ROCPRIM_400000_NS6detail17trampoline_kernelINS0_14default_configENS1_21merge_config_selectorINS0_5tupleIJyyEEENS0_10empty_typeEEEZNS1_10merge_implIS3_NS0_12zip_iteratorINS5_IJN6thrust23THRUST_200600_302600_NS6detail15normal_iteratorINSC_10device_ptrIKyEEEESI_EEEEESK_NSA_INS5_IJNSC_16discard_iteratorINSC_11use_defaultEEESN_EEEEEPS7_SQ_SQ_NSC_11hip_rocprim7__merge17predicate_wrapperIyyNSC_4lessIyEEEEEE10hipError_tPvRmT0_T1_T2_T3_T4_T5_mmT6_P12ihipStream_tbEUlT_E0_NS1_11comp_targetILNS1_3genE9ELNS1_11target_archE1100ELNS1_3gpuE3ELNS1_3repE0EEENS1_30default_config_static_selectorELNS0_4arch9wavefront6targetE0EEEvS11_ ; -- Begin function _ZN7rocprim17ROCPRIM_400000_NS6detail17trampoline_kernelINS0_14default_configENS1_21merge_config_selectorINS0_5tupleIJyyEEENS0_10empty_typeEEEZNS1_10merge_implIS3_NS0_12zip_iteratorINS5_IJN6thrust23THRUST_200600_302600_NS6detail15normal_iteratorINSC_10device_ptrIKyEEEESI_EEEEESK_NSA_INS5_IJNSC_16discard_iteratorINSC_11use_defaultEEESN_EEEEEPS7_SQ_SQ_NSC_11hip_rocprim7__merge17predicate_wrapperIyyNSC_4lessIyEEEEEE10hipError_tPvRmT0_T1_T2_T3_T4_T5_mmT6_P12ihipStream_tbEUlT_E0_NS1_11comp_targetILNS1_3genE9ELNS1_11target_archE1100ELNS1_3gpuE3ELNS1_3repE0EEENS1_30default_config_static_selectorELNS0_4arch9wavefront6targetE0EEEvS11_
	.globl	_ZN7rocprim17ROCPRIM_400000_NS6detail17trampoline_kernelINS0_14default_configENS1_21merge_config_selectorINS0_5tupleIJyyEEENS0_10empty_typeEEEZNS1_10merge_implIS3_NS0_12zip_iteratorINS5_IJN6thrust23THRUST_200600_302600_NS6detail15normal_iteratorINSC_10device_ptrIKyEEEESI_EEEEESK_NSA_INS5_IJNSC_16discard_iteratorINSC_11use_defaultEEESN_EEEEEPS7_SQ_SQ_NSC_11hip_rocprim7__merge17predicate_wrapperIyyNSC_4lessIyEEEEEE10hipError_tPvRmT0_T1_T2_T3_T4_T5_mmT6_P12ihipStream_tbEUlT_E0_NS1_11comp_targetILNS1_3genE9ELNS1_11target_archE1100ELNS1_3gpuE3ELNS1_3repE0EEENS1_30default_config_static_selectorELNS0_4arch9wavefront6targetE0EEEvS11_
	.p2align	8
	.type	_ZN7rocprim17ROCPRIM_400000_NS6detail17trampoline_kernelINS0_14default_configENS1_21merge_config_selectorINS0_5tupleIJyyEEENS0_10empty_typeEEEZNS1_10merge_implIS3_NS0_12zip_iteratorINS5_IJN6thrust23THRUST_200600_302600_NS6detail15normal_iteratorINSC_10device_ptrIKyEEEESI_EEEEESK_NSA_INS5_IJNSC_16discard_iteratorINSC_11use_defaultEEESN_EEEEEPS7_SQ_SQ_NSC_11hip_rocprim7__merge17predicate_wrapperIyyNSC_4lessIyEEEEEE10hipError_tPvRmT0_T1_T2_T3_T4_T5_mmT6_P12ihipStream_tbEUlT_E0_NS1_11comp_targetILNS1_3genE9ELNS1_11target_archE1100ELNS1_3gpuE3ELNS1_3repE0EEENS1_30default_config_static_selectorELNS0_4arch9wavefront6targetE0EEEvS11_,@function
_ZN7rocprim17ROCPRIM_400000_NS6detail17trampoline_kernelINS0_14default_configENS1_21merge_config_selectorINS0_5tupleIJyyEEENS0_10empty_typeEEEZNS1_10merge_implIS3_NS0_12zip_iteratorINS5_IJN6thrust23THRUST_200600_302600_NS6detail15normal_iteratorINSC_10device_ptrIKyEEEESI_EEEEESK_NSA_INS5_IJNSC_16discard_iteratorINSC_11use_defaultEEESN_EEEEEPS7_SQ_SQ_NSC_11hip_rocprim7__merge17predicate_wrapperIyyNSC_4lessIyEEEEEE10hipError_tPvRmT0_T1_T2_T3_T4_T5_mmT6_P12ihipStream_tbEUlT_E0_NS1_11comp_targetILNS1_3genE9ELNS1_11target_archE1100ELNS1_3gpuE3ELNS1_3repE0EEENS1_30default_config_static_selectorELNS0_4arch9wavefront6targetE0EEEvS11_: ; @_ZN7rocprim17ROCPRIM_400000_NS6detail17trampoline_kernelINS0_14default_configENS1_21merge_config_selectorINS0_5tupleIJyyEEENS0_10empty_typeEEEZNS1_10merge_implIS3_NS0_12zip_iteratorINS5_IJN6thrust23THRUST_200600_302600_NS6detail15normal_iteratorINSC_10device_ptrIKyEEEESI_EEEEESK_NSA_INS5_IJNSC_16discard_iteratorINSC_11use_defaultEEESN_EEEEEPS7_SQ_SQ_NSC_11hip_rocprim7__merge17predicate_wrapperIyyNSC_4lessIyEEEEEE10hipError_tPvRmT0_T1_T2_T3_T4_T5_mmT6_P12ihipStream_tbEUlT_E0_NS1_11comp_targetILNS1_3genE9ELNS1_11target_archE1100ELNS1_3gpuE3ELNS1_3repE0EEENS1_30default_config_static_selectorELNS0_4arch9wavefront6targetE0EEEvS11_
; %bb.0:
	.section	.rodata,"a",@progbits
	.p2align	6, 0x0
	.amdhsa_kernel _ZN7rocprim17ROCPRIM_400000_NS6detail17trampoline_kernelINS0_14default_configENS1_21merge_config_selectorINS0_5tupleIJyyEEENS0_10empty_typeEEEZNS1_10merge_implIS3_NS0_12zip_iteratorINS5_IJN6thrust23THRUST_200600_302600_NS6detail15normal_iteratorINSC_10device_ptrIKyEEEESI_EEEEESK_NSA_INS5_IJNSC_16discard_iteratorINSC_11use_defaultEEESN_EEEEEPS7_SQ_SQ_NSC_11hip_rocprim7__merge17predicate_wrapperIyyNSC_4lessIyEEEEEE10hipError_tPvRmT0_T1_T2_T3_T4_T5_mmT6_P12ihipStream_tbEUlT_E0_NS1_11comp_targetILNS1_3genE9ELNS1_11target_archE1100ELNS1_3gpuE3ELNS1_3repE0EEENS1_30default_config_static_selectorELNS0_4arch9wavefront6targetE0EEEvS11_
		.amdhsa_group_segment_fixed_size 0
		.amdhsa_private_segment_fixed_size 0
		.amdhsa_kernarg_size 128
		.amdhsa_user_sgpr_count 6
		.amdhsa_user_sgpr_private_segment_buffer 1
		.amdhsa_user_sgpr_dispatch_ptr 0
		.amdhsa_user_sgpr_queue_ptr 0
		.amdhsa_user_sgpr_kernarg_segment_ptr 1
		.amdhsa_user_sgpr_dispatch_id 0
		.amdhsa_user_sgpr_flat_scratch_init 0
		.amdhsa_user_sgpr_private_segment_size 0
		.amdhsa_wavefront_size32 1
		.amdhsa_uses_dynamic_stack 0
		.amdhsa_system_sgpr_private_segment_wavefront_offset 0
		.amdhsa_system_sgpr_workgroup_id_x 1
		.amdhsa_system_sgpr_workgroup_id_y 0
		.amdhsa_system_sgpr_workgroup_id_z 0
		.amdhsa_system_sgpr_workgroup_info 0
		.amdhsa_system_vgpr_workitem_id 0
		.amdhsa_next_free_vgpr 1
		.amdhsa_next_free_sgpr 1
		.amdhsa_reserve_vcc 0
		.amdhsa_reserve_flat_scratch 0
		.amdhsa_float_round_mode_32 0
		.amdhsa_float_round_mode_16_64 0
		.amdhsa_float_denorm_mode_32 3
		.amdhsa_float_denorm_mode_16_64 3
		.amdhsa_dx10_clamp 1
		.amdhsa_ieee_mode 1
		.amdhsa_fp16_overflow 0
		.amdhsa_workgroup_processor_mode 1
		.amdhsa_memory_ordered 1
		.amdhsa_forward_progress 1
		.amdhsa_shared_vgpr_count 0
		.amdhsa_exception_fp_ieee_invalid_op 0
		.amdhsa_exception_fp_denorm_src 0
		.amdhsa_exception_fp_ieee_div_zero 0
		.amdhsa_exception_fp_ieee_overflow 0
		.amdhsa_exception_fp_ieee_underflow 0
		.amdhsa_exception_fp_ieee_inexact 0
		.amdhsa_exception_int_div_zero 0
	.end_amdhsa_kernel
	.section	.text._ZN7rocprim17ROCPRIM_400000_NS6detail17trampoline_kernelINS0_14default_configENS1_21merge_config_selectorINS0_5tupleIJyyEEENS0_10empty_typeEEEZNS1_10merge_implIS3_NS0_12zip_iteratorINS5_IJN6thrust23THRUST_200600_302600_NS6detail15normal_iteratorINSC_10device_ptrIKyEEEESI_EEEEESK_NSA_INS5_IJNSC_16discard_iteratorINSC_11use_defaultEEESN_EEEEEPS7_SQ_SQ_NSC_11hip_rocprim7__merge17predicate_wrapperIyyNSC_4lessIyEEEEEE10hipError_tPvRmT0_T1_T2_T3_T4_T5_mmT6_P12ihipStream_tbEUlT_E0_NS1_11comp_targetILNS1_3genE9ELNS1_11target_archE1100ELNS1_3gpuE3ELNS1_3repE0EEENS1_30default_config_static_selectorELNS0_4arch9wavefront6targetE0EEEvS11_,"axG",@progbits,_ZN7rocprim17ROCPRIM_400000_NS6detail17trampoline_kernelINS0_14default_configENS1_21merge_config_selectorINS0_5tupleIJyyEEENS0_10empty_typeEEEZNS1_10merge_implIS3_NS0_12zip_iteratorINS5_IJN6thrust23THRUST_200600_302600_NS6detail15normal_iteratorINSC_10device_ptrIKyEEEESI_EEEEESK_NSA_INS5_IJNSC_16discard_iteratorINSC_11use_defaultEEESN_EEEEEPS7_SQ_SQ_NSC_11hip_rocprim7__merge17predicate_wrapperIyyNSC_4lessIyEEEEEE10hipError_tPvRmT0_T1_T2_T3_T4_T5_mmT6_P12ihipStream_tbEUlT_E0_NS1_11comp_targetILNS1_3genE9ELNS1_11target_archE1100ELNS1_3gpuE3ELNS1_3repE0EEENS1_30default_config_static_selectorELNS0_4arch9wavefront6targetE0EEEvS11_,comdat
.Lfunc_end531:
	.size	_ZN7rocprim17ROCPRIM_400000_NS6detail17trampoline_kernelINS0_14default_configENS1_21merge_config_selectorINS0_5tupleIJyyEEENS0_10empty_typeEEEZNS1_10merge_implIS3_NS0_12zip_iteratorINS5_IJN6thrust23THRUST_200600_302600_NS6detail15normal_iteratorINSC_10device_ptrIKyEEEESI_EEEEESK_NSA_INS5_IJNSC_16discard_iteratorINSC_11use_defaultEEESN_EEEEEPS7_SQ_SQ_NSC_11hip_rocprim7__merge17predicate_wrapperIyyNSC_4lessIyEEEEEE10hipError_tPvRmT0_T1_T2_T3_T4_T5_mmT6_P12ihipStream_tbEUlT_E0_NS1_11comp_targetILNS1_3genE9ELNS1_11target_archE1100ELNS1_3gpuE3ELNS1_3repE0EEENS1_30default_config_static_selectorELNS0_4arch9wavefront6targetE0EEEvS11_, .Lfunc_end531-_ZN7rocprim17ROCPRIM_400000_NS6detail17trampoline_kernelINS0_14default_configENS1_21merge_config_selectorINS0_5tupleIJyyEEENS0_10empty_typeEEEZNS1_10merge_implIS3_NS0_12zip_iteratorINS5_IJN6thrust23THRUST_200600_302600_NS6detail15normal_iteratorINSC_10device_ptrIKyEEEESI_EEEEESK_NSA_INS5_IJNSC_16discard_iteratorINSC_11use_defaultEEESN_EEEEEPS7_SQ_SQ_NSC_11hip_rocprim7__merge17predicate_wrapperIyyNSC_4lessIyEEEEEE10hipError_tPvRmT0_T1_T2_T3_T4_T5_mmT6_P12ihipStream_tbEUlT_E0_NS1_11comp_targetILNS1_3genE9ELNS1_11target_archE1100ELNS1_3gpuE3ELNS1_3repE0EEENS1_30default_config_static_selectorELNS0_4arch9wavefront6targetE0EEEvS11_
                                        ; -- End function
	.set _ZN7rocprim17ROCPRIM_400000_NS6detail17trampoline_kernelINS0_14default_configENS1_21merge_config_selectorINS0_5tupleIJyyEEENS0_10empty_typeEEEZNS1_10merge_implIS3_NS0_12zip_iteratorINS5_IJN6thrust23THRUST_200600_302600_NS6detail15normal_iteratorINSC_10device_ptrIKyEEEESI_EEEEESK_NSA_INS5_IJNSC_16discard_iteratorINSC_11use_defaultEEESN_EEEEEPS7_SQ_SQ_NSC_11hip_rocprim7__merge17predicate_wrapperIyyNSC_4lessIyEEEEEE10hipError_tPvRmT0_T1_T2_T3_T4_T5_mmT6_P12ihipStream_tbEUlT_E0_NS1_11comp_targetILNS1_3genE9ELNS1_11target_archE1100ELNS1_3gpuE3ELNS1_3repE0EEENS1_30default_config_static_selectorELNS0_4arch9wavefront6targetE0EEEvS11_.num_vgpr, 0
	.set _ZN7rocprim17ROCPRIM_400000_NS6detail17trampoline_kernelINS0_14default_configENS1_21merge_config_selectorINS0_5tupleIJyyEEENS0_10empty_typeEEEZNS1_10merge_implIS3_NS0_12zip_iteratorINS5_IJN6thrust23THRUST_200600_302600_NS6detail15normal_iteratorINSC_10device_ptrIKyEEEESI_EEEEESK_NSA_INS5_IJNSC_16discard_iteratorINSC_11use_defaultEEESN_EEEEEPS7_SQ_SQ_NSC_11hip_rocprim7__merge17predicate_wrapperIyyNSC_4lessIyEEEEEE10hipError_tPvRmT0_T1_T2_T3_T4_T5_mmT6_P12ihipStream_tbEUlT_E0_NS1_11comp_targetILNS1_3genE9ELNS1_11target_archE1100ELNS1_3gpuE3ELNS1_3repE0EEENS1_30default_config_static_selectorELNS0_4arch9wavefront6targetE0EEEvS11_.num_agpr, 0
	.set _ZN7rocprim17ROCPRIM_400000_NS6detail17trampoline_kernelINS0_14default_configENS1_21merge_config_selectorINS0_5tupleIJyyEEENS0_10empty_typeEEEZNS1_10merge_implIS3_NS0_12zip_iteratorINS5_IJN6thrust23THRUST_200600_302600_NS6detail15normal_iteratorINSC_10device_ptrIKyEEEESI_EEEEESK_NSA_INS5_IJNSC_16discard_iteratorINSC_11use_defaultEEESN_EEEEEPS7_SQ_SQ_NSC_11hip_rocprim7__merge17predicate_wrapperIyyNSC_4lessIyEEEEEE10hipError_tPvRmT0_T1_T2_T3_T4_T5_mmT6_P12ihipStream_tbEUlT_E0_NS1_11comp_targetILNS1_3genE9ELNS1_11target_archE1100ELNS1_3gpuE3ELNS1_3repE0EEENS1_30default_config_static_selectorELNS0_4arch9wavefront6targetE0EEEvS11_.numbered_sgpr, 0
	.set _ZN7rocprim17ROCPRIM_400000_NS6detail17trampoline_kernelINS0_14default_configENS1_21merge_config_selectorINS0_5tupleIJyyEEENS0_10empty_typeEEEZNS1_10merge_implIS3_NS0_12zip_iteratorINS5_IJN6thrust23THRUST_200600_302600_NS6detail15normal_iteratorINSC_10device_ptrIKyEEEESI_EEEEESK_NSA_INS5_IJNSC_16discard_iteratorINSC_11use_defaultEEESN_EEEEEPS7_SQ_SQ_NSC_11hip_rocprim7__merge17predicate_wrapperIyyNSC_4lessIyEEEEEE10hipError_tPvRmT0_T1_T2_T3_T4_T5_mmT6_P12ihipStream_tbEUlT_E0_NS1_11comp_targetILNS1_3genE9ELNS1_11target_archE1100ELNS1_3gpuE3ELNS1_3repE0EEENS1_30default_config_static_selectorELNS0_4arch9wavefront6targetE0EEEvS11_.num_named_barrier, 0
	.set _ZN7rocprim17ROCPRIM_400000_NS6detail17trampoline_kernelINS0_14default_configENS1_21merge_config_selectorINS0_5tupleIJyyEEENS0_10empty_typeEEEZNS1_10merge_implIS3_NS0_12zip_iteratorINS5_IJN6thrust23THRUST_200600_302600_NS6detail15normal_iteratorINSC_10device_ptrIKyEEEESI_EEEEESK_NSA_INS5_IJNSC_16discard_iteratorINSC_11use_defaultEEESN_EEEEEPS7_SQ_SQ_NSC_11hip_rocprim7__merge17predicate_wrapperIyyNSC_4lessIyEEEEEE10hipError_tPvRmT0_T1_T2_T3_T4_T5_mmT6_P12ihipStream_tbEUlT_E0_NS1_11comp_targetILNS1_3genE9ELNS1_11target_archE1100ELNS1_3gpuE3ELNS1_3repE0EEENS1_30default_config_static_selectorELNS0_4arch9wavefront6targetE0EEEvS11_.private_seg_size, 0
	.set _ZN7rocprim17ROCPRIM_400000_NS6detail17trampoline_kernelINS0_14default_configENS1_21merge_config_selectorINS0_5tupleIJyyEEENS0_10empty_typeEEEZNS1_10merge_implIS3_NS0_12zip_iteratorINS5_IJN6thrust23THRUST_200600_302600_NS6detail15normal_iteratorINSC_10device_ptrIKyEEEESI_EEEEESK_NSA_INS5_IJNSC_16discard_iteratorINSC_11use_defaultEEESN_EEEEEPS7_SQ_SQ_NSC_11hip_rocprim7__merge17predicate_wrapperIyyNSC_4lessIyEEEEEE10hipError_tPvRmT0_T1_T2_T3_T4_T5_mmT6_P12ihipStream_tbEUlT_E0_NS1_11comp_targetILNS1_3genE9ELNS1_11target_archE1100ELNS1_3gpuE3ELNS1_3repE0EEENS1_30default_config_static_selectorELNS0_4arch9wavefront6targetE0EEEvS11_.uses_vcc, 0
	.set _ZN7rocprim17ROCPRIM_400000_NS6detail17trampoline_kernelINS0_14default_configENS1_21merge_config_selectorINS0_5tupleIJyyEEENS0_10empty_typeEEEZNS1_10merge_implIS3_NS0_12zip_iteratorINS5_IJN6thrust23THRUST_200600_302600_NS6detail15normal_iteratorINSC_10device_ptrIKyEEEESI_EEEEESK_NSA_INS5_IJNSC_16discard_iteratorINSC_11use_defaultEEESN_EEEEEPS7_SQ_SQ_NSC_11hip_rocprim7__merge17predicate_wrapperIyyNSC_4lessIyEEEEEE10hipError_tPvRmT0_T1_T2_T3_T4_T5_mmT6_P12ihipStream_tbEUlT_E0_NS1_11comp_targetILNS1_3genE9ELNS1_11target_archE1100ELNS1_3gpuE3ELNS1_3repE0EEENS1_30default_config_static_selectorELNS0_4arch9wavefront6targetE0EEEvS11_.uses_flat_scratch, 0
	.set _ZN7rocprim17ROCPRIM_400000_NS6detail17trampoline_kernelINS0_14default_configENS1_21merge_config_selectorINS0_5tupleIJyyEEENS0_10empty_typeEEEZNS1_10merge_implIS3_NS0_12zip_iteratorINS5_IJN6thrust23THRUST_200600_302600_NS6detail15normal_iteratorINSC_10device_ptrIKyEEEESI_EEEEESK_NSA_INS5_IJNSC_16discard_iteratorINSC_11use_defaultEEESN_EEEEEPS7_SQ_SQ_NSC_11hip_rocprim7__merge17predicate_wrapperIyyNSC_4lessIyEEEEEE10hipError_tPvRmT0_T1_T2_T3_T4_T5_mmT6_P12ihipStream_tbEUlT_E0_NS1_11comp_targetILNS1_3genE9ELNS1_11target_archE1100ELNS1_3gpuE3ELNS1_3repE0EEENS1_30default_config_static_selectorELNS0_4arch9wavefront6targetE0EEEvS11_.has_dyn_sized_stack, 0
	.set _ZN7rocprim17ROCPRIM_400000_NS6detail17trampoline_kernelINS0_14default_configENS1_21merge_config_selectorINS0_5tupleIJyyEEENS0_10empty_typeEEEZNS1_10merge_implIS3_NS0_12zip_iteratorINS5_IJN6thrust23THRUST_200600_302600_NS6detail15normal_iteratorINSC_10device_ptrIKyEEEESI_EEEEESK_NSA_INS5_IJNSC_16discard_iteratorINSC_11use_defaultEEESN_EEEEEPS7_SQ_SQ_NSC_11hip_rocprim7__merge17predicate_wrapperIyyNSC_4lessIyEEEEEE10hipError_tPvRmT0_T1_T2_T3_T4_T5_mmT6_P12ihipStream_tbEUlT_E0_NS1_11comp_targetILNS1_3genE9ELNS1_11target_archE1100ELNS1_3gpuE3ELNS1_3repE0EEENS1_30default_config_static_selectorELNS0_4arch9wavefront6targetE0EEEvS11_.has_recursion, 0
	.set _ZN7rocprim17ROCPRIM_400000_NS6detail17trampoline_kernelINS0_14default_configENS1_21merge_config_selectorINS0_5tupleIJyyEEENS0_10empty_typeEEEZNS1_10merge_implIS3_NS0_12zip_iteratorINS5_IJN6thrust23THRUST_200600_302600_NS6detail15normal_iteratorINSC_10device_ptrIKyEEEESI_EEEEESK_NSA_INS5_IJNSC_16discard_iteratorINSC_11use_defaultEEESN_EEEEEPS7_SQ_SQ_NSC_11hip_rocprim7__merge17predicate_wrapperIyyNSC_4lessIyEEEEEE10hipError_tPvRmT0_T1_T2_T3_T4_T5_mmT6_P12ihipStream_tbEUlT_E0_NS1_11comp_targetILNS1_3genE9ELNS1_11target_archE1100ELNS1_3gpuE3ELNS1_3repE0EEENS1_30default_config_static_selectorELNS0_4arch9wavefront6targetE0EEEvS11_.has_indirect_call, 0
	.section	.AMDGPU.csdata,"",@progbits
; Kernel info:
; codeLenInByte = 0
; TotalNumSgprs: 0
; NumVgprs: 0
; ScratchSize: 0
; MemoryBound: 0
; FloatMode: 240
; IeeeMode: 1
; LDSByteSize: 0 bytes/workgroup (compile time only)
; SGPRBlocks: 0
; VGPRBlocks: 0
; NumSGPRsForWavesPerEU: 1
; NumVGPRsForWavesPerEU: 1
; Occupancy: 16
; WaveLimiterHint : 0
; COMPUTE_PGM_RSRC2:SCRATCH_EN: 0
; COMPUTE_PGM_RSRC2:USER_SGPR: 6
; COMPUTE_PGM_RSRC2:TRAP_HANDLER: 0
; COMPUTE_PGM_RSRC2:TGID_X_EN: 1
; COMPUTE_PGM_RSRC2:TGID_Y_EN: 0
; COMPUTE_PGM_RSRC2:TGID_Z_EN: 0
; COMPUTE_PGM_RSRC2:TIDIG_COMP_CNT: 0
	.section	.text._ZN7rocprim17ROCPRIM_400000_NS6detail17trampoline_kernelINS0_14default_configENS1_21merge_config_selectorINS0_5tupleIJyyEEENS0_10empty_typeEEEZNS1_10merge_implIS3_NS0_12zip_iteratorINS5_IJN6thrust23THRUST_200600_302600_NS6detail15normal_iteratorINSC_10device_ptrIKyEEEESI_EEEEESK_NSA_INS5_IJNSC_16discard_iteratorINSC_11use_defaultEEESN_EEEEEPS7_SQ_SQ_NSC_11hip_rocprim7__merge17predicate_wrapperIyyNSC_4lessIyEEEEEE10hipError_tPvRmT0_T1_T2_T3_T4_T5_mmT6_P12ihipStream_tbEUlT_E0_NS1_11comp_targetILNS1_3genE8ELNS1_11target_archE1030ELNS1_3gpuE2ELNS1_3repE0EEENS1_30default_config_static_selectorELNS0_4arch9wavefront6targetE0EEEvS11_,"axG",@progbits,_ZN7rocprim17ROCPRIM_400000_NS6detail17trampoline_kernelINS0_14default_configENS1_21merge_config_selectorINS0_5tupleIJyyEEENS0_10empty_typeEEEZNS1_10merge_implIS3_NS0_12zip_iteratorINS5_IJN6thrust23THRUST_200600_302600_NS6detail15normal_iteratorINSC_10device_ptrIKyEEEESI_EEEEESK_NSA_INS5_IJNSC_16discard_iteratorINSC_11use_defaultEEESN_EEEEEPS7_SQ_SQ_NSC_11hip_rocprim7__merge17predicate_wrapperIyyNSC_4lessIyEEEEEE10hipError_tPvRmT0_T1_T2_T3_T4_T5_mmT6_P12ihipStream_tbEUlT_E0_NS1_11comp_targetILNS1_3genE8ELNS1_11target_archE1030ELNS1_3gpuE2ELNS1_3repE0EEENS1_30default_config_static_selectorELNS0_4arch9wavefront6targetE0EEEvS11_,comdat
	.protected	_ZN7rocprim17ROCPRIM_400000_NS6detail17trampoline_kernelINS0_14default_configENS1_21merge_config_selectorINS0_5tupleIJyyEEENS0_10empty_typeEEEZNS1_10merge_implIS3_NS0_12zip_iteratorINS5_IJN6thrust23THRUST_200600_302600_NS6detail15normal_iteratorINSC_10device_ptrIKyEEEESI_EEEEESK_NSA_INS5_IJNSC_16discard_iteratorINSC_11use_defaultEEESN_EEEEEPS7_SQ_SQ_NSC_11hip_rocprim7__merge17predicate_wrapperIyyNSC_4lessIyEEEEEE10hipError_tPvRmT0_T1_T2_T3_T4_T5_mmT6_P12ihipStream_tbEUlT_E0_NS1_11comp_targetILNS1_3genE8ELNS1_11target_archE1030ELNS1_3gpuE2ELNS1_3repE0EEENS1_30default_config_static_selectorELNS0_4arch9wavefront6targetE0EEEvS11_ ; -- Begin function _ZN7rocprim17ROCPRIM_400000_NS6detail17trampoline_kernelINS0_14default_configENS1_21merge_config_selectorINS0_5tupleIJyyEEENS0_10empty_typeEEEZNS1_10merge_implIS3_NS0_12zip_iteratorINS5_IJN6thrust23THRUST_200600_302600_NS6detail15normal_iteratorINSC_10device_ptrIKyEEEESI_EEEEESK_NSA_INS5_IJNSC_16discard_iteratorINSC_11use_defaultEEESN_EEEEEPS7_SQ_SQ_NSC_11hip_rocprim7__merge17predicate_wrapperIyyNSC_4lessIyEEEEEE10hipError_tPvRmT0_T1_T2_T3_T4_T5_mmT6_P12ihipStream_tbEUlT_E0_NS1_11comp_targetILNS1_3genE8ELNS1_11target_archE1030ELNS1_3gpuE2ELNS1_3repE0EEENS1_30default_config_static_selectorELNS0_4arch9wavefront6targetE0EEEvS11_
	.globl	_ZN7rocprim17ROCPRIM_400000_NS6detail17trampoline_kernelINS0_14default_configENS1_21merge_config_selectorINS0_5tupleIJyyEEENS0_10empty_typeEEEZNS1_10merge_implIS3_NS0_12zip_iteratorINS5_IJN6thrust23THRUST_200600_302600_NS6detail15normal_iteratorINSC_10device_ptrIKyEEEESI_EEEEESK_NSA_INS5_IJNSC_16discard_iteratorINSC_11use_defaultEEESN_EEEEEPS7_SQ_SQ_NSC_11hip_rocprim7__merge17predicate_wrapperIyyNSC_4lessIyEEEEEE10hipError_tPvRmT0_T1_T2_T3_T4_T5_mmT6_P12ihipStream_tbEUlT_E0_NS1_11comp_targetILNS1_3genE8ELNS1_11target_archE1030ELNS1_3gpuE2ELNS1_3repE0EEENS1_30default_config_static_selectorELNS0_4arch9wavefront6targetE0EEEvS11_
	.p2align	8
	.type	_ZN7rocprim17ROCPRIM_400000_NS6detail17trampoline_kernelINS0_14default_configENS1_21merge_config_selectorINS0_5tupleIJyyEEENS0_10empty_typeEEEZNS1_10merge_implIS3_NS0_12zip_iteratorINS5_IJN6thrust23THRUST_200600_302600_NS6detail15normal_iteratorINSC_10device_ptrIKyEEEESI_EEEEESK_NSA_INS5_IJNSC_16discard_iteratorINSC_11use_defaultEEESN_EEEEEPS7_SQ_SQ_NSC_11hip_rocprim7__merge17predicate_wrapperIyyNSC_4lessIyEEEEEE10hipError_tPvRmT0_T1_T2_T3_T4_T5_mmT6_P12ihipStream_tbEUlT_E0_NS1_11comp_targetILNS1_3genE8ELNS1_11target_archE1030ELNS1_3gpuE2ELNS1_3repE0EEENS1_30default_config_static_selectorELNS0_4arch9wavefront6targetE0EEEvS11_,@function
_ZN7rocprim17ROCPRIM_400000_NS6detail17trampoline_kernelINS0_14default_configENS1_21merge_config_selectorINS0_5tupleIJyyEEENS0_10empty_typeEEEZNS1_10merge_implIS3_NS0_12zip_iteratorINS5_IJN6thrust23THRUST_200600_302600_NS6detail15normal_iteratorINSC_10device_ptrIKyEEEESI_EEEEESK_NSA_INS5_IJNSC_16discard_iteratorINSC_11use_defaultEEESN_EEEEEPS7_SQ_SQ_NSC_11hip_rocprim7__merge17predicate_wrapperIyyNSC_4lessIyEEEEEE10hipError_tPvRmT0_T1_T2_T3_T4_T5_mmT6_P12ihipStream_tbEUlT_E0_NS1_11comp_targetILNS1_3genE8ELNS1_11target_archE1030ELNS1_3gpuE2ELNS1_3repE0EEENS1_30default_config_static_selectorELNS0_4arch9wavefront6targetE0EEEvS11_: ; @_ZN7rocprim17ROCPRIM_400000_NS6detail17trampoline_kernelINS0_14default_configENS1_21merge_config_selectorINS0_5tupleIJyyEEENS0_10empty_typeEEEZNS1_10merge_implIS3_NS0_12zip_iteratorINS5_IJN6thrust23THRUST_200600_302600_NS6detail15normal_iteratorINSC_10device_ptrIKyEEEESI_EEEEESK_NSA_INS5_IJNSC_16discard_iteratorINSC_11use_defaultEEESN_EEEEEPS7_SQ_SQ_NSC_11hip_rocprim7__merge17predicate_wrapperIyyNSC_4lessIyEEEEEE10hipError_tPvRmT0_T1_T2_T3_T4_T5_mmT6_P12ihipStream_tbEUlT_E0_NS1_11comp_targetILNS1_3genE8ELNS1_11target_archE1030ELNS1_3gpuE2ELNS1_3repE0EEENS1_30default_config_static_selectorELNS0_4arch9wavefront6targetE0EEEvS11_
; %bb.0:
	s_clause 0x2
	s_load_dwordx4 s[0:3], s[4:5], 0x68
	s_load_dwordx8 s[8:15], s[4:5], 0x8
	s_load_dwordx2 s[20:21], s[4:5], 0x28
	s_lshl_b32 s17, s6, 11
	s_mov_b32 s19, 0
	v_mov_b32_e32 v1, 0
	s_waitcnt lgkmcnt(0)
	s_add_i32 s16, s2, s0
	s_add_i32 s0, s16, 0x7ff
	s_lshr_b32 s0, s0, 11
	s_min_u32 s1, s6, s0
	s_lshl_b32 s1, s1, 2
	s_load_dword s18, s[8:9], s1 offset:0x0
	s_add_i32 s1, s6, 1
	s_min_u32 s0, s1, s0
	s_lshl_b32 s0, s0, 2
	s_load_dword s22, s[8:9], s0 offset:0x0
	s_add_i32 s0, s17, 0x800
	s_mov_b32 s9, s19
	s_min_u32 s23, s16, s0
	s_waitcnt lgkmcnt(0)
	s_lshl_b64 s[2:3], s[18:19], 3
	s_sub_i32 s8, s17, s18
	s_add_u32 s0, s10, s2
	s_addc_u32 s1, s11, s3
	s_add_u32 s2, s12, s2
	s_addc_u32 s3, s13, s3
	s_lshl_b64 s[6:7], s[8:9], 3
	s_mov_b32 s12, exec_lo
	s_add_u32 s4, s14, s6
	s_addc_u32 s5, s15, s7
	s_add_u32 s6, s20, s6
	s_addc_u32 s7, s21, s7
	s_add_i32 s8, s8, s22
	s_sub_i32 s10, s22, s18
	s_sub_i32 s11, s23, s8
	s_add_u32 s8, s11, s10
	s_addc_u32 s9, 0, 0
	v_cmpx_le_u32_e64 s10, v0
	s_xor_b32 s12, exec_lo, s12
	s_cbranch_execz .LBB532_4
; %bb.1:
	s_mov_b32 s13, exec_lo
	v_cmpx_gt_u64_e64 s[8:9], v[0:1]
	s_cbranch_execz .LBB532_3
; %bb.2:
	v_subrev_nc_u32_e32 v1, s10, v0
	v_lshlrev_b32_e32 v5, 4, v0
	v_lshlrev_b32_e32 v3, 3, v1
	s_clause 0x1
	global_load_dwordx2 v[1:2], v3, s[4:5]
	global_load_dwordx2 v[3:4], v3, s[6:7]
	s_waitcnt vmcnt(0)
	ds_write_b128 v5, v[1:4]
.LBB532_3:
	s_or_b32 exec_lo, exec_lo, s13
.LBB532_4:
	s_or_saveexec_b32 s12, s12
	v_lshlrev_b32_e32 v33, 3, v0
	v_lshlrev_b32_e32 v3, 4, v0
	s_xor_b32 exec_lo, exec_lo, s12
	s_cbranch_execz .LBB532_6
; %bb.5:
	s_clause 0x1
	global_load_dwordx2 v[4:5], v33, s[0:1]
	global_load_dwordx2 v[6:7], v33, s[2:3]
	s_waitcnt vmcnt(0)
	ds_write_b128 v3, v[4:7]
.LBB532_6:
	s_or_b32 exec_lo, exec_lo, s12
	v_or_b32_e32 v1, 0x100, v0
	v_mov_b32_e32 v2, 0
	s_mov_b32 s12, exec_lo
	v_cmpx_le_u32_e64 s10, v1
	s_xor_b32 s12, exec_lo, s12
	s_cbranch_execz .LBB532_10
; %bb.7:
	s_mov_b32 s13, exec_lo
	v_cmpx_gt_u64_e64 s[8:9], v[1:2]
	s_cbranch_execz .LBB532_9
; %bb.8:
	v_subrev_nc_u32_e32 v1, s10, v1
	v_lshlrev_b32_e32 v1, 3, v1
	s_clause 0x1
	global_load_dwordx2 v[4:5], v1, s[4:5]
	global_load_dwordx2 v[6:7], v1, s[6:7]
	s_waitcnt vmcnt(0)
	ds_write_b128 v3, v[4:7] offset:4096
.LBB532_9:
	s_or_b32 exec_lo, exec_lo, s13
                                        ; implicit-def: $vgpr1_vgpr2
.LBB532_10:
	s_andn2_saveexec_b32 s12, s12
	s_cbranch_execz .LBB532_12
; %bb.11:
	v_lshlrev_b32_e32 v1, 3, v1
	s_clause 0x1
	global_load_dwordx2 v[4:5], v1, s[0:1]
	global_load_dwordx2 v[6:7], v1, s[2:3]
	s_waitcnt vmcnt(0)
	ds_write_b128 v3, v[4:7] offset:4096
.LBB532_12:
	s_or_b32 exec_lo, exec_lo, s12
	v_or_b32_e32 v1, 0x200, v0
	v_mov_b32_e32 v2, 0
	s_mov_b32 s12, exec_lo
	v_cmpx_le_u32_e64 s10, v1
	s_xor_b32 s12, exec_lo, s12
	s_cbranch_execz .LBB532_16
; %bb.13:
	s_mov_b32 s13, exec_lo
	v_cmpx_gt_u64_e64 s[8:9], v[1:2]
	s_cbranch_execz .LBB532_15
; %bb.14:
	v_subrev_nc_u32_e32 v1, s10, v1
	v_lshlrev_b32_e32 v1, 3, v1
	s_clause 0x1
	global_load_dwordx2 v[4:5], v1, s[4:5]
	global_load_dwordx2 v[6:7], v1, s[6:7]
	s_waitcnt vmcnt(0)
	ds_write_b128 v3, v[4:7] offset:8192
.LBB532_15:
	s_or_b32 exec_lo, exec_lo, s13
                                        ; implicit-def: $vgpr1_vgpr2
.LBB532_16:
	s_andn2_saveexec_b32 s12, s12
	s_cbranch_execz .LBB532_18
; %bb.17:
	v_lshlrev_b32_e32 v1, 3, v1
	s_clause 0x1
	global_load_dwordx2 v[4:5], v1, s[0:1]
	global_load_dwordx2 v[6:7], v1, s[2:3]
	s_waitcnt vmcnt(0)
	ds_write_b128 v3, v[4:7] offset:8192
.LBB532_18:
	;; [unrolled: 33-line block ×6, first 2 shown]
	s_or_b32 exec_lo, exec_lo, s12
	v_or_b32_e32 v1, 0x700, v0
	v_mov_b32_e32 v2, 0
	s_mov_b32 s12, exec_lo
	v_cmpx_le_u32_e64 s10, v1
	s_xor_b32 s12, exec_lo, s12
	s_cbranch_execz .LBB532_46
; %bb.43:
	v_cmp_gt_u64_e32 vcc_lo, s[8:9], v[1:2]
	s_and_saveexec_b32 s8, vcc_lo
	s_cbranch_execz .LBB532_45
; %bb.44:
	v_subrev_nc_u32_e32 v1, s10, v1
	v_lshlrev_b32_e32 v1, 3, v1
	s_clause 0x1
	global_load_dwordx2 v[4:5], v1, s[4:5]
	global_load_dwordx2 v[6:7], v1, s[6:7]
	s_waitcnt vmcnt(0)
	ds_write_b128 v3, v[4:7] offset:28672
.LBB532_45:
	s_or_b32 exec_lo, exec_lo, s8
                                        ; implicit-def: $vgpr1_vgpr2
                                        ; implicit-def: $vgpr3
.LBB532_46:
	s_andn2_saveexec_b32 s4, s12
	s_cbranch_execz .LBB532_48
; %bb.47:
	v_lshlrev_b32_e32 v1, 3, v1
	s_clause 0x1
	global_load_dwordx2 v[4:5], v1, s[0:1]
	global_load_dwordx2 v[6:7], v1, s[2:3]
	s_waitcnt vmcnt(0)
	ds_write_b128 v3, v[4:7] offset:28672
.LBB532_48:
	s_or_b32 exec_lo, exec_lo, s4
	v_sub_nc_u32_e64 v34, v33, s11 clamp
	v_min_u32_e32 v1, s10, v33
	s_mov_b32 s0, exec_lo
	s_waitcnt lgkmcnt(0)
	s_barrier
	buffer_gl0_inv
	v_cmpx_lt_u32_e64 v34, v1
	s_cbranch_execz .LBB532_52
; %bb.49:
	v_lshlrev_b32_e32 v2, 4, v33
	s_mov_b32 s1, 0
	v_lshl_add_u32 v2, s10, 4, v2
	.p2align	6
.LBB532_50:                             ; =>This Inner Loop Header: Depth=1
	v_add_nc_u32_e32 v3, v1, v34
	v_lshrrev_b32_e32 v7, 1, v3
	v_not_b32_e32 v3, v7
	v_lshlrev_b32_e32 v4, 4, v7
	v_lshl_add_u32 v5, v3, 4, v2
	ds_read_b64 v[3:4], v4
	ds_read_b64 v[5:6], v5
	s_waitcnt lgkmcnt(0)
	v_cmp_lt_u64_e32 vcc_lo, v[5:6], v[3:4]
	v_add_nc_u32_e32 v3, 1, v7
	v_cndmask_b32_e32 v1, v1, v7, vcc_lo
	v_cndmask_b32_e32 v34, v3, v34, vcc_lo
	v_cmp_ge_u32_e32 vcc_lo, v34, v1
	s_or_b32 s1, vcc_lo, s1
	s_andn2_b32 exec_lo, exec_lo, s1
	s_cbranch_execnz .LBB532_50
; %bb.51:
	s_or_b32 exec_lo, exec_lo, s1
.LBB532_52:
	s_or_b32 exec_lo, exec_lo, s0
	v_add_nc_u32_e32 v1, s10, v33
	s_add_i32 s11, s11, s10
	v_cmp_ge_u32_e32 vcc_lo, s10, v34
	v_mov_b32_e32 v11, 0
	v_mov_b32_e32 v3, 0
	v_sub_nc_u32_e32 v35, v1, v34
	v_mov_b32_e32 v7, 0
	v_mov_b32_e32 v15, 0
	;; [unrolled: 1-line block ×4, first 2 shown]
	v_cmp_ge_u32_e64 s0, s11, v35
	v_mov_b32_e32 v27, 0
	v_mov_b32_e32 v31, 0
	;; [unrolled: 1-line block ×26, first 2 shown]
	s_or_b32 s0, vcc_lo, s0
	s_and_saveexec_b32 s7, s0
	s_cbranch_execz .LBB532_58
; %bb.53:
	v_mov_b32_e32 v7, 0
	v_mov_b32_e32 v3, 0
	;; [unrolled: 1-line block ×6, first 2 shown]
	v_cmp_gt_u32_e32 vcc_lo, s10, v34
	s_and_saveexec_b32 s0, vcc_lo
; %bb.54:
	v_lshlrev_b32_e32 v1, 4, v34
	ds_read_b128 v[1:4], v1
; %bb.55:
	s_or_b32 exec_lo, exec_lo, s0
	v_mov_b32_e32 v5, 0
	v_cmp_le_u32_e64 s0, s11, v35
	v_mov_b32_e32 v6, 0
	s_mov_b32 s2, exec_lo
	v_cmpx_gt_u32_e64 s11, v35
; %bb.56:
	v_lshlrev_b32_e32 v5, 4, v35
	ds_read_b128 v[5:8], v5
; %bb.57:
	s_or_b32 exec_lo, exec_lo, s2
	s_waitcnt lgkmcnt(0)
	v_cmp_ge_u64_e64 s1, v[5:6], v[1:2]
	v_mov_b32_e32 v48, s10
	s_and_b32 s1, vcc_lo, s1
	s_or_b32 vcc_lo, s0, s1
	v_cndmask_b32_e32 v9, v35, v34, vcc_lo
	v_cndmask_b32_e32 v10, s11, v48, vcc_lo
	v_add_nc_u32_e32 v9, 1, v9
	v_add_nc_u32_e32 v10, -1, v10
	v_min_u32_e32 v10, v9, v10
	v_lshlrev_b32_e32 v10, 4, v10
	ds_read_b128 v[11:14], v10
	v_cndmask_b32_e32 v10, v34, v9, vcc_lo
	v_cndmask_b32_e32 v9, v9, v35, vcc_lo
	v_cmp_gt_u32_e64 s1, s10, v10
	v_cmp_le_u32_e64 s2, s11, v9
	s_waitcnt lgkmcnt(0)
	v_cndmask_b32_e32 v32, v12, v6, vcc_lo
	v_cndmask_b32_e32 v31, v11, v5, vcc_lo
	;; [unrolled: 1-line block ×4, first 2 shown]
	v_cmp_ge_u64_e64 s0, v[31:32], v[38:39]
	s_and_b32 s0, s1, s0
	s_or_b32 s0, s2, s0
	v_cndmask_b32_e64 v11, v9, v10, s0
	v_cndmask_b32_e64 v12, s11, v48, s0
	v_add_nc_u32_e32 v11, 1, v11
	v_add_nc_u32_e32 v12, -1, v12
	v_cndmask_b32_e64 v10, v10, v11, s0
	v_min_u32_e32 v12, v11, v12
	v_cndmask_b32_e64 v9, v11, v9, s0
	v_cmp_gt_u32_e64 s2, s10, v10
	v_lshlrev_b32_e32 v12, 4, v12
	v_cmp_le_u32_e64 s3, s11, v9
	ds_read_b128 v[15:18], v12
	s_waitcnt lgkmcnt(0)
	v_cndmask_b32_e64 v41, v16, v32, s0
	v_cndmask_b32_e64 v40, v15, v31, s0
	v_cndmask_b32_e64 v16, v39, v16, s0
	v_cndmask_b32_e64 v15, v38, v15, s0
	v_cmp_ge_u64_e64 s1, v[40:41], v[15:16]
	s_and_b32 s1, s2, s1
	s_or_b32 s1, s3, s1
	v_cndmask_b32_e64 v11, v9, v10, s1
	v_cndmask_b32_e64 v12, s11, v48, s1
	v_add_nc_u32_e32 v11, 1, v11
	v_add_nc_u32_e32 v12, -1, v12
	v_cndmask_b32_e64 v10, v10, v11, s1
	v_min_u32_e32 v12, v11, v12
	v_cndmask_b32_e64 v9, v11, v9, s1
	v_cmp_gt_u32_e64 s3, s10, v10
	v_lshlrev_b32_e32 v12, 4, v12
	v_cmp_le_u32_e64 s4, s11, v9
	ds_read_b128 v[19:22], v12
	s_waitcnt lgkmcnt(0)
	v_cndmask_b32_e64 v43, v20, v41, s1
	v_cndmask_b32_e64 v42, v19, v40, s1
	v_cndmask_b32_e64 v20, v16, v20, s1
	v_cndmask_b32_e64 v19, v15, v19, s1
	;; [unrolled: 19-line block ×3, first 2 shown]
	v_cmp_ge_u64_e64 s3, v[44:45], v[23:24]
	s_and_b32 s3, s4, s3
	s_or_b32 s3, s5, s3
	v_cndmask_b32_e64 v11, v9, v10, s3
	v_cndmask_b32_e64 v12, s11, v48, s3
	v_add_nc_u32_e32 v11, 1, v11
	v_add_nc_u32_e32 v12, -1, v12
	v_cndmask_b32_e64 v49, v10, v11, s3
	v_min_u32_e32 v12, v11, v12
	v_cndmask_b32_e64 v50, v11, v9, s3
	v_cndmask_b32_e32 v11, v7, v3, vcc_lo
	v_cmp_gt_u32_e64 s5, s10, v49
	v_lshlrev_b32_e32 v12, 4, v12
	v_cmp_le_u32_e64 s6, s11, v50
	ds_read_b128 v[27:30], v12
	v_cndmask_b32_e32 v12, v8, v4, vcc_lo
	s_waitcnt lgkmcnt(0)
	v_cndmask_b32_e64 v47, v28, v45, s3
	v_cndmask_b32_e64 v46, v27, v44, s3
	;; [unrolled: 1-line block ×4, first 2 shown]
	v_cmp_ge_u64_e64 s4, v[46:47], v[27:28]
	s_and_b32 s4, s5, s4
	s_or_b32 s4, s6, s4
	v_cndmask_b32_e64 v9, v50, v49, s4
	v_cndmask_b32_e64 v10, s11, v48, s4
	v_add_nc_u32_e32 v51, 1, v9
	v_add_nc_u32_e32 v9, -1, v10
	v_cndmask_b32_e32 v10, v6, v2, vcc_lo
	v_cndmask_b32_e64 v2, v32, v39, s0
	v_cndmask_b32_e32 v6, v14, v8, vcc_lo
	v_cndmask_b32_e64 v49, v49, v51, s4
	v_min_u32_e32 v9, v51, v9
	v_cndmask_b32_e64 v50, v51, v50, s4
	v_cndmask_b32_e32 v8, v4, v14, vcc_lo
	v_cndmask_b32_e64 v14, v18, v6, s0
	v_cmp_gt_u32_e64 s5, s10, v49
	v_lshlrev_b32_e32 v9, 4, v9
	v_cmp_le_u32_e64 s6, s11, v50
	v_cndmask_b32_e64 v18, v8, v18, s0
	v_cndmask_b32_e64 v4, v6, v8, s0
	;; [unrolled: 1-line block ×3, first 2 shown]
	ds_read_b128 v[34:37], v9
	v_cndmask_b32_e32 v9, v5, v1, vcc_lo
	v_cndmask_b32_e64 v1, v31, v38, s0
	v_cndmask_b32_e32 v5, v13, v7, vcc_lo
	v_cndmask_b32_e32 v7, v3, v13, vcc_lo
	v_cndmask_b32_e64 v8, v14, v18, s1
	v_cndmask_b32_e64 v18, v18, v22, s1
	;; [unrolled: 1-line block ×13, first 2 shown]
	s_waitcnt lgkmcnt(0)
	v_cndmask_b32_e64 v32, v35, v47, s4
	v_cndmask_b32_e64 v31, v34, v46, s4
	;; [unrolled: 1-line block ×5, first 2 shown]
	v_cmp_ge_u64_e32 vcc_lo, v[31:32], v[34:35]
	s_and_b32 s5, s5, vcc_lo
	s_or_b32 vcc_lo, s6, s5
	v_cndmask_b32_e32 v7, v50, v49, vcc_lo
	v_cndmask_b32_e32 v38, s11, v48, vcc_lo
	v_add_nc_u32_e32 v48, 1, v7
	v_add_nc_u32_e32 v15, -1, v38
	v_cndmask_b32_e64 v7, v13, v17, s1
	v_cndmask_b32_e64 v38, v21, v13, s1
	v_cndmask_b32_e64 v17, v17, v21, s1
	v_cndmask_b32_e64 v13, v42, v19, s2
	v_min_u32_e32 v15, v48, v15
	v_cndmask_b32_e64 v42, v30, v22, s3
	v_cndmask_b32_e64 v21, v25, v38, s2
	;; [unrolled: 1-line block ×3, first 2 shown]
	v_lshlrev_b32_e32 v19, 4, v15
	v_cndmask_b32_e64 v15, v38, v17, s2
	v_cndmask_b32_e64 v24, v42, v26, s4
	v_cndmask_b32_e64 v42, v37, v42, s4
	v_cndmask_b32_e64 v37, v26, v37, s4
	ds_read_b128 v[38:41], v19
	v_cndmask_b32_e64 v19, v17, v25, s2
	v_cndmask_b32_e64 v25, v29, v21, s3
	v_cndmask_b32_e64 v17, v44, v23, s3
	v_cndmask_b32_e32 v26, v32, v35, vcc_lo
	v_cndmask_b32_e32 v28, v42, v37, vcc_lo
	v_cndmask_b32_e64 v29, v19, v29, s3
	v_cndmask_b32_e64 v43, v36, v25, s4
	;; [unrolled: 1-line block ×6, first 2 shown]
	v_cndmask_b32_e32 v25, v31, v34, vcc_lo
	v_cndmask_b32_e32 v27, v43, v36, vcc_lo
	s_waitcnt lgkmcnt(0)
	v_cndmask_b32_e32 v30, v39, v32, vcc_lo
	v_cndmask_b32_e32 v29, v38, v31, vcc_lo
	;; [unrolled: 1-line block ×8, first 2 shown]
	v_cmp_ge_u64_e64 s0, v[29:30], v[31:32]
	v_cmp_gt_u32_e64 s1, s10, v34
	v_cmp_le_u32_e64 s2, s11, v35
	v_cndmask_b32_e32 v34, v40, v43, vcc_lo
	v_cndmask_b32_e32 v35, v41, v42, vcc_lo
	s_and_b32 s0, s1, s0
	s_or_b32 vcc_lo, s2, s0
	v_cndmask_b32_e32 v30, v30, v32, vcc_lo
	v_cndmask_b32_e32 v29, v29, v31, vcc_lo
	;; [unrolled: 1-line block ×4, first 2 shown]
.LBB532_58:
	s_or_b32 exec_lo, exec_lo, s7
	v_lshlrev_b32_e32 v0, 2, v0
	s_sub_i32 s0, s16, s17
	s_cmpk_gt_u32 s0, 0x7ff
	s_mov_b32 s0, -1
	v_and_b32_e32 v0, 0x3f0, v0
	s_barrier
	buffer_gl0_inv
	v_lshl_add_u32 v0, v33, 4, v0
	ds_write_b128 v0, v[9:12]
	ds_write_b128 v0, v[1:4] offset:16
	ds_write_b128 v0, v[5:8] offset:32
	;; [unrolled: 1-line block ×7, first 2 shown]
	s_waitcnt lgkmcnt(0)
	s_cbranch_scc1 .LBB532_61
; %bb.59:
	s_andn2_b32 vcc_lo, exec_lo, s0
	s_cbranch_vccz .LBB532_62
.LBB532_60:
	buffer_gl0_inv
	s_endpgm
.LBB532_61:
	s_barrier
	s_cbranch_execnz .LBB532_60
.LBB532_62:
	s_barrier
	buffer_gl0_inv
	s_endpgm
	.section	.rodata,"a",@progbits
	.p2align	6, 0x0
	.amdhsa_kernel _ZN7rocprim17ROCPRIM_400000_NS6detail17trampoline_kernelINS0_14default_configENS1_21merge_config_selectorINS0_5tupleIJyyEEENS0_10empty_typeEEEZNS1_10merge_implIS3_NS0_12zip_iteratorINS5_IJN6thrust23THRUST_200600_302600_NS6detail15normal_iteratorINSC_10device_ptrIKyEEEESI_EEEEESK_NSA_INS5_IJNSC_16discard_iteratorINSC_11use_defaultEEESN_EEEEEPS7_SQ_SQ_NSC_11hip_rocprim7__merge17predicate_wrapperIyyNSC_4lessIyEEEEEE10hipError_tPvRmT0_T1_T2_T3_T4_T5_mmT6_P12ihipStream_tbEUlT_E0_NS1_11comp_targetILNS1_3genE8ELNS1_11target_archE1030ELNS1_3gpuE2ELNS1_3repE0EEENS1_30default_config_static_selectorELNS0_4arch9wavefront6targetE0EEEvS11_
		.amdhsa_group_segment_fixed_size 33792
		.amdhsa_private_segment_fixed_size 0
		.amdhsa_kernarg_size 128
		.amdhsa_user_sgpr_count 6
		.amdhsa_user_sgpr_private_segment_buffer 1
		.amdhsa_user_sgpr_dispatch_ptr 0
		.amdhsa_user_sgpr_queue_ptr 0
		.amdhsa_user_sgpr_kernarg_segment_ptr 1
		.amdhsa_user_sgpr_dispatch_id 0
		.amdhsa_user_sgpr_flat_scratch_init 0
		.amdhsa_user_sgpr_private_segment_size 0
		.amdhsa_wavefront_size32 1
		.amdhsa_uses_dynamic_stack 0
		.amdhsa_system_sgpr_private_segment_wavefront_offset 0
		.amdhsa_system_sgpr_workgroup_id_x 1
		.amdhsa_system_sgpr_workgroup_id_y 0
		.amdhsa_system_sgpr_workgroup_id_z 0
		.amdhsa_system_sgpr_workgroup_info 0
		.amdhsa_system_vgpr_workitem_id 0
		.amdhsa_next_free_vgpr 145
		.amdhsa_next_free_sgpr 24
		.amdhsa_reserve_vcc 1
		.amdhsa_reserve_flat_scratch 0
		.amdhsa_float_round_mode_32 0
		.amdhsa_float_round_mode_16_64 0
		.amdhsa_float_denorm_mode_32 3
		.amdhsa_float_denorm_mode_16_64 3
		.amdhsa_dx10_clamp 1
		.amdhsa_ieee_mode 1
		.amdhsa_fp16_overflow 0
		.amdhsa_workgroup_processor_mode 1
		.amdhsa_memory_ordered 1
		.amdhsa_forward_progress 1
		.amdhsa_shared_vgpr_count 0
		.amdhsa_exception_fp_ieee_invalid_op 0
		.amdhsa_exception_fp_denorm_src 0
		.amdhsa_exception_fp_ieee_div_zero 0
		.amdhsa_exception_fp_ieee_overflow 0
		.amdhsa_exception_fp_ieee_underflow 0
		.amdhsa_exception_fp_ieee_inexact 0
		.amdhsa_exception_int_div_zero 0
	.end_amdhsa_kernel
	.section	.text._ZN7rocprim17ROCPRIM_400000_NS6detail17trampoline_kernelINS0_14default_configENS1_21merge_config_selectorINS0_5tupleIJyyEEENS0_10empty_typeEEEZNS1_10merge_implIS3_NS0_12zip_iteratorINS5_IJN6thrust23THRUST_200600_302600_NS6detail15normal_iteratorINSC_10device_ptrIKyEEEESI_EEEEESK_NSA_INS5_IJNSC_16discard_iteratorINSC_11use_defaultEEESN_EEEEEPS7_SQ_SQ_NSC_11hip_rocprim7__merge17predicate_wrapperIyyNSC_4lessIyEEEEEE10hipError_tPvRmT0_T1_T2_T3_T4_T5_mmT6_P12ihipStream_tbEUlT_E0_NS1_11comp_targetILNS1_3genE8ELNS1_11target_archE1030ELNS1_3gpuE2ELNS1_3repE0EEENS1_30default_config_static_selectorELNS0_4arch9wavefront6targetE0EEEvS11_,"axG",@progbits,_ZN7rocprim17ROCPRIM_400000_NS6detail17trampoline_kernelINS0_14default_configENS1_21merge_config_selectorINS0_5tupleIJyyEEENS0_10empty_typeEEEZNS1_10merge_implIS3_NS0_12zip_iteratorINS5_IJN6thrust23THRUST_200600_302600_NS6detail15normal_iteratorINSC_10device_ptrIKyEEEESI_EEEEESK_NSA_INS5_IJNSC_16discard_iteratorINSC_11use_defaultEEESN_EEEEEPS7_SQ_SQ_NSC_11hip_rocprim7__merge17predicate_wrapperIyyNSC_4lessIyEEEEEE10hipError_tPvRmT0_T1_T2_T3_T4_T5_mmT6_P12ihipStream_tbEUlT_E0_NS1_11comp_targetILNS1_3genE8ELNS1_11target_archE1030ELNS1_3gpuE2ELNS1_3repE0EEENS1_30default_config_static_selectorELNS0_4arch9wavefront6targetE0EEEvS11_,comdat
.Lfunc_end532:
	.size	_ZN7rocprim17ROCPRIM_400000_NS6detail17trampoline_kernelINS0_14default_configENS1_21merge_config_selectorINS0_5tupleIJyyEEENS0_10empty_typeEEEZNS1_10merge_implIS3_NS0_12zip_iteratorINS5_IJN6thrust23THRUST_200600_302600_NS6detail15normal_iteratorINSC_10device_ptrIKyEEEESI_EEEEESK_NSA_INS5_IJNSC_16discard_iteratorINSC_11use_defaultEEESN_EEEEEPS7_SQ_SQ_NSC_11hip_rocprim7__merge17predicate_wrapperIyyNSC_4lessIyEEEEEE10hipError_tPvRmT0_T1_T2_T3_T4_T5_mmT6_P12ihipStream_tbEUlT_E0_NS1_11comp_targetILNS1_3genE8ELNS1_11target_archE1030ELNS1_3gpuE2ELNS1_3repE0EEENS1_30default_config_static_selectorELNS0_4arch9wavefront6targetE0EEEvS11_, .Lfunc_end532-_ZN7rocprim17ROCPRIM_400000_NS6detail17trampoline_kernelINS0_14default_configENS1_21merge_config_selectorINS0_5tupleIJyyEEENS0_10empty_typeEEEZNS1_10merge_implIS3_NS0_12zip_iteratorINS5_IJN6thrust23THRUST_200600_302600_NS6detail15normal_iteratorINSC_10device_ptrIKyEEEESI_EEEEESK_NSA_INS5_IJNSC_16discard_iteratorINSC_11use_defaultEEESN_EEEEEPS7_SQ_SQ_NSC_11hip_rocprim7__merge17predicate_wrapperIyyNSC_4lessIyEEEEEE10hipError_tPvRmT0_T1_T2_T3_T4_T5_mmT6_P12ihipStream_tbEUlT_E0_NS1_11comp_targetILNS1_3genE8ELNS1_11target_archE1030ELNS1_3gpuE2ELNS1_3repE0EEENS1_30default_config_static_selectorELNS0_4arch9wavefront6targetE0EEEvS11_
                                        ; -- End function
	.set _ZN7rocprim17ROCPRIM_400000_NS6detail17trampoline_kernelINS0_14default_configENS1_21merge_config_selectorINS0_5tupleIJyyEEENS0_10empty_typeEEEZNS1_10merge_implIS3_NS0_12zip_iteratorINS5_IJN6thrust23THRUST_200600_302600_NS6detail15normal_iteratorINSC_10device_ptrIKyEEEESI_EEEEESK_NSA_INS5_IJNSC_16discard_iteratorINSC_11use_defaultEEESN_EEEEEPS7_SQ_SQ_NSC_11hip_rocprim7__merge17predicate_wrapperIyyNSC_4lessIyEEEEEE10hipError_tPvRmT0_T1_T2_T3_T4_T5_mmT6_P12ihipStream_tbEUlT_E0_NS1_11comp_targetILNS1_3genE8ELNS1_11target_archE1030ELNS1_3gpuE2ELNS1_3repE0EEENS1_30default_config_static_selectorELNS0_4arch9wavefront6targetE0EEEvS11_.num_vgpr, 52
	.set _ZN7rocprim17ROCPRIM_400000_NS6detail17trampoline_kernelINS0_14default_configENS1_21merge_config_selectorINS0_5tupleIJyyEEENS0_10empty_typeEEEZNS1_10merge_implIS3_NS0_12zip_iteratorINS5_IJN6thrust23THRUST_200600_302600_NS6detail15normal_iteratorINSC_10device_ptrIKyEEEESI_EEEEESK_NSA_INS5_IJNSC_16discard_iteratorINSC_11use_defaultEEESN_EEEEEPS7_SQ_SQ_NSC_11hip_rocprim7__merge17predicate_wrapperIyyNSC_4lessIyEEEEEE10hipError_tPvRmT0_T1_T2_T3_T4_T5_mmT6_P12ihipStream_tbEUlT_E0_NS1_11comp_targetILNS1_3genE8ELNS1_11target_archE1030ELNS1_3gpuE2ELNS1_3repE0EEENS1_30default_config_static_selectorELNS0_4arch9wavefront6targetE0EEEvS11_.num_agpr, 0
	.set _ZN7rocprim17ROCPRIM_400000_NS6detail17trampoline_kernelINS0_14default_configENS1_21merge_config_selectorINS0_5tupleIJyyEEENS0_10empty_typeEEEZNS1_10merge_implIS3_NS0_12zip_iteratorINS5_IJN6thrust23THRUST_200600_302600_NS6detail15normal_iteratorINSC_10device_ptrIKyEEEESI_EEEEESK_NSA_INS5_IJNSC_16discard_iteratorINSC_11use_defaultEEESN_EEEEEPS7_SQ_SQ_NSC_11hip_rocprim7__merge17predicate_wrapperIyyNSC_4lessIyEEEEEE10hipError_tPvRmT0_T1_T2_T3_T4_T5_mmT6_P12ihipStream_tbEUlT_E0_NS1_11comp_targetILNS1_3genE8ELNS1_11target_archE1030ELNS1_3gpuE2ELNS1_3repE0EEENS1_30default_config_static_selectorELNS0_4arch9wavefront6targetE0EEEvS11_.numbered_sgpr, 24
	.set _ZN7rocprim17ROCPRIM_400000_NS6detail17trampoline_kernelINS0_14default_configENS1_21merge_config_selectorINS0_5tupleIJyyEEENS0_10empty_typeEEEZNS1_10merge_implIS3_NS0_12zip_iteratorINS5_IJN6thrust23THRUST_200600_302600_NS6detail15normal_iteratorINSC_10device_ptrIKyEEEESI_EEEEESK_NSA_INS5_IJNSC_16discard_iteratorINSC_11use_defaultEEESN_EEEEEPS7_SQ_SQ_NSC_11hip_rocprim7__merge17predicate_wrapperIyyNSC_4lessIyEEEEEE10hipError_tPvRmT0_T1_T2_T3_T4_T5_mmT6_P12ihipStream_tbEUlT_E0_NS1_11comp_targetILNS1_3genE8ELNS1_11target_archE1030ELNS1_3gpuE2ELNS1_3repE0EEENS1_30default_config_static_selectorELNS0_4arch9wavefront6targetE0EEEvS11_.num_named_barrier, 0
	.set _ZN7rocprim17ROCPRIM_400000_NS6detail17trampoline_kernelINS0_14default_configENS1_21merge_config_selectorINS0_5tupleIJyyEEENS0_10empty_typeEEEZNS1_10merge_implIS3_NS0_12zip_iteratorINS5_IJN6thrust23THRUST_200600_302600_NS6detail15normal_iteratorINSC_10device_ptrIKyEEEESI_EEEEESK_NSA_INS5_IJNSC_16discard_iteratorINSC_11use_defaultEEESN_EEEEEPS7_SQ_SQ_NSC_11hip_rocprim7__merge17predicate_wrapperIyyNSC_4lessIyEEEEEE10hipError_tPvRmT0_T1_T2_T3_T4_T5_mmT6_P12ihipStream_tbEUlT_E0_NS1_11comp_targetILNS1_3genE8ELNS1_11target_archE1030ELNS1_3gpuE2ELNS1_3repE0EEENS1_30default_config_static_selectorELNS0_4arch9wavefront6targetE0EEEvS11_.private_seg_size, 0
	.set _ZN7rocprim17ROCPRIM_400000_NS6detail17trampoline_kernelINS0_14default_configENS1_21merge_config_selectorINS0_5tupleIJyyEEENS0_10empty_typeEEEZNS1_10merge_implIS3_NS0_12zip_iteratorINS5_IJN6thrust23THRUST_200600_302600_NS6detail15normal_iteratorINSC_10device_ptrIKyEEEESI_EEEEESK_NSA_INS5_IJNSC_16discard_iteratorINSC_11use_defaultEEESN_EEEEEPS7_SQ_SQ_NSC_11hip_rocprim7__merge17predicate_wrapperIyyNSC_4lessIyEEEEEE10hipError_tPvRmT0_T1_T2_T3_T4_T5_mmT6_P12ihipStream_tbEUlT_E0_NS1_11comp_targetILNS1_3genE8ELNS1_11target_archE1030ELNS1_3gpuE2ELNS1_3repE0EEENS1_30default_config_static_selectorELNS0_4arch9wavefront6targetE0EEEvS11_.uses_vcc, 1
	.set _ZN7rocprim17ROCPRIM_400000_NS6detail17trampoline_kernelINS0_14default_configENS1_21merge_config_selectorINS0_5tupleIJyyEEENS0_10empty_typeEEEZNS1_10merge_implIS3_NS0_12zip_iteratorINS5_IJN6thrust23THRUST_200600_302600_NS6detail15normal_iteratorINSC_10device_ptrIKyEEEESI_EEEEESK_NSA_INS5_IJNSC_16discard_iteratorINSC_11use_defaultEEESN_EEEEEPS7_SQ_SQ_NSC_11hip_rocprim7__merge17predicate_wrapperIyyNSC_4lessIyEEEEEE10hipError_tPvRmT0_T1_T2_T3_T4_T5_mmT6_P12ihipStream_tbEUlT_E0_NS1_11comp_targetILNS1_3genE8ELNS1_11target_archE1030ELNS1_3gpuE2ELNS1_3repE0EEENS1_30default_config_static_selectorELNS0_4arch9wavefront6targetE0EEEvS11_.uses_flat_scratch, 0
	.set _ZN7rocprim17ROCPRIM_400000_NS6detail17trampoline_kernelINS0_14default_configENS1_21merge_config_selectorINS0_5tupleIJyyEEENS0_10empty_typeEEEZNS1_10merge_implIS3_NS0_12zip_iteratorINS5_IJN6thrust23THRUST_200600_302600_NS6detail15normal_iteratorINSC_10device_ptrIKyEEEESI_EEEEESK_NSA_INS5_IJNSC_16discard_iteratorINSC_11use_defaultEEESN_EEEEEPS7_SQ_SQ_NSC_11hip_rocprim7__merge17predicate_wrapperIyyNSC_4lessIyEEEEEE10hipError_tPvRmT0_T1_T2_T3_T4_T5_mmT6_P12ihipStream_tbEUlT_E0_NS1_11comp_targetILNS1_3genE8ELNS1_11target_archE1030ELNS1_3gpuE2ELNS1_3repE0EEENS1_30default_config_static_selectorELNS0_4arch9wavefront6targetE0EEEvS11_.has_dyn_sized_stack, 0
	.set _ZN7rocprim17ROCPRIM_400000_NS6detail17trampoline_kernelINS0_14default_configENS1_21merge_config_selectorINS0_5tupleIJyyEEENS0_10empty_typeEEEZNS1_10merge_implIS3_NS0_12zip_iteratorINS5_IJN6thrust23THRUST_200600_302600_NS6detail15normal_iteratorINSC_10device_ptrIKyEEEESI_EEEEESK_NSA_INS5_IJNSC_16discard_iteratorINSC_11use_defaultEEESN_EEEEEPS7_SQ_SQ_NSC_11hip_rocprim7__merge17predicate_wrapperIyyNSC_4lessIyEEEEEE10hipError_tPvRmT0_T1_T2_T3_T4_T5_mmT6_P12ihipStream_tbEUlT_E0_NS1_11comp_targetILNS1_3genE8ELNS1_11target_archE1030ELNS1_3gpuE2ELNS1_3repE0EEENS1_30default_config_static_selectorELNS0_4arch9wavefront6targetE0EEEvS11_.has_recursion, 0
	.set _ZN7rocprim17ROCPRIM_400000_NS6detail17trampoline_kernelINS0_14default_configENS1_21merge_config_selectorINS0_5tupleIJyyEEENS0_10empty_typeEEEZNS1_10merge_implIS3_NS0_12zip_iteratorINS5_IJN6thrust23THRUST_200600_302600_NS6detail15normal_iteratorINSC_10device_ptrIKyEEEESI_EEEEESK_NSA_INS5_IJNSC_16discard_iteratorINSC_11use_defaultEEESN_EEEEEPS7_SQ_SQ_NSC_11hip_rocprim7__merge17predicate_wrapperIyyNSC_4lessIyEEEEEE10hipError_tPvRmT0_T1_T2_T3_T4_T5_mmT6_P12ihipStream_tbEUlT_E0_NS1_11comp_targetILNS1_3genE8ELNS1_11target_archE1030ELNS1_3gpuE2ELNS1_3repE0EEENS1_30default_config_static_selectorELNS0_4arch9wavefront6targetE0EEEvS11_.has_indirect_call, 0
	.section	.AMDGPU.csdata,"",@progbits
; Kernel info:
; codeLenInByte = 3136
; TotalNumSgprs: 26
; NumVgprs: 52
; ScratchSize: 0
; MemoryBound: 0
; FloatMode: 240
; IeeeMode: 1
; LDSByteSize: 33792 bytes/workgroup (compile time only)
; SGPRBlocks: 0
; VGPRBlocks: 18
; NumSGPRsForWavesPerEU: 26
; NumVGPRsForWavesPerEU: 145
; Occupancy: 6
; WaveLimiterHint : 1
; COMPUTE_PGM_RSRC2:SCRATCH_EN: 0
; COMPUTE_PGM_RSRC2:USER_SGPR: 6
; COMPUTE_PGM_RSRC2:TRAP_HANDLER: 0
; COMPUTE_PGM_RSRC2:TGID_X_EN: 1
; COMPUTE_PGM_RSRC2:TGID_Y_EN: 0
; COMPUTE_PGM_RSRC2:TGID_Z_EN: 0
; COMPUTE_PGM_RSRC2:TIDIG_COMP_CNT: 0
	.section	.text._ZN7rocprim17ROCPRIM_400000_NS6detail17trampoline_kernelINS0_14default_configENS1_21merge_config_selectorINS0_5tupleIJjjEEENS0_10empty_typeEEEZNS1_10merge_implIS3_NS0_12zip_iteratorINS5_IJN6thrust23THRUST_200600_302600_NS6detail15normal_iteratorINSC_10device_ptrIKjEEEESI_EEEEESK_NSA_INS5_IJNSC_16discard_iteratorINSC_11use_defaultEEESN_EEEEEPS7_SQ_SQ_NSC_11hip_rocprim7__merge17predicate_wrapperIjjNSC_4lessIjEEEEEE10hipError_tPvRmT0_T1_T2_T3_T4_T5_mmT6_P12ihipStream_tbEUlT_E_NS1_11comp_targetILNS1_3genE0ELNS1_11target_archE4294967295ELNS1_3gpuE0ELNS1_3repE0EEENS1_30default_config_static_selectorELNS0_4arch9wavefront6targetE0EEEvS11_,"axG",@progbits,_ZN7rocprim17ROCPRIM_400000_NS6detail17trampoline_kernelINS0_14default_configENS1_21merge_config_selectorINS0_5tupleIJjjEEENS0_10empty_typeEEEZNS1_10merge_implIS3_NS0_12zip_iteratorINS5_IJN6thrust23THRUST_200600_302600_NS6detail15normal_iteratorINSC_10device_ptrIKjEEEESI_EEEEESK_NSA_INS5_IJNSC_16discard_iteratorINSC_11use_defaultEEESN_EEEEEPS7_SQ_SQ_NSC_11hip_rocprim7__merge17predicate_wrapperIjjNSC_4lessIjEEEEEE10hipError_tPvRmT0_T1_T2_T3_T4_T5_mmT6_P12ihipStream_tbEUlT_E_NS1_11comp_targetILNS1_3genE0ELNS1_11target_archE4294967295ELNS1_3gpuE0ELNS1_3repE0EEENS1_30default_config_static_selectorELNS0_4arch9wavefront6targetE0EEEvS11_,comdat
	.protected	_ZN7rocprim17ROCPRIM_400000_NS6detail17trampoline_kernelINS0_14default_configENS1_21merge_config_selectorINS0_5tupleIJjjEEENS0_10empty_typeEEEZNS1_10merge_implIS3_NS0_12zip_iteratorINS5_IJN6thrust23THRUST_200600_302600_NS6detail15normal_iteratorINSC_10device_ptrIKjEEEESI_EEEEESK_NSA_INS5_IJNSC_16discard_iteratorINSC_11use_defaultEEESN_EEEEEPS7_SQ_SQ_NSC_11hip_rocprim7__merge17predicate_wrapperIjjNSC_4lessIjEEEEEE10hipError_tPvRmT0_T1_T2_T3_T4_T5_mmT6_P12ihipStream_tbEUlT_E_NS1_11comp_targetILNS1_3genE0ELNS1_11target_archE4294967295ELNS1_3gpuE0ELNS1_3repE0EEENS1_30default_config_static_selectorELNS0_4arch9wavefront6targetE0EEEvS11_ ; -- Begin function _ZN7rocprim17ROCPRIM_400000_NS6detail17trampoline_kernelINS0_14default_configENS1_21merge_config_selectorINS0_5tupleIJjjEEENS0_10empty_typeEEEZNS1_10merge_implIS3_NS0_12zip_iteratorINS5_IJN6thrust23THRUST_200600_302600_NS6detail15normal_iteratorINSC_10device_ptrIKjEEEESI_EEEEESK_NSA_INS5_IJNSC_16discard_iteratorINSC_11use_defaultEEESN_EEEEEPS7_SQ_SQ_NSC_11hip_rocprim7__merge17predicate_wrapperIjjNSC_4lessIjEEEEEE10hipError_tPvRmT0_T1_T2_T3_T4_T5_mmT6_P12ihipStream_tbEUlT_E_NS1_11comp_targetILNS1_3genE0ELNS1_11target_archE4294967295ELNS1_3gpuE0ELNS1_3repE0EEENS1_30default_config_static_selectorELNS0_4arch9wavefront6targetE0EEEvS11_
	.globl	_ZN7rocprim17ROCPRIM_400000_NS6detail17trampoline_kernelINS0_14default_configENS1_21merge_config_selectorINS0_5tupleIJjjEEENS0_10empty_typeEEEZNS1_10merge_implIS3_NS0_12zip_iteratorINS5_IJN6thrust23THRUST_200600_302600_NS6detail15normal_iteratorINSC_10device_ptrIKjEEEESI_EEEEESK_NSA_INS5_IJNSC_16discard_iteratorINSC_11use_defaultEEESN_EEEEEPS7_SQ_SQ_NSC_11hip_rocprim7__merge17predicate_wrapperIjjNSC_4lessIjEEEEEE10hipError_tPvRmT0_T1_T2_T3_T4_T5_mmT6_P12ihipStream_tbEUlT_E_NS1_11comp_targetILNS1_3genE0ELNS1_11target_archE4294967295ELNS1_3gpuE0ELNS1_3repE0EEENS1_30default_config_static_selectorELNS0_4arch9wavefront6targetE0EEEvS11_
	.p2align	8
	.type	_ZN7rocprim17ROCPRIM_400000_NS6detail17trampoline_kernelINS0_14default_configENS1_21merge_config_selectorINS0_5tupleIJjjEEENS0_10empty_typeEEEZNS1_10merge_implIS3_NS0_12zip_iteratorINS5_IJN6thrust23THRUST_200600_302600_NS6detail15normal_iteratorINSC_10device_ptrIKjEEEESI_EEEEESK_NSA_INS5_IJNSC_16discard_iteratorINSC_11use_defaultEEESN_EEEEEPS7_SQ_SQ_NSC_11hip_rocprim7__merge17predicate_wrapperIjjNSC_4lessIjEEEEEE10hipError_tPvRmT0_T1_T2_T3_T4_T5_mmT6_P12ihipStream_tbEUlT_E_NS1_11comp_targetILNS1_3genE0ELNS1_11target_archE4294967295ELNS1_3gpuE0ELNS1_3repE0EEENS1_30default_config_static_selectorELNS0_4arch9wavefront6targetE0EEEvS11_,@function
_ZN7rocprim17ROCPRIM_400000_NS6detail17trampoline_kernelINS0_14default_configENS1_21merge_config_selectorINS0_5tupleIJjjEEENS0_10empty_typeEEEZNS1_10merge_implIS3_NS0_12zip_iteratorINS5_IJN6thrust23THRUST_200600_302600_NS6detail15normal_iteratorINSC_10device_ptrIKjEEEESI_EEEEESK_NSA_INS5_IJNSC_16discard_iteratorINSC_11use_defaultEEESN_EEEEEPS7_SQ_SQ_NSC_11hip_rocprim7__merge17predicate_wrapperIjjNSC_4lessIjEEEEEE10hipError_tPvRmT0_T1_T2_T3_T4_T5_mmT6_P12ihipStream_tbEUlT_E_NS1_11comp_targetILNS1_3genE0ELNS1_11target_archE4294967295ELNS1_3gpuE0ELNS1_3repE0EEENS1_30default_config_static_selectorELNS0_4arch9wavefront6targetE0EEEvS11_: ; @_ZN7rocprim17ROCPRIM_400000_NS6detail17trampoline_kernelINS0_14default_configENS1_21merge_config_selectorINS0_5tupleIJjjEEENS0_10empty_typeEEEZNS1_10merge_implIS3_NS0_12zip_iteratorINS5_IJN6thrust23THRUST_200600_302600_NS6detail15normal_iteratorINSC_10device_ptrIKjEEEESI_EEEEESK_NSA_INS5_IJNSC_16discard_iteratorINSC_11use_defaultEEESN_EEEEEPS7_SQ_SQ_NSC_11hip_rocprim7__merge17predicate_wrapperIjjNSC_4lessIjEEEEEE10hipError_tPvRmT0_T1_T2_T3_T4_T5_mmT6_P12ihipStream_tbEUlT_E_NS1_11comp_targetILNS1_3genE0ELNS1_11target_archE4294967295ELNS1_3gpuE0ELNS1_3repE0EEENS1_30default_config_static_selectorELNS0_4arch9wavefront6targetE0EEEvS11_
; %bb.0:
	.section	.rodata,"a",@progbits
	.p2align	6, 0x0
	.amdhsa_kernel _ZN7rocprim17ROCPRIM_400000_NS6detail17trampoline_kernelINS0_14default_configENS1_21merge_config_selectorINS0_5tupleIJjjEEENS0_10empty_typeEEEZNS1_10merge_implIS3_NS0_12zip_iteratorINS5_IJN6thrust23THRUST_200600_302600_NS6detail15normal_iteratorINSC_10device_ptrIKjEEEESI_EEEEESK_NSA_INS5_IJNSC_16discard_iteratorINSC_11use_defaultEEESN_EEEEEPS7_SQ_SQ_NSC_11hip_rocprim7__merge17predicate_wrapperIjjNSC_4lessIjEEEEEE10hipError_tPvRmT0_T1_T2_T3_T4_T5_mmT6_P12ihipStream_tbEUlT_E_NS1_11comp_targetILNS1_3genE0ELNS1_11target_archE4294967295ELNS1_3gpuE0ELNS1_3repE0EEENS1_30default_config_static_selectorELNS0_4arch9wavefront6targetE0EEEvS11_
		.amdhsa_group_segment_fixed_size 0
		.amdhsa_private_segment_fixed_size 0
		.amdhsa_kernarg_size 64
		.amdhsa_user_sgpr_count 6
		.amdhsa_user_sgpr_private_segment_buffer 1
		.amdhsa_user_sgpr_dispatch_ptr 0
		.amdhsa_user_sgpr_queue_ptr 0
		.amdhsa_user_sgpr_kernarg_segment_ptr 1
		.amdhsa_user_sgpr_dispatch_id 0
		.amdhsa_user_sgpr_flat_scratch_init 0
		.amdhsa_user_sgpr_private_segment_size 0
		.amdhsa_wavefront_size32 1
		.amdhsa_uses_dynamic_stack 0
		.amdhsa_system_sgpr_private_segment_wavefront_offset 0
		.amdhsa_system_sgpr_workgroup_id_x 1
		.amdhsa_system_sgpr_workgroup_id_y 0
		.amdhsa_system_sgpr_workgroup_id_z 0
		.amdhsa_system_sgpr_workgroup_info 0
		.amdhsa_system_vgpr_workitem_id 0
		.amdhsa_next_free_vgpr 1
		.amdhsa_next_free_sgpr 1
		.amdhsa_reserve_vcc 0
		.amdhsa_reserve_flat_scratch 0
		.amdhsa_float_round_mode_32 0
		.amdhsa_float_round_mode_16_64 0
		.amdhsa_float_denorm_mode_32 3
		.amdhsa_float_denorm_mode_16_64 3
		.amdhsa_dx10_clamp 1
		.amdhsa_ieee_mode 1
		.amdhsa_fp16_overflow 0
		.amdhsa_workgroup_processor_mode 1
		.amdhsa_memory_ordered 1
		.amdhsa_forward_progress 1
		.amdhsa_shared_vgpr_count 0
		.amdhsa_exception_fp_ieee_invalid_op 0
		.amdhsa_exception_fp_denorm_src 0
		.amdhsa_exception_fp_ieee_div_zero 0
		.amdhsa_exception_fp_ieee_overflow 0
		.amdhsa_exception_fp_ieee_underflow 0
		.amdhsa_exception_fp_ieee_inexact 0
		.amdhsa_exception_int_div_zero 0
	.end_amdhsa_kernel
	.section	.text._ZN7rocprim17ROCPRIM_400000_NS6detail17trampoline_kernelINS0_14default_configENS1_21merge_config_selectorINS0_5tupleIJjjEEENS0_10empty_typeEEEZNS1_10merge_implIS3_NS0_12zip_iteratorINS5_IJN6thrust23THRUST_200600_302600_NS6detail15normal_iteratorINSC_10device_ptrIKjEEEESI_EEEEESK_NSA_INS5_IJNSC_16discard_iteratorINSC_11use_defaultEEESN_EEEEEPS7_SQ_SQ_NSC_11hip_rocprim7__merge17predicate_wrapperIjjNSC_4lessIjEEEEEE10hipError_tPvRmT0_T1_T2_T3_T4_T5_mmT6_P12ihipStream_tbEUlT_E_NS1_11comp_targetILNS1_3genE0ELNS1_11target_archE4294967295ELNS1_3gpuE0ELNS1_3repE0EEENS1_30default_config_static_selectorELNS0_4arch9wavefront6targetE0EEEvS11_,"axG",@progbits,_ZN7rocprim17ROCPRIM_400000_NS6detail17trampoline_kernelINS0_14default_configENS1_21merge_config_selectorINS0_5tupleIJjjEEENS0_10empty_typeEEEZNS1_10merge_implIS3_NS0_12zip_iteratorINS5_IJN6thrust23THRUST_200600_302600_NS6detail15normal_iteratorINSC_10device_ptrIKjEEEESI_EEEEESK_NSA_INS5_IJNSC_16discard_iteratorINSC_11use_defaultEEESN_EEEEEPS7_SQ_SQ_NSC_11hip_rocprim7__merge17predicate_wrapperIjjNSC_4lessIjEEEEEE10hipError_tPvRmT0_T1_T2_T3_T4_T5_mmT6_P12ihipStream_tbEUlT_E_NS1_11comp_targetILNS1_3genE0ELNS1_11target_archE4294967295ELNS1_3gpuE0ELNS1_3repE0EEENS1_30default_config_static_selectorELNS0_4arch9wavefront6targetE0EEEvS11_,comdat
.Lfunc_end533:
	.size	_ZN7rocprim17ROCPRIM_400000_NS6detail17trampoline_kernelINS0_14default_configENS1_21merge_config_selectorINS0_5tupleIJjjEEENS0_10empty_typeEEEZNS1_10merge_implIS3_NS0_12zip_iteratorINS5_IJN6thrust23THRUST_200600_302600_NS6detail15normal_iteratorINSC_10device_ptrIKjEEEESI_EEEEESK_NSA_INS5_IJNSC_16discard_iteratorINSC_11use_defaultEEESN_EEEEEPS7_SQ_SQ_NSC_11hip_rocprim7__merge17predicate_wrapperIjjNSC_4lessIjEEEEEE10hipError_tPvRmT0_T1_T2_T3_T4_T5_mmT6_P12ihipStream_tbEUlT_E_NS1_11comp_targetILNS1_3genE0ELNS1_11target_archE4294967295ELNS1_3gpuE0ELNS1_3repE0EEENS1_30default_config_static_selectorELNS0_4arch9wavefront6targetE0EEEvS11_, .Lfunc_end533-_ZN7rocprim17ROCPRIM_400000_NS6detail17trampoline_kernelINS0_14default_configENS1_21merge_config_selectorINS0_5tupleIJjjEEENS0_10empty_typeEEEZNS1_10merge_implIS3_NS0_12zip_iteratorINS5_IJN6thrust23THRUST_200600_302600_NS6detail15normal_iteratorINSC_10device_ptrIKjEEEESI_EEEEESK_NSA_INS5_IJNSC_16discard_iteratorINSC_11use_defaultEEESN_EEEEEPS7_SQ_SQ_NSC_11hip_rocprim7__merge17predicate_wrapperIjjNSC_4lessIjEEEEEE10hipError_tPvRmT0_T1_T2_T3_T4_T5_mmT6_P12ihipStream_tbEUlT_E_NS1_11comp_targetILNS1_3genE0ELNS1_11target_archE4294967295ELNS1_3gpuE0ELNS1_3repE0EEENS1_30default_config_static_selectorELNS0_4arch9wavefront6targetE0EEEvS11_
                                        ; -- End function
	.set _ZN7rocprim17ROCPRIM_400000_NS6detail17trampoline_kernelINS0_14default_configENS1_21merge_config_selectorINS0_5tupleIJjjEEENS0_10empty_typeEEEZNS1_10merge_implIS3_NS0_12zip_iteratorINS5_IJN6thrust23THRUST_200600_302600_NS6detail15normal_iteratorINSC_10device_ptrIKjEEEESI_EEEEESK_NSA_INS5_IJNSC_16discard_iteratorINSC_11use_defaultEEESN_EEEEEPS7_SQ_SQ_NSC_11hip_rocprim7__merge17predicate_wrapperIjjNSC_4lessIjEEEEEE10hipError_tPvRmT0_T1_T2_T3_T4_T5_mmT6_P12ihipStream_tbEUlT_E_NS1_11comp_targetILNS1_3genE0ELNS1_11target_archE4294967295ELNS1_3gpuE0ELNS1_3repE0EEENS1_30default_config_static_selectorELNS0_4arch9wavefront6targetE0EEEvS11_.num_vgpr, 0
	.set _ZN7rocprim17ROCPRIM_400000_NS6detail17trampoline_kernelINS0_14default_configENS1_21merge_config_selectorINS0_5tupleIJjjEEENS0_10empty_typeEEEZNS1_10merge_implIS3_NS0_12zip_iteratorINS5_IJN6thrust23THRUST_200600_302600_NS6detail15normal_iteratorINSC_10device_ptrIKjEEEESI_EEEEESK_NSA_INS5_IJNSC_16discard_iteratorINSC_11use_defaultEEESN_EEEEEPS7_SQ_SQ_NSC_11hip_rocprim7__merge17predicate_wrapperIjjNSC_4lessIjEEEEEE10hipError_tPvRmT0_T1_T2_T3_T4_T5_mmT6_P12ihipStream_tbEUlT_E_NS1_11comp_targetILNS1_3genE0ELNS1_11target_archE4294967295ELNS1_3gpuE0ELNS1_3repE0EEENS1_30default_config_static_selectorELNS0_4arch9wavefront6targetE0EEEvS11_.num_agpr, 0
	.set _ZN7rocprim17ROCPRIM_400000_NS6detail17trampoline_kernelINS0_14default_configENS1_21merge_config_selectorINS0_5tupleIJjjEEENS0_10empty_typeEEEZNS1_10merge_implIS3_NS0_12zip_iteratorINS5_IJN6thrust23THRUST_200600_302600_NS6detail15normal_iteratorINSC_10device_ptrIKjEEEESI_EEEEESK_NSA_INS5_IJNSC_16discard_iteratorINSC_11use_defaultEEESN_EEEEEPS7_SQ_SQ_NSC_11hip_rocprim7__merge17predicate_wrapperIjjNSC_4lessIjEEEEEE10hipError_tPvRmT0_T1_T2_T3_T4_T5_mmT6_P12ihipStream_tbEUlT_E_NS1_11comp_targetILNS1_3genE0ELNS1_11target_archE4294967295ELNS1_3gpuE0ELNS1_3repE0EEENS1_30default_config_static_selectorELNS0_4arch9wavefront6targetE0EEEvS11_.numbered_sgpr, 0
	.set _ZN7rocprim17ROCPRIM_400000_NS6detail17trampoline_kernelINS0_14default_configENS1_21merge_config_selectorINS0_5tupleIJjjEEENS0_10empty_typeEEEZNS1_10merge_implIS3_NS0_12zip_iteratorINS5_IJN6thrust23THRUST_200600_302600_NS6detail15normal_iteratorINSC_10device_ptrIKjEEEESI_EEEEESK_NSA_INS5_IJNSC_16discard_iteratorINSC_11use_defaultEEESN_EEEEEPS7_SQ_SQ_NSC_11hip_rocprim7__merge17predicate_wrapperIjjNSC_4lessIjEEEEEE10hipError_tPvRmT0_T1_T2_T3_T4_T5_mmT6_P12ihipStream_tbEUlT_E_NS1_11comp_targetILNS1_3genE0ELNS1_11target_archE4294967295ELNS1_3gpuE0ELNS1_3repE0EEENS1_30default_config_static_selectorELNS0_4arch9wavefront6targetE0EEEvS11_.num_named_barrier, 0
	.set _ZN7rocprim17ROCPRIM_400000_NS6detail17trampoline_kernelINS0_14default_configENS1_21merge_config_selectorINS0_5tupleIJjjEEENS0_10empty_typeEEEZNS1_10merge_implIS3_NS0_12zip_iteratorINS5_IJN6thrust23THRUST_200600_302600_NS6detail15normal_iteratorINSC_10device_ptrIKjEEEESI_EEEEESK_NSA_INS5_IJNSC_16discard_iteratorINSC_11use_defaultEEESN_EEEEEPS7_SQ_SQ_NSC_11hip_rocprim7__merge17predicate_wrapperIjjNSC_4lessIjEEEEEE10hipError_tPvRmT0_T1_T2_T3_T4_T5_mmT6_P12ihipStream_tbEUlT_E_NS1_11comp_targetILNS1_3genE0ELNS1_11target_archE4294967295ELNS1_3gpuE0ELNS1_3repE0EEENS1_30default_config_static_selectorELNS0_4arch9wavefront6targetE0EEEvS11_.private_seg_size, 0
	.set _ZN7rocprim17ROCPRIM_400000_NS6detail17trampoline_kernelINS0_14default_configENS1_21merge_config_selectorINS0_5tupleIJjjEEENS0_10empty_typeEEEZNS1_10merge_implIS3_NS0_12zip_iteratorINS5_IJN6thrust23THRUST_200600_302600_NS6detail15normal_iteratorINSC_10device_ptrIKjEEEESI_EEEEESK_NSA_INS5_IJNSC_16discard_iteratorINSC_11use_defaultEEESN_EEEEEPS7_SQ_SQ_NSC_11hip_rocprim7__merge17predicate_wrapperIjjNSC_4lessIjEEEEEE10hipError_tPvRmT0_T1_T2_T3_T4_T5_mmT6_P12ihipStream_tbEUlT_E_NS1_11comp_targetILNS1_3genE0ELNS1_11target_archE4294967295ELNS1_3gpuE0ELNS1_3repE0EEENS1_30default_config_static_selectorELNS0_4arch9wavefront6targetE0EEEvS11_.uses_vcc, 0
	.set _ZN7rocprim17ROCPRIM_400000_NS6detail17trampoline_kernelINS0_14default_configENS1_21merge_config_selectorINS0_5tupleIJjjEEENS0_10empty_typeEEEZNS1_10merge_implIS3_NS0_12zip_iteratorINS5_IJN6thrust23THRUST_200600_302600_NS6detail15normal_iteratorINSC_10device_ptrIKjEEEESI_EEEEESK_NSA_INS5_IJNSC_16discard_iteratorINSC_11use_defaultEEESN_EEEEEPS7_SQ_SQ_NSC_11hip_rocprim7__merge17predicate_wrapperIjjNSC_4lessIjEEEEEE10hipError_tPvRmT0_T1_T2_T3_T4_T5_mmT6_P12ihipStream_tbEUlT_E_NS1_11comp_targetILNS1_3genE0ELNS1_11target_archE4294967295ELNS1_3gpuE0ELNS1_3repE0EEENS1_30default_config_static_selectorELNS0_4arch9wavefront6targetE0EEEvS11_.uses_flat_scratch, 0
	.set _ZN7rocprim17ROCPRIM_400000_NS6detail17trampoline_kernelINS0_14default_configENS1_21merge_config_selectorINS0_5tupleIJjjEEENS0_10empty_typeEEEZNS1_10merge_implIS3_NS0_12zip_iteratorINS5_IJN6thrust23THRUST_200600_302600_NS6detail15normal_iteratorINSC_10device_ptrIKjEEEESI_EEEEESK_NSA_INS5_IJNSC_16discard_iteratorINSC_11use_defaultEEESN_EEEEEPS7_SQ_SQ_NSC_11hip_rocprim7__merge17predicate_wrapperIjjNSC_4lessIjEEEEEE10hipError_tPvRmT0_T1_T2_T3_T4_T5_mmT6_P12ihipStream_tbEUlT_E_NS1_11comp_targetILNS1_3genE0ELNS1_11target_archE4294967295ELNS1_3gpuE0ELNS1_3repE0EEENS1_30default_config_static_selectorELNS0_4arch9wavefront6targetE0EEEvS11_.has_dyn_sized_stack, 0
	.set _ZN7rocprim17ROCPRIM_400000_NS6detail17trampoline_kernelINS0_14default_configENS1_21merge_config_selectorINS0_5tupleIJjjEEENS0_10empty_typeEEEZNS1_10merge_implIS3_NS0_12zip_iteratorINS5_IJN6thrust23THRUST_200600_302600_NS6detail15normal_iteratorINSC_10device_ptrIKjEEEESI_EEEEESK_NSA_INS5_IJNSC_16discard_iteratorINSC_11use_defaultEEESN_EEEEEPS7_SQ_SQ_NSC_11hip_rocprim7__merge17predicate_wrapperIjjNSC_4lessIjEEEEEE10hipError_tPvRmT0_T1_T2_T3_T4_T5_mmT6_P12ihipStream_tbEUlT_E_NS1_11comp_targetILNS1_3genE0ELNS1_11target_archE4294967295ELNS1_3gpuE0ELNS1_3repE0EEENS1_30default_config_static_selectorELNS0_4arch9wavefront6targetE0EEEvS11_.has_recursion, 0
	.set _ZN7rocprim17ROCPRIM_400000_NS6detail17trampoline_kernelINS0_14default_configENS1_21merge_config_selectorINS0_5tupleIJjjEEENS0_10empty_typeEEEZNS1_10merge_implIS3_NS0_12zip_iteratorINS5_IJN6thrust23THRUST_200600_302600_NS6detail15normal_iteratorINSC_10device_ptrIKjEEEESI_EEEEESK_NSA_INS5_IJNSC_16discard_iteratorINSC_11use_defaultEEESN_EEEEEPS7_SQ_SQ_NSC_11hip_rocprim7__merge17predicate_wrapperIjjNSC_4lessIjEEEEEE10hipError_tPvRmT0_T1_T2_T3_T4_T5_mmT6_P12ihipStream_tbEUlT_E_NS1_11comp_targetILNS1_3genE0ELNS1_11target_archE4294967295ELNS1_3gpuE0ELNS1_3repE0EEENS1_30default_config_static_selectorELNS0_4arch9wavefront6targetE0EEEvS11_.has_indirect_call, 0
	.section	.AMDGPU.csdata,"",@progbits
; Kernel info:
; codeLenInByte = 0
; TotalNumSgprs: 0
; NumVgprs: 0
; ScratchSize: 0
; MemoryBound: 0
; FloatMode: 240
; IeeeMode: 1
; LDSByteSize: 0 bytes/workgroup (compile time only)
; SGPRBlocks: 0
; VGPRBlocks: 0
; NumSGPRsForWavesPerEU: 1
; NumVGPRsForWavesPerEU: 1
; Occupancy: 16
; WaveLimiterHint : 0
; COMPUTE_PGM_RSRC2:SCRATCH_EN: 0
; COMPUTE_PGM_RSRC2:USER_SGPR: 6
; COMPUTE_PGM_RSRC2:TRAP_HANDLER: 0
; COMPUTE_PGM_RSRC2:TGID_X_EN: 1
; COMPUTE_PGM_RSRC2:TGID_Y_EN: 0
; COMPUTE_PGM_RSRC2:TGID_Z_EN: 0
; COMPUTE_PGM_RSRC2:TIDIG_COMP_CNT: 0
	.section	.text._ZN7rocprim17ROCPRIM_400000_NS6detail17trampoline_kernelINS0_14default_configENS1_21merge_config_selectorINS0_5tupleIJjjEEENS0_10empty_typeEEEZNS1_10merge_implIS3_NS0_12zip_iteratorINS5_IJN6thrust23THRUST_200600_302600_NS6detail15normal_iteratorINSC_10device_ptrIKjEEEESI_EEEEESK_NSA_INS5_IJNSC_16discard_iteratorINSC_11use_defaultEEESN_EEEEEPS7_SQ_SQ_NSC_11hip_rocprim7__merge17predicate_wrapperIjjNSC_4lessIjEEEEEE10hipError_tPvRmT0_T1_T2_T3_T4_T5_mmT6_P12ihipStream_tbEUlT_E_NS1_11comp_targetILNS1_3genE5ELNS1_11target_archE942ELNS1_3gpuE9ELNS1_3repE0EEENS1_30default_config_static_selectorELNS0_4arch9wavefront6targetE0EEEvS11_,"axG",@progbits,_ZN7rocprim17ROCPRIM_400000_NS6detail17trampoline_kernelINS0_14default_configENS1_21merge_config_selectorINS0_5tupleIJjjEEENS0_10empty_typeEEEZNS1_10merge_implIS3_NS0_12zip_iteratorINS5_IJN6thrust23THRUST_200600_302600_NS6detail15normal_iteratorINSC_10device_ptrIKjEEEESI_EEEEESK_NSA_INS5_IJNSC_16discard_iteratorINSC_11use_defaultEEESN_EEEEEPS7_SQ_SQ_NSC_11hip_rocprim7__merge17predicate_wrapperIjjNSC_4lessIjEEEEEE10hipError_tPvRmT0_T1_T2_T3_T4_T5_mmT6_P12ihipStream_tbEUlT_E_NS1_11comp_targetILNS1_3genE5ELNS1_11target_archE942ELNS1_3gpuE9ELNS1_3repE0EEENS1_30default_config_static_selectorELNS0_4arch9wavefront6targetE0EEEvS11_,comdat
	.protected	_ZN7rocprim17ROCPRIM_400000_NS6detail17trampoline_kernelINS0_14default_configENS1_21merge_config_selectorINS0_5tupleIJjjEEENS0_10empty_typeEEEZNS1_10merge_implIS3_NS0_12zip_iteratorINS5_IJN6thrust23THRUST_200600_302600_NS6detail15normal_iteratorINSC_10device_ptrIKjEEEESI_EEEEESK_NSA_INS5_IJNSC_16discard_iteratorINSC_11use_defaultEEESN_EEEEEPS7_SQ_SQ_NSC_11hip_rocprim7__merge17predicate_wrapperIjjNSC_4lessIjEEEEEE10hipError_tPvRmT0_T1_T2_T3_T4_T5_mmT6_P12ihipStream_tbEUlT_E_NS1_11comp_targetILNS1_3genE5ELNS1_11target_archE942ELNS1_3gpuE9ELNS1_3repE0EEENS1_30default_config_static_selectorELNS0_4arch9wavefront6targetE0EEEvS11_ ; -- Begin function _ZN7rocprim17ROCPRIM_400000_NS6detail17trampoline_kernelINS0_14default_configENS1_21merge_config_selectorINS0_5tupleIJjjEEENS0_10empty_typeEEEZNS1_10merge_implIS3_NS0_12zip_iteratorINS5_IJN6thrust23THRUST_200600_302600_NS6detail15normal_iteratorINSC_10device_ptrIKjEEEESI_EEEEESK_NSA_INS5_IJNSC_16discard_iteratorINSC_11use_defaultEEESN_EEEEEPS7_SQ_SQ_NSC_11hip_rocprim7__merge17predicate_wrapperIjjNSC_4lessIjEEEEEE10hipError_tPvRmT0_T1_T2_T3_T4_T5_mmT6_P12ihipStream_tbEUlT_E_NS1_11comp_targetILNS1_3genE5ELNS1_11target_archE942ELNS1_3gpuE9ELNS1_3repE0EEENS1_30default_config_static_selectorELNS0_4arch9wavefront6targetE0EEEvS11_
	.globl	_ZN7rocprim17ROCPRIM_400000_NS6detail17trampoline_kernelINS0_14default_configENS1_21merge_config_selectorINS0_5tupleIJjjEEENS0_10empty_typeEEEZNS1_10merge_implIS3_NS0_12zip_iteratorINS5_IJN6thrust23THRUST_200600_302600_NS6detail15normal_iteratorINSC_10device_ptrIKjEEEESI_EEEEESK_NSA_INS5_IJNSC_16discard_iteratorINSC_11use_defaultEEESN_EEEEEPS7_SQ_SQ_NSC_11hip_rocprim7__merge17predicate_wrapperIjjNSC_4lessIjEEEEEE10hipError_tPvRmT0_T1_T2_T3_T4_T5_mmT6_P12ihipStream_tbEUlT_E_NS1_11comp_targetILNS1_3genE5ELNS1_11target_archE942ELNS1_3gpuE9ELNS1_3repE0EEENS1_30default_config_static_selectorELNS0_4arch9wavefront6targetE0EEEvS11_
	.p2align	8
	.type	_ZN7rocprim17ROCPRIM_400000_NS6detail17trampoline_kernelINS0_14default_configENS1_21merge_config_selectorINS0_5tupleIJjjEEENS0_10empty_typeEEEZNS1_10merge_implIS3_NS0_12zip_iteratorINS5_IJN6thrust23THRUST_200600_302600_NS6detail15normal_iteratorINSC_10device_ptrIKjEEEESI_EEEEESK_NSA_INS5_IJNSC_16discard_iteratorINSC_11use_defaultEEESN_EEEEEPS7_SQ_SQ_NSC_11hip_rocprim7__merge17predicate_wrapperIjjNSC_4lessIjEEEEEE10hipError_tPvRmT0_T1_T2_T3_T4_T5_mmT6_P12ihipStream_tbEUlT_E_NS1_11comp_targetILNS1_3genE5ELNS1_11target_archE942ELNS1_3gpuE9ELNS1_3repE0EEENS1_30default_config_static_selectorELNS0_4arch9wavefront6targetE0EEEvS11_,@function
_ZN7rocprim17ROCPRIM_400000_NS6detail17trampoline_kernelINS0_14default_configENS1_21merge_config_selectorINS0_5tupleIJjjEEENS0_10empty_typeEEEZNS1_10merge_implIS3_NS0_12zip_iteratorINS5_IJN6thrust23THRUST_200600_302600_NS6detail15normal_iteratorINSC_10device_ptrIKjEEEESI_EEEEESK_NSA_INS5_IJNSC_16discard_iteratorINSC_11use_defaultEEESN_EEEEEPS7_SQ_SQ_NSC_11hip_rocprim7__merge17predicate_wrapperIjjNSC_4lessIjEEEEEE10hipError_tPvRmT0_T1_T2_T3_T4_T5_mmT6_P12ihipStream_tbEUlT_E_NS1_11comp_targetILNS1_3genE5ELNS1_11target_archE942ELNS1_3gpuE9ELNS1_3repE0EEENS1_30default_config_static_selectorELNS0_4arch9wavefront6targetE0EEEvS11_: ; @_ZN7rocprim17ROCPRIM_400000_NS6detail17trampoline_kernelINS0_14default_configENS1_21merge_config_selectorINS0_5tupleIJjjEEENS0_10empty_typeEEEZNS1_10merge_implIS3_NS0_12zip_iteratorINS5_IJN6thrust23THRUST_200600_302600_NS6detail15normal_iteratorINSC_10device_ptrIKjEEEESI_EEEEESK_NSA_INS5_IJNSC_16discard_iteratorINSC_11use_defaultEEESN_EEEEEPS7_SQ_SQ_NSC_11hip_rocprim7__merge17predicate_wrapperIjjNSC_4lessIjEEEEEE10hipError_tPvRmT0_T1_T2_T3_T4_T5_mmT6_P12ihipStream_tbEUlT_E_NS1_11comp_targetILNS1_3genE5ELNS1_11target_archE942ELNS1_3gpuE9ELNS1_3repE0EEENS1_30default_config_static_selectorELNS0_4arch9wavefront6targetE0EEEvS11_
; %bb.0:
	.section	.rodata,"a",@progbits
	.p2align	6, 0x0
	.amdhsa_kernel _ZN7rocprim17ROCPRIM_400000_NS6detail17trampoline_kernelINS0_14default_configENS1_21merge_config_selectorINS0_5tupleIJjjEEENS0_10empty_typeEEEZNS1_10merge_implIS3_NS0_12zip_iteratorINS5_IJN6thrust23THRUST_200600_302600_NS6detail15normal_iteratorINSC_10device_ptrIKjEEEESI_EEEEESK_NSA_INS5_IJNSC_16discard_iteratorINSC_11use_defaultEEESN_EEEEEPS7_SQ_SQ_NSC_11hip_rocprim7__merge17predicate_wrapperIjjNSC_4lessIjEEEEEE10hipError_tPvRmT0_T1_T2_T3_T4_T5_mmT6_P12ihipStream_tbEUlT_E_NS1_11comp_targetILNS1_3genE5ELNS1_11target_archE942ELNS1_3gpuE9ELNS1_3repE0EEENS1_30default_config_static_selectorELNS0_4arch9wavefront6targetE0EEEvS11_
		.amdhsa_group_segment_fixed_size 0
		.amdhsa_private_segment_fixed_size 0
		.amdhsa_kernarg_size 64
		.amdhsa_user_sgpr_count 6
		.amdhsa_user_sgpr_private_segment_buffer 1
		.amdhsa_user_sgpr_dispatch_ptr 0
		.amdhsa_user_sgpr_queue_ptr 0
		.amdhsa_user_sgpr_kernarg_segment_ptr 1
		.amdhsa_user_sgpr_dispatch_id 0
		.amdhsa_user_sgpr_flat_scratch_init 0
		.amdhsa_user_sgpr_private_segment_size 0
		.amdhsa_wavefront_size32 1
		.amdhsa_uses_dynamic_stack 0
		.amdhsa_system_sgpr_private_segment_wavefront_offset 0
		.amdhsa_system_sgpr_workgroup_id_x 1
		.amdhsa_system_sgpr_workgroup_id_y 0
		.amdhsa_system_sgpr_workgroup_id_z 0
		.amdhsa_system_sgpr_workgroup_info 0
		.amdhsa_system_vgpr_workitem_id 0
		.amdhsa_next_free_vgpr 1
		.amdhsa_next_free_sgpr 1
		.amdhsa_reserve_vcc 0
		.amdhsa_reserve_flat_scratch 0
		.amdhsa_float_round_mode_32 0
		.amdhsa_float_round_mode_16_64 0
		.amdhsa_float_denorm_mode_32 3
		.amdhsa_float_denorm_mode_16_64 3
		.amdhsa_dx10_clamp 1
		.amdhsa_ieee_mode 1
		.amdhsa_fp16_overflow 0
		.amdhsa_workgroup_processor_mode 1
		.amdhsa_memory_ordered 1
		.amdhsa_forward_progress 1
		.amdhsa_shared_vgpr_count 0
		.amdhsa_exception_fp_ieee_invalid_op 0
		.amdhsa_exception_fp_denorm_src 0
		.amdhsa_exception_fp_ieee_div_zero 0
		.amdhsa_exception_fp_ieee_overflow 0
		.amdhsa_exception_fp_ieee_underflow 0
		.amdhsa_exception_fp_ieee_inexact 0
		.amdhsa_exception_int_div_zero 0
	.end_amdhsa_kernel
	.section	.text._ZN7rocprim17ROCPRIM_400000_NS6detail17trampoline_kernelINS0_14default_configENS1_21merge_config_selectorINS0_5tupleIJjjEEENS0_10empty_typeEEEZNS1_10merge_implIS3_NS0_12zip_iteratorINS5_IJN6thrust23THRUST_200600_302600_NS6detail15normal_iteratorINSC_10device_ptrIKjEEEESI_EEEEESK_NSA_INS5_IJNSC_16discard_iteratorINSC_11use_defaultEEESN_EEEEEPS7_SQ_SQ_NSC_11hip_rocprim7__merge17predicate_wrapperIjjNSC_4lessIjEEEEEE10hipError_tPvRmT0_T1_T2_T3_T4_T5_mmT6_P12ihipStream_tbEUlT_E_NS1_11comp_targetILNS1_3genE5ELNS1_11target_archE942ELNS1_3gpuE9ELNS1_3repE0EEENS1_30default_config_static_selectorELNS0_4arch9wavefront6targetE0EEEvS11_,"axG",@progbits,_ZN7rocprim17ROCPRIM_400000_NS6detail17trampoline_kernelINS0_14default_configENS1_21merge_config_selectorINS0_5tupleIJjjEEENS0_10empty_typeEEEZNS1_10merge_implIS3_NS0_12zip_iteratorINS5_IJN6thrust23THRUST_200600_302600_NS6detail15normal_iteratorINSC_10device_ptrIKjEEEESI_EEEEESK_NSA_INS5_IJNSC_16discard_iteratorINSC_11use_defaultEEESN_EEEEEPS7_SQ_SQ_NSC_11hip_rocprim7__merge17predicate_wrapperIjjNSC_4lessIjEEEEEE10hipError_tPvRmT0_T1_T2_T3_T4_T5_mmT6_P12ihipStream_tbEUlT_E_NS1_11comp_targetILNS1_3genE5ELNS1_11target_archE942ELNS1_3gpuE9ELNS1_3repE0EEENS1_30default_config_static_selectorELNS0_4arch9wavefront6targetE0EEEvS11_,comdat
.Lfunc_end534:
	.size	_ZN7rocprim17ROCPRIM_400000_NS6detail17trampoline_kernelINS0_14default_configENS1_21merge_config_selectorINS0_5tupleIJjjEEENS0_10empty_typeEEEZNS1_10merge_implIS3_NS0_12zip_iteratorINS5_IJN6thrust23THRUST_200600_302600_NS6detail15normal_iteratorINSC_10device_ptrIKjEEEESI_EEEEESK_NSA_INS5_IJNSC_16discard_iteratorINSC_11use_defaultEEESN_EEEEEPS7_SQ_SQ_NSC_11hip_rocprim7__merge17predicate_wrapperIjjNSC_4lessIjEEEEEE10hipError_tPvRmT0_T1_T2_T3_T4_T5_mmT6_P12ihipStream_tbEUlT_E_NS1_11comp_targetILNS1_3genE5ELNS1_11target_archE942ELNS1_3gpuE9ELNS1_3repE0EEENS1_30default_config_static_selectorELNS0_4arch9wavefront6targetE0EEEvS11_, .Lfunc_end534-_ZN7rocprim17ROCPRIM_400000_NS6detail17trampoline_kernelINS0_14default_configENS1_21merge_config_selectorINS0_5tupleIJjjEEENS0_10empty_typeEEEZNS1_10merge_implIS3_NS0_12zip_iteratorINS5_IJN6thrust23THRUST_200600_302600_NS6detail15normal_iteratorINSC_10device_ptrIKjEEEESI_EEEEESK_NSA_INS5_IJNSC_16discard_iteratorINSC_11use_defaultEEESN_EEEEEPS7_SQ_SQ_NSC_11hip_rocprim7__merge17predicate_wrapperIjjNSC_4lessIjEEEEEE10hipError_tPvRmT0_T1_T2_T3_T4_T5_mmT6_P12ihipStream_tbEUlT_E_NS1_11comp_targetILNS1_3genE5ELNS1_11target_archE942ELNS1_3gpuE9ELNS1_3repE0EEENS1_30default_config_static_selectorELNS0_4arch9wavefront6targetE0EEEvS11_
                                        ; -- End function
	.set _ZN7rocprim17ROCPRIM_400000_NS6detail17trampoline_kernelINS0_14default_configENS1_21merge_config_selectorINS0_5tupleIJjjEEENS0_10empty_typeEEEZNS1_10merge_implIS3_NS0_12zip_iteratorINS5_IJN6thrust23THRUST_200600_302600_NS6detail15normal_iteratorINSC_10device_ptrIKjEEEESI_EEEEESK_NSA_INS5_IJNSC_16discard_iteratorINSC_11use_defaultEEESN_EEEEEPS7_SQ_SQ_NSC_11hip_rocprim7__merge17predicate_wrapperIjjNSC_4lessIjEEEEEE10hipError_tPvRmT0_T1_T2_T3_T4_T5_mmT6_P12ihipStream_tbEUlT_E_NS1_11comp_targetILNS1_3genE5ELNS1_11target_archE942ELNS1_3gpuE9ELNS1_3repE0EEENS1_30default_config_static_selectorELNS0_4arch9wavefront6targetE0EEEvS11_.num_vgpr, 0
	.set _ZN7rocprim17ROCPRIM_400000_NS6detail17trampoline_kernelINS0_14default_configENS1_21merge_config_selectorINS0_5tupleIJjjEEENS0_10empty_typeEEEZNS1_10merge_implIS3_NS0_12zip_iteratorINS5_IJN6thrust23THRUST_200600_302600_NS6detail15normal_iteratorINSC_10device_ptrIKjEEEESI_EEEEESK_NSA_INS5_IJNSC_16discard_iteratorINSC_11use_defaultEEESN_EEEEEPS7_SQ_SQ_NSC_11hip_rocprim7__merge17predicate_wrapperIjjNSC_4lessIjEEEEEE10hipError_tPvRmT0_T1_T2_T3_T4_T5_mmT6_P12ihipStream_tbEUlT_E_NS1_11comp_targetILNS1_3genE5ELNS1_11target_archE942ELNS1_3gpuE9ELNS1_3repE0EEENS1_30default_config_static_selectorELNS0_4arch9wavefront6targetE0EEEvS11_.num_agpr, 0
	.set _ZN7rocprim17ROCPRIM_400000_NS6detail17trampoline_kernelINS0_14default_configENS1_21merge_config_selectorINS0_5tupleIJjjEEENS0_10empty_typeEEEZNS1_10merge_implIS3_NS0_12zip_iteratorINS5_IJN6thrust23THRUST_200600_302600_NS6detail15normal_iteratorINSC_10device_ptrIKjEEEESI_EEEEESK_NSA_INS5_IJNSC_16discard_iteratorINSC_11use_defaultEEESN_EEEEEPS7_SQ_SQ_NSC_11hip_rocprim7__merge17predicate_wrapperIjjNSC_4lessIjEEEEEE10hipError_tPvRmT0_T1_T2_T3_T4_T5_mmT6_P12ihipStream_tbEUlT_E_NS1_11comp_targetILNS1_3genE5ELNS1_11target_archE942ELNS1_3gpuE9ELNS1_3repE0EEENS1_30default_config_static_selectorELNS0_4arch9wavefront6targetE0EEEvS11_.numbered_sgpr, 0
	.set _ZN7rocprim17ROCPRIM_400000_NS6detail17trampoline_kernelINS0_14default_configENS1_21merge_config_selectorINS0_5tupleIJjjEEENS0_10empty_typeEEEZNS1_10merge_implIS3_NS0_12zip_iteratorINS5_IJN6thrust23THRUST_200600_302600_NS6detail15normal_iteratorINSC_10device_ptrIKjEEEESI_EEEEESK_NSA_INS5_IJNSC_16discard_iteratorINSC_11use_defaultEEESN_EEEEEPS7_SQ_SQ_NSC_11hip_rocprim7__merge17predicate_wrapperIjjNSC_4lessIjEEEEEE10hipError_tPvRmT0_T1_T2_T3_T4_T5_mmT6_P12ihipStream_tbEUlT_E_NS1_11comp_targetILNS1_3genE5ELNS1_11target_archE942ELNS1_3gpuE9ELNS1_3repE0EEENS1_30default_config_static_selectorELNS0_4arch9wavefront6targetE0EEEvS11_.num_named_barrier, 0
	.set _ZN7rocprim17ROCPRIM_400000_NS6detail17trampoline_kernelINS0_14default_configENS1_21merge_config_selectorINS0_5tupleIJjjEEENS0_10empty_typeEEEZNS1_10merge_implIS3_NS0_12zip_iteratorINS5_IJN6thrust23THRUST_200600_302600_NS6detail15normal_iteratorINSC_10device_ptrIKjEEEESI_EEEEESK_NSA_INS5_IJNSC_16discard_iteratorINSC_11use_defaultEEESN_EEEEEPS7_SQ_SQ_NSC_11hip_rocprim7__merge17predicate_wrapperIjjNSC_4lessIjEEEEEE10hipError_tPvRmT0_T1_T2_T3_T4_T5_mmT6_P12ihipStream_tbEUlT_E_NS1_11comp_targetILNS1_3genE5ELNS1_11target_archE942ELNS1_3gpuE9ELNS1_3repE0EEENS1_30default_config_static_selectorELNS0_4arch9wavefront6targetE0EEEvS11_.private_seg_size, 0
	.set _ZN7rocprim17ROCPRIM_400000_NS6detail17trampoline_kernelINS0_14default_configENS1_21merge_config_selectorINS0_5tupleIJjjEEENS0_10empty_typeEEEZNS1_10merge_implIS3_NS0_12zip_iteratorINS5_IJN6thrust23THRUST_200600_302600_NS6detail15normal_iteratorINSC_10device_ptrIKjEEEESI_EEEEESK_NSA_INS5_IJNSC_16discard_iteratorINSC_11use_defaultEEESN_EEEEEPS7_SQ_SQ_NSC_11hip_rocprim7__merge17predicate_wrapperIjjNSC_4lessIjEEEEEE10hipError_tPvRmT0_T1_T2_T3_T4_T5_mmT6_P12ihipStream_tbEUlT_E_NS1_11comp_targetILNS1_3genE5ELNS1_11target_archE942ELNS1_3gpuE9ELNS1_3repE0EEENS1_30default_config_static_selectorELNS0_4arch9wavefront6targetE0EEEvS11_.uses_vcc, 0
	.set _ZN7rocprim17ROCPRIM_400000_NS6detail17trampoline_kernelINS0_14default_configENS1_21merge_config_selectorINS0_5tupleIJjjEEENS0_10empty_typeEEEZNS1_10merge_implIS3_NS0_12zip_iteratorINS5_IJN6thrust23THRUST_200600_302600_NS6detail15normal_iteratorINSC_10device_ptrIKjEEEESI_EEEEESK_NSA_INS5_IJNSC_16discard_iteratorINSC_11use_defaultEEESN_EEEEEPS7_SQ_SQ_NSC_11hip_rocprim7__merge17predicate_wrapperIjjNSC_4lessIjEEEEEE10hipError_tPvRmT0_T1_T2_T3_T4_T5_mmT6_P12ihipStream_tbEUlT_E_NS1_11comp_targetILNS1_3genE5ELNS1_11target_archE942ELNS1_3gpuE9ELNS1_3repE0EEENS1_30default_config_static_selectorELNS0_4arch9wavefront6targetE0EEEvS11_.uses_flat_scratch, 0
	.set _ZN7rocprim17ROCPRIM_400000_NS6detail17trampoline_kernelINS0_14default_configENS1_21merge_config_selectorINS0_5tupleIJjjEEENS0_10empty_typeEEEZNS1_10merge_implIS3_NS0_12zip_iteratorINS5_IJN6thrust23THRUST_200600_302600_NS6detail15normal_iteratorINSC_10device_ptrIKjEEEESI_EEEEESK_NSA_INS5_IJNSC_16discard_iteratorINSC_11use_defaultEEESN_EEEEEPS7_SQ_SQ_NSC_11hip_rocprim7__merge17predicate_wrapperIjjNSC_4lessIjEEEEEE10hipError_tPvRmT0_T1_T2_T3_T4_T5_mmT6_P12ihipStream_tbEUlT_E_NS1_11comp_targetILNS1_3genE5ELNS1_11target_archE942ELNS1_3gpuE9ELNS1_3repE0EEENS1_30default_config_static_selectorELNS0_4arch9wavefront6targetE0EEEvS11_.has_dyn_sized_stack, 0
	.set _ZN7rocprim17ROCPRIM_400000_NS6detail17trampoline_kernelINS0_14default_configENS1_21merge_config_selectorINS0_5tupleIJjjEEENS0_10empty_typeEEEZNS1_10merge_implIS3_NS0_12zip_iteratorINS5_IJN6thrust23THRUST_200600_302600_NS6detail15normal_iteratorINSC_10device_ptrIKjEEEESI_EEEEESK_NSA_INS5_IJNSC_16discard_iteratorINSC_11use_defaultEEESN_EEEEEPS7_SQ_SQ_NSC_11hip_rocprim7__merge17predicate_wrapperIjjNSC_4lessIjEEEEEE10hipError_tPvRmT0_T1_T2_T3_T4_T5_mmT6_P12ihipStream_tbEUlT_E_NS1_11comp_targetILNS1_3genE5ELNS1_11target_archE942ELNS1_3gpuE9ELNS1_3repE0EEENS1_30default_config_static_selectorELNS0_4arch9wavefront6targetE0EEEvS11_.has_recursion, 0
	.set _ZN7rocprim17ROCPRIM_400000_NS6detail17trampoline_kernelINS0_14default_configENS1_21merge_config_selectorINS0_5tupleIJjjEEENS0_10empty_typeEEEZNS1_10merge_implIS3_NS0_12zip_iteratorINS5_IJN6thrust23THRUST_200600_302600_NS6detail15normal_iteratorINSC_10device_ptrIKjEEEESI_EEEEESK_NSA_INS5_IJNSC_16discard_iteratorINSC_11use_defaultEEESN_EEEEEPS7_SQ_SQ_NSC_11hip_rocprim7__merge17predicate_wrapperIjjNSC_4lessIjEEEEEE10hipError_tPvRmT0_T1_T2_T3_T4_T5_mmT6_P12ihipStream_tbEUlT_E_NS1_11comp_targetILNS1_3genE5ELNS1_11target_archE942ELNS1_3gpuE9ELNS1_3repE0EEENS1_30default_config_static_selectorELNS0_4arch9wavefront6targetE0EEEvS11_.has_indirect_call, 0
	.section	.AMDGPU.csdata,"",@progbits
; Kernel info:
; codeLenInByte = 0
; TotalNumSgprs: 0
; NumVgprs: 0
; ScratchSize: 0
; MemoryBound: 0
; FloatMode: 240
; IeeeMode: 1
; LDSByteSize: 0 bytes/workgroup (compile time only)
; SGPRBlocks: 0
; VGPRBlocks: 0
; NumSGPRsForWavesPerEU: 1
; NumVGPRsForWavesPerEU: 1
; Occupancy: 16
; WaveLimiterHint : 0
; COMPUTE_PGM_RSRC2:SCRATCH_EN: 0
; COMPUTE_PGM_RSRC2:USER_SGPR: 6
; COMPUTE_PGM_RSRC2:TRAP_HANDLER: 0
; COMPUTE_PGM_RSRC2:TGID_X_EN: 1
; COMPUTE_PGM_RSRC2:TGID_Y_EN: 0
; COMPUTE_PGM_RSRC2:TGID_Z_EN: 0
; COMPUTE_PGM_RSRC2:TIDIG_COMP_CNT: 0
	.section	.text._ZN7rocprim17ROCPRIM_400000_NS6detail17trampoline_kernelINS0_14default_configENS1_21merge_config_selectorINS0_5tupleIJjjEEENS0_10empty_typeEEEZNS1_10merge_implIS3_NS0_12zip_iteratorINS5_IJN6thrust23THRUST_200600_302600_NS6detail15normal_iteratorINSC_10device_ptrIKjEEEESI_EEEEESK_NSA_INS5_IJNSC_16discard_iteratorINSC_11use_defaultEEESN_EEEEEPS7_SQ_SQ_NSC_11hip_rocprim7__merge17predicate_wrapperIjjNSC_4lessIjEEEEEE10hipError_tPvRmT0_T1_T2_T3_T4_T5_mmT6_P12ihipStream_tbEUlT_E_NS1_11comp_targetILNS1_3genE4ELNS1_11target_archE910ELNS1_3gpuE8ELNS1_3repE0EEENS1_30default_config_static_selectorELNS0_4arch9wavefront6targetE0EEEvS11_,"axG",@progbits,_ZN7rocprim17ROCPRIM_400000_NS6detail17trampoline_kernelINS0_14default_configENS1_21merge_config_selectorINS0_5tupleIJjjEEENS0_10empty_typeEEEZNS1_10merge_implIS3_NS0_12zip_iteratorINS5_IJN6thrust23THRUST_200600_302600_NS6detail15normal_iteratorINSC_10device_ptrIKjEEEESI_EEEEESK_NSA_INS5_IJNSC_16discard_iteratorINSC_11use_defaultEEESN_EEEEEPS7_SQ_SQ_NSC_11hip_rocprim7__merge17predicate_wrapperIjjNSC_4lessIjEEEEEE10hipError_tPvRmT0_T1_T2_T3_T4_T5_mmT6_P12ihipStream_tbEUlT_E_NS1_11comp_targetILNS1_3genE4ELNS1_11target_archE910ELNS1_3gpuE8ELNS1_3repE0EEENS1_30default_config_static_selectorELNS0_4arch9wavefront6targetE0EEEvS11_,comdat
	.protected	_ZN7rocprim17ROCPRIM_400000_NS6detail17trampoline_kernelINS0_14default_configENS1_21merge_config_selectorINS0_5tupleIJjjEEENS0_10empty_typeEEEZNS1_10merge_implIS3_NS0_12zip_iteratorINS5_IJN6thrust23THRUST_200600_302600_NS6detail15normal_iteratorINSC_10device_ptrIKjEEEESI_EEEEESK_NSA_INS5_IJNSC_16discard_iteratorINSC_11use_defaultEEESN_EEEEEPS7_SQ_SQ_NSC_11hip_rocprim7__merge17predicate_wrapperIjjNSC_4lessIjEEEEEE10hipError_tPvRmT0_T1_T2_T3_T4_T5_mmT6_P12ihipStream_tbEUlT_E_NS1_11comp_targetILNS1_3genE4ELNS1_11target_archE910ELNS1_3gpuE8ELNS1_3repE0EEENS1_30default_config_static_selectorELNS0_4arch9wavefront6targetE0EEEvS11_ ; -- Begin function _ZN7rocprim17ROCPRIM_400000_NS6detail17trampoline_kernelINS0_14default_configENS1_21merge_config_selectorINS0_5tupleIJjjEEENS0_10empty_typeEEEZNS1_10merge_implIS3_NS0_12zip_iteratorINS5_IJN6thrust23THRUST_200600_302600_NS6detail15normal_iteratorINSC_10device_ptrIKjEEEESI_EEEEESK_NSA_INS5_IJNSC_16discard_iteratorINSC_11use_defaultEEESN_EEEEEPS7_SQ_SQ_NSC_11hip_rocprim7__merge17predicate_wrapperIjjNSC_4lessIjEEEEEE10hipError_tPvRmT0_T1_T2_T3_T4_T5_mmT6_P12ihipStream_tbEUlT_E_NS1_11comp_targetILNS1_3genE4ELNS1_11target_archE910ELNS1_3gpuE8ELNS1_3repE0EEENS1_30default_config_static_selectorELNS0_4arch9wavefront6targetE0EEEvS11_
	.globl	_ZN7rocprim17ROCPRIM_400000_NS6detail17trampoline_kernelINS0_14default_configENS1_21merge_config_selectorINS0_5tupleIJjjEEENS0_10empty_typeEEEZNS1_10merge_implIS3_NS0_12zip_iteratorINS5_IJN6thrust23THRUST_200600_302600_NS6detail15normal_iteratorINSC_10device_ptrIKjEEEESI_EEEEESK_NSA_INS5_IJNSC_16discard_iteratorINSC_11use_defaultEEESN_EEEEEPS7_SQ_SQ_NSC_11hip_rocprim7__merge17predicate_wrapperIjjNSC_4lessIjEEEEEE10hipError_tPvRmT0_T1_T2_T3_T4_T5_mmT6_P12ihipStream_tbEUlT_E_NS1_11comp_targetILNS1_3genE4ELNS1_11target_archE910ELNS1_3gpuE8ELNS1_3repE0EEENS1_30default_config_static_selectorELNS0_4arch9wavefront6targetE0EEEvS11_
	.p2align	8
	.type	_ZN7rocprim17ROCPRIM_400000_NS6detail17trampoline_kernelINS0_14default_configENS1_21merge_config_selectorINS0_5tupleIJjjEEENS0_10empty_typeEEEZNS1_10merge_implIS3_NS0_12zip_iteratorINS5_IJN6thrust23THRUST_200600_302600_NS6detail15normal_iteratorINSC_10device_ptrIKjEEEESI_EEEEESK_NSA_INS5_IJNSC_16discard_iteratorINSC_11use_defaultEEESN_EEEEEPS7_SQ_SQ_NSC_11hip_rocprim7__merge17predicate_wrapperIjjNSC_4lessIjEEEEEE10hipError_tPvRmT0_T1_T2_T3_T4_T5_mmT6_P12ihipStream_tbEUlT_E_NS1_11comp_targetILNS1_3genE4ELNS1_11target_archE910ELNS1_3gpuE8ELNS1_3repE0EEENS1_30default_config_static_selectorELNS0_4arch9wavefront6targetE0EEEvS11_,@function
_ZN7rocprim17ROCPRIM_400000_NS6detail17trampoline_kernelINS0_14default_configENS1_21merge_config_selectorINS0_5tupleIJjjEEENS0_10empty_typeEEEZNS1_10merge_implIS3_NS0_12zip_iteratorINS5_IJN6thrust23THRUST_200600_302600_NS6detail15normal_iteratorINSC_10device_ptrIKjEEEESI_EEEEESK_NSA_INS5_IJNSC_16discard_iteratorINSC_11use_defaultEEESN_EEEEEPS7_SQ_SQ_NSC_11hip_rocprim7__merge17predicate_wrapperIjjNSC_4lessIjEEEEEE10hipError_tPvRmT0_T1_T2_T3_T4_T5_mmT6_P12ihipStream_tbEUlT_E_NS1_11comp_targetILNS1_3genE4ELNS1_11target_archE910ELNS1_3gpuE8ELNS1_3repE0EEENS1_30default_config_static_selectorELNS0_4arch9wavefront6targetE0EEEvS11_: ; @_ZN7rocprim17ROCPRIM_400000_NS6detail17trampoline_kernelINS0_14default_configENS1_21merge_config_selectorINS0_5tupleIJjjEEENS0_10empty_typeEEEZNS1_10merge_implIS3_NS0_12zip_iteratorINS5_IJN6thrust23THRUST_200600_302600_NS6detail15normal_iteratorINSC_10device_ptrIKjEEEESI_EEEEESK_NSA_INS5_IJNSC_16discard_iteratorINSC_11use_defaultEEESN_EEEEEPS7_SQ_SQ_NSC_11hip_rocprim7__merge17predicate_wrapperIjjNSC_4lessIjEEEEEE10hipError_tPvRmT0_T1_T2_T3_T4_T5_mmT6_P12ihipStream_tbEUlT_E_NS1_11comp_targetILNS1_3genE4ELNS1_11target_archE910ELNS1_3gpuE8ELNS1_3repE0EEENS1_30default_config_static_selectorELNS0_4arch9wavefront6targetE0EEEvS11_
; %bb.0:
	.section	.rodata,"a",@progbits
	.p2align	6, 0x0
	.amdhsa_kernel _ZN7rocprim17ROCPRIM_400000_NS6detail17trampoline_kernelINS0_14default_configENS1_21merge_config_selectorINS0_5tupleIJjjEEENS0_10empty_typeEEEZNS1_10merge_implIS3_NS0_12zip_iteratorINS5_IJN6thrust23THRUST_200600_302600_NS6detail15normal_iteratorINSC_10device_ptrIKjEEEESI_EEEEESK_NSA_INS5_IJNSC_16discard_iteratorINSC_11use_defaultEEESN_EEEEEPS7_SQ_SQ_NSC_11hip_rocprim7__merge17predicate_wrapperIjjNSC_4lessIjEEEEEE10hipError_tPvRmT0_T1_T2_T3_T4_T5_mmT6_P12ihipStream_tbEUlT_E_NS1_11comp_targetILNS1_3genE4ELNS1_11target_archE910ELNS1_3gpuE8ELNS1_3repE0EEENS1_30default_config_static_selectorELNS0_4arch9wavefront6targetE0EEEvS11_
		.amdhsa_group_segment_fixed_size 0
		.amdhsa_private_segment_fixed_size 0
		.amdhsa_kernarg_size 64
		.amdhsa_user_sgpr_count 6
		.amdhsa_user_sgpr_private_segment_buffer 1
		.amdhsa_user_sgpr_dispatch_ptr 0
		.amdhsa_user_sgpr_queue_ptr 0
		.amdhsa_user_sgpr_kernarg_segment_ptr 1
		.amdhsa_user_sgpr_dispatch_id 0
		.amdhsa_user_sgpr_flat_scratch_init 0
		.amdhsa_user_sgpr_private_segment_size 0
		.amdhsa_wavefront_size32 1
		.amdhsa_uses_dynamic_stack 0
		.amdhsa_system_sgpr_private_segment_wavefront_offset 0
		.amdhsa_system_sgpr_workgroup_id_x 1
		.amdhsa_system_sgpr_workgroup_id_y 0
		.amdhsa_system_sgpr_workgroup_id_z 0
		.amdhsa_system_sgpr_workgroup_info 0
		.amdhsa_system_vgpr_workitem_id 0
		.amdhsa_next_free_vgpr 1
		.amdhsa_next_free_sgpr 1
		.amdhsa_reserve_vcc 0
		.amdhsa_reserve_flat_scratch 0
		.amdhsa_float_round_mode_32 0
		.amdhsa_float_round_mode_16_64 0
		.amdhsa_float_denorm_mode_32 3
		.amdhsa_float_denorm_mode_16_64 3
		.amdhsa_dx10_clamp 1
		.amdhsa_ieee_mode 1
		.amdhsa_fp16_overflow 0
		.amdhsa_workgroup_processor_mode 1
		.amdhsa_memory_ordered 1
		.amdhsa_forward_progress 1
		.amdhsa_shared_vgpr_count 0
		.amdhsa_exception_fp_ieee_invalid_op 0
		.amdhsa_exception_fp_denorm_src 0
		.amdhsa_exception_fp_ieee_div_zero 0
		.amdhsa_exception_fp_ieee_overflow 0
		.amdhsa_exception_fp_ieee_underflow 0
		.amdhsa_exception_fp_ieee_inexact 0
		.amdhsa_exception_int_div_zero 0
	.end_amdhsa_kernel
	.section	.text._ZN7rocprim17ROCPRIM_400000_NS6detail17trampoline_kernelINS0_14default_configENS1_21merge_config_selectorINS0_5tupleIJjjEEENS0_10empty_typeEEEZNS1_10merge_implIS3_NS0_12zip_iteratorINS5_IJN6thrust23THRUST_200600_302600_NS6detail15normal_iteratorINSC_10device_ptrIKjEEEESI_EEEEESK_NSA_INS5_IJNSC_16discard_iteratorINSC_11use_defaultEEESN_EEEEEPS7_SQ_SQ_NSC_11hip_rocprim7__merge17predicate_wrapperIjjNSC_4lessIjEEEEEE10hipError_tPvRmT0_T1_T2_T3_T4_T5_mmT6_P12ihipStream_tbEUlT_E_NS1_11comp_targetILNS1_3genE4ELNS1_11target_archE910ELNS1_3gpuE8ELNS1_3repE0EEENS1_30default_config_static_selectorELNS0_4arch9wavefront6targetE0EEEvS11_,"axG",@progbits,_ZN7rocprim17ROCPRIM_400000_NS6detail17trampoline_kernelINS0_14default_configENS1_21merge_config_selectorINS0_5tupleIJjjEEENS0_10empty_typeEEEZNS1_10merge_implIS3_NS0_12zip_iteratorINS5_IJN6thrust23THRUST_200600_302600_NS6detail15normal_iteratorINSC_10device_ptrIKjEEEESI_EEEEESK_NSA_INS5_IJNSC_16discard_iteratorINSC_11use_defaultEEESN_EEEEEPS7_SQ_SQ_NSC_11hip_rocprim7__merge17predicate_wrapperIjjNSC_4lessIjEEEEEE10hipError_tPvRmT0_T1_T2_T3_T4_T5_mmT6_P12ihipStream_tbEUlT_E_NS1_11comp_targetILNS1_3genE4ELNS1_11target_archE910ELNS1_3gpuE8ELNS1_3repE0EEENS1_30default_config_static_selectorELNS0_4arch9wavefront6targetE0EEEvS11_,comdat
.Lfunc_end535:
	.size	_ZN7rocprim17ROCPRIM_400000_NS6detail17trampoline_kernelINS0_14default_configENS1_21merge_config_selectorINS0_5tupleIJjjEEENS0_10empty_typeEEEZNS1_10merge_implIS3_NS0_12zip_iteratorINS5_IJN6thrust23THRUST_200600_302600_NS6detail15normal_iteratorINSC_10device_ptrIKjEEEESI_EEEEESK_NSA_INS5_IJNSC_16discard_iteratorINSC_11use_defaultEEESN_EEEEEPS7_SQ_SQ_NSC_11hip_rocprim7__merge17predicate_wrapperIjjNSC_4lessIjEEEEEE10hipError_tPvRmT0_T1_T2_T3_T4_T5_mmT6_P12ihipStream_tbEUlT_E_NS1_11comp_targetILNS1_3genE4ELNS1_11target_archE910ELNS1_3gpuE8ELNS1_3repE0EEENS1_30default_config_static_selectorELNS0_4arch9wavefront6targetE0EEEvS11_, .Lfunc_end535-_ZN7rocprim17ROCPRIM_400000_NS6detail17trampoline_kernelINS0_14default_configENS1_21merge_config_selectorINS0_5tupleIJjjEEENS0_10empty_typeEEEZNS1_10merge_implIS3_NS0_12zip_iteratorINS5_IJN6thrust23THRUST_200600_302600_NS6detail15normal_iteratorINSC_10device_ptrIKjEEEESI_EEEEESK_NSA_INS5_IJNSC_16discard_iteratorINSC_11use_defaultEEESN_EEEEEPS7_SQ_SQ_NSC_11hip_rocprim7__merge17predicate_wrapperIjjNSC_4lessIjEEEEEE10hipError_tPvRmT0_T1_T2_T3_T4_T5_mmT6_P12ihipStream_tbEUlT_E_NS1_11comp_targetILNS1_3genE4ELNS1_11target_archE910ELNS1_3gpuE8ELNS1_3repE0EEENS1_30default_config_static_selectorELNS0_4arch9wavefront6targetE0EEEvS11_
                                        ; -- End function
	.set _ZN7rocprim17ROCPRIM_400000_NS6detail17trampoline_kernelINS0_14default_configENS1_21merge_config_selectorINS0_5tupleIJjjEEENS0_10empty_typeEEEZNS1_10merge_implIS3_NS0_12zip_iteratorINS5_IJN6thrust23THRUST_200600_302600_NS6detail15normal_iteratorINSC_10device_ptrIKjEEEESI_EEEEESK_NSA_INS5_IJNSC_16discard_iteratorINSC_11use_defaultEEESN_EEEEEPS7_SQ_SQ_NSC_11hip_rocprim7__merge17predicate_wrapperIjjNSC_4lessIjEEEEEE10hipError_tPvRmT0_T1_T2_T3_T4_T5_mmT6_P12ihipStream_tbEUlT_E_NS1_11comp_targetILNS1_3genE4ELNS1_11target_archE910ELNS1_3gpuE8ELNS1_3repE0EEENS1_30default_config_static_selectorELNS0_4arch9wavefront6targetE0EEEvS11_.num_vgpr, 0
	.set _ZN7rocprim17ROCPRIM_400000_NS6detail17trampoline_kernelINS0_14default_configENS1_21merge_config_selectorINS0_5tupleIJjjEEENS0_10empty_typeEEEZNS1_10merge_implIS3_NS0_12zip_iteratorINS5_IJN6thrust23THRUST_200600_302600_NS6detail15normal_iteratorINSC_10device_ptrIKjEEEESI_EEEEESK_NSA_INS5_IJNSC_16discard_iteratorINSC_11use_defaultEEESN_EEEEEPS7_SQ_SQ_NSC_11hip_rocprim7__merge17predicate_wrapperIjjNSC_4lessIjEEEEEE10hipError_tPvRmT0_T1_T2_T3_T4_T5_mmT6_P12ihipStream_tbEUlT_E_NS1_11comp_targetILNS1_3genE4ELNS1_11target_archE910ELNS1_3gpuE8ELNS1_3repE0EEENS1_30default_config_static_selectorELNS0_4arch9wavefront6targetE0EEEvS11_.num_agpr, 0
	.set _ZN7rocprim17ROCPRIM_400000_NS6detail17trampoline_kernelINS0_14default_configENS1_21merge_config_selectorINS0_5tupleIJjjEEENS0_10empty_typeEEEZNS1_10merge_implIS3_NS0_12zip_iteratorINS5_IJN6thrust23THRUST_200600_302600_NS6detail15normal_iteratorINSC_10device_ptrIKjEEEESI_EEEEESK_NSA_INS5_IJNSC_16discard_iteratorINSC_11use_defaultEEESN_EEEEEPS7_SQ_SQ_NSC_11hip_rocprim7__merge17predicate_wrapperIjjNSC_4lessIjEEEEEE10hipError_tPvRmT0_T1_T2_T3_T4_T5_mmT6_P12ihipStream_tbEUlT_E_NS1_11comp_targetILNS1_3genE4ELNS1_11target_archE910ELNS1_3gpuE8ELNS1_3repE0EEENS1_30default_config_static_selectorELNS0_4arch9wavefront6targetE0EEEvS11_.numbered_sgpr, 0
	.set _ZN7rocprim17ROCPRIM_400000_NS6detail17trampoline_kernelINS0_14default_configENS1_21merge_config_selectorINS0_5tupleIJjjEEENS0_10empty_typeEEEZNS1_10merge_implIS3_NS0_12zip_iteratorINS5_IJN6thrust23THRUST_200600_302600_NS6detail15normal_iteratorINSC_10device_ptrIKjEEEESI_EEEEESK_NSA_INS5_IJNSC_16discard_iteratorINSC_11use_defaultEEESN_EEEEEPS7_SQ_SQ_NSC_11hip_rocprim7__merge17predicate_wrapperIjjNSC_4lessIjEEEEEE10hipError_tPvRmT0_T1_T2_T3_T4_T5_mmT6_P12ihipStream_tbEUlT_E_NS1_11comp_targetILNS1_3genE4ELNS1_11target_archE910ELNS1_3gpuE8ELNS1_3repE0EEENS1_30default_config_static_selectorELNS0_4arch9wavefront6targetE0EEEvS11_.num_named_barrier, 0
	.set _ZN7rocprim17ROCPRIM_400000_NS6detail17trampoline_kernelINS0_14default_configENS1_21merge_config_selectorINS0_5tupleIJjjEEENS0_10empty_typeEEEZNS1_10merge_implIS3_NS0_12zip_iteratorINS5_IJN6thrust23THRUST_200600_302600_NS6detail15normal_iteratorINSC_10device_ptrIKjEEEESI_EEEEESK_NSA_INS5_IJNSC_16discard_iteratorINSC_11use_defaultEEESN_EEEEEPS7_SQ_SQ_NSC_11hip_rocprim7__merge17predicate_wrapperIjjNSC_4lessIjEEEEEE10hipError_tPvRmT0_T1_T2_T3_T4_T5_mmT6_P12ihipStream_tbEUlT_E_NS1_11comp_targetILNS1_3genE4ELNS1_11target_archE910ELNS1_3gpuE8ELNS1_3repE0EEENS1_30default_config_static_selectorELNS0_4arch9wavefront6targetE0EEEvS11_.private_seg_size, 0
	.set _ZN7rocprim17ROCPRIM_400000_NS6detail17trampoline_kernelINS0_14default_configENS1_21merge_config_selectorINS0_5tupleIJjjEEENS0_10empty_typeEEEZNS1_10merge_implIS3_NS0_12zip_iteratorINS5_IJN6thrust23THRUST_200600_302600_NS6detail15normal_iteratorINSC_10device_ptrIKjEEEESI_EEEEESK_NSA_INS5_IJNSC_16discard_iteratorINSC_11use_defaultEEESN_EEEEEPS7_SQ_SQ_NSC_11hip_rocprim7__merge17predicate_wrapperIjjNSC_4lessIjEEEEEE10hipError_tPvRmT0_T1_T2_T3_T4_T5_mmT6_P12ihipStream_tbEUlT_E_NS1_11comp_targetILNS1_3genE4ELNS1_11target_archE910ELNS1_3gpuE8ELNS1_3repE0EEENS1_30default_config_static_selectorELNS0_4arch9wavefront6targetE0EEEvS11_.uses_vcc, 0
	.set _ZN7rocprim17ROCPRIM_400000_NS6detail17trampoline_kernelINS0_14default_configENS1_21merge_config_selectorINS0_5tupleIJjjEEENS0_10empty_typeEEEZNS1_10merge_implIS3_NS0_12zip_iteratorINS5_IJN6thrust23THRUST_200600_302600_NS6detail15normal_iteratorINSC_10device_ptrIKjEEEESI_EEEEESK_NSA_INS5_IJNSC_16discard_iteratorINSC_11use_defaultEEESN_EEEEEPS7_SQ_SQ_NSC_11hip_rocprim7__merge17predicate_wrapperIjjNSC_4lessIjEEEEEE10hipError_tPvRmT0_T1_T2_T3_T4_T5_mmT6_P12ihipStream_tbEUlT_E_NS1_11comp_targetILNS1_3genE4ELNS1_11target_archE910ELNS1_3gpuE8ELNS1_3repE0EEENS1_30default_config_static_selectorELNS0_4arch9wavefront6targetE0EEEvS11_.uses_flat_scratch, 0
	.set _ZN7rocprim17ROCPRIM_400000_NS6detail17trampoline_kernelINS0_14default_configENS1_21merge_config_selectorINS0_5tupleIJjjEEENS0_10empty_typeEEEZNS1_10merge_implIS3_NS0_12zip_iteratorINS5_IJN6thrust23THRUST_200600_302600_NS6detail15normal_iteratorINSC_10device_ptrIKjEEEESI_EEEEESK_NSA_INS5_IJNSC_16discard_iteratorINSC_11use_defaultEEESN_EEEEEPS7_SQ_SQ_NSC_11hip_rocprim7__merge17predicate_wrapperIjjNSC_4lessIjEEEEEE10hipError_tPvRmT0_T1_T2_T3_T4_T5_mmT6_P12ihipStream_tbEUlT_E_NS1_11comp_targetILNS1_3genE4ELNS1_11target_archE910ELNS1_3gpuE8ELNS1_3repE0EEENS1_30default_config_static_selectorELNS0_4arch9wavefront6targetE0EEEvS11_.has_dyn_sized_stack, 0
	.set _ZN7rocprim17ROCPRIM_400000_NS6detail17trampoline_kernelINS0_14default_configENS1_21merge_config_selectorINS0_5tupleIJjjEEENS0_10empty_typeEEEZNS1_10merge_implIS3_NS0_12zip_iteratorINS5_IJN6thrust23THRUST_200600_302600_NS6detail15normal_iteratorINSC_10device_ptrIKjEEEESI_EEEEESK_NSA_INS5_IJNSC_16discard_iteratorINSC_11use_defaultEEESN_EEEEEPS7_SQ_SQ_NSC_11hip_rocprim7__merge17predicate_wrapperIjjNSC_4lessIjEEEEEE10hipError_tPvRmT0_T1_T2_T3_T4_T5_mmT6_P12ihipStream_tbEUlT_E_NS1_11comp_targetILNS1_3genE4ELNS1_11target_archE910ELNS1_3gpuE8ELNS1_3repE0EEENS1_30default_config_static_selectorELNS0_4arch9wavefront6targetE0EEEvS11_.has_recursion, 0
	.set _ZN7rocprim17ROCPRIM_400000_NS6detail17trampoline_kernelINS0_14default_configENS1_21merge_config_selectorINS0_5tupleIJjjEEENS0_10empty_typeEEEZNS1_10merge_implIS3_NS0_12zip_iteratorINS5_IJN6thrust23THRUST_200600_302600_NS6detail15normal_iteratorINSC_10device_ptrIKjEEEESI_EEEEESK_NSA_INS5_IJNSC_16discard_iteratorINSC_11use_defaultEEESN_EEEEEPS7_SQ_SQ_NSC_11hip_rocprim7__merge17predicate_wrapperIjjNSC_4lessIjEEEEEE10hipError_tPvRmT0_T1_T2_T3_T4_T5_mmT6_P12ihipStream_tbEUlT_E_NS1_11comp_targetILNS1_3genE4ELNS1_11target_archE910ELNS1_3gpuE8ELNS1_3repE0EEENS1_30default_config_static_selectorELNS0_4arch9wavefront6targetE0EEEvS11_.has_indirect_call, 0
	.section	.AMDGPU.csdata,"",@progbits
; Kernel info:
; codeLenInByte = 0
; TotalNumSgprs: 0
; NumVgprs: 0
; ScratchSize: 0
; MemoryBound: 0
; FloatMode: 240
; IeeeMode: 1
; LDSByteSize: 0 bytes/workgroup (compile time only)
; SGPRBlocks: 0
; VGPRBlocks: 0
; NumSGPRsForWavesPerEU: 1
; NumVGPRsForWavesPerEU: 1
; Occupancy: 16
; WaveLimiterHint : 0
; COMPUTE_PGM_RSRC2:SCRATCH_EN: 0
; COMPUTE_PGM_RSRC2:USER_SGPR: 6
; COMPUTE_PGM_RSRC2:TRAP_HANDLER: 0
; COMPUTE_PGM_RSRC2:TGID_X_EN: 1
; COMPUTE_PGM_RSRC2:TGID_Y_EN: 0
; COMPUTE_PGM_RSRC2:TGID_Z_EN: 0
; COMPUTE_PGM_RSRC2:TIDIG_COMP_CNT: 0
	.section	.text._ZN7rocprim17ROCPRIM_400000_NS6detail17trampoline_kernelINS0_14default_configENS1_21merge_config_selectorINS0_5tupleIJjjEEENS0_10empty_typeEEEZNS1_10merge_implIS3_NS0_12zip_iteratorINS5_IJN6thrust23THRUST_200600_302600_NS6detail15normal_iteratorINSC_10device_ptrIKjEEEESI_EEEEESK_NSA_INS5_IJNSC_16discard_iteratorINSC_11use_defaultEEESN_EEEEEPS7_SQ_SQ_NSC_11hip_rocprim7__merge17predicate_wrapperIjjNSC_4lessIjEEEEEE10hipError_tPvRmT0_T1_T2_T3_T4_T5_mmT6_P12ihipStream_tbEUlT_E_NS1_11comp_targetILNS1_3genE3ELNS1_11target_archE908ELNS1_3gpuE7ELNS1_3repE0EEENS1_30default_config_static_selectorELNS0_4arch9wavefront6targetE0EEEvS11_,"axG",@progbits,_ZN7rocprim17ROCPRIM_400000_NS6detail17trampoline_kernelINS0_14default_configENS1_21merge_config_selectorINS0_5tupleIJjjEEENS0_10empty_typeEEEZNS1_10merge_implIS3_NS0_12zip_iteratorINS5_IJN6thrust23THRUST_200600_302600_NS6detail15normal_iteratorINSC_10device_ptrIKjEEEESI_EEEEESK_NSA_INS5_IJNSC_16discard_iteratorINSC_11use_defaultEEESN_EEEEEPS7_SQ_SQ_NSC_11hip_rocprim7__merge17predicate_wrapperIjjNSC_4lessIjEEEEEE10hipError_tPvRmT0_T1_T2_T3_T4_T5_mmT6_P12ihipStream_tbEUlT_E_NS1_11comp_targetILNS1_3genE3ELNS1_11target_archE908ELNS1_3gpuE7ELNS1_3repE0EEENS1_30default_config_static_selectorELNS0_4arch9wavefront6targetE0EEEvS11_,comdat
	.protected	_ZN7rocprim17ROCPRIM_400000_NS6detail17trampoline_kernelINS0_14default_configENS1_21merge_config_selectorINS0_5tupleIJjjEEENS0_10empty_typeEEEZNS1_10merge_implIS3_NS0_12zip_iteratorINS5_IJN6thrust23THRUST_200600_302600_NS6detail15normal_iteratorINSC_10device_ptrIKjEEEESI_EEEEESK_NSA_INS5_IJNSC_16discard_iteratorINSC_11use_defaultEEESN_EEEEEPS7_SQ_SQ_NSC_11hip_rocprim7__merge17predicate_wrapperIjjNSC_4lessIjEEEEEE10hipError_tPvRmT0_T1_T2_T3_T4_T5_mmT6_P12ihipStream_tbEUlT_E_NS1_11comp_targetILNS1_3genE3ELNS1_11target_archE908ELNS1_3gpuE7ELNS1_3repE0EEENS1_30default_config_static_selectorELNS0_4arch9wavefront6targetE0EEEvS11_ ; -- Begin function _ZN7rocprim17ROCPRIM_400000_NS6detail17trampoline_kernelINS0_14default_configENS1_21merge_config_selectorINS0_5tupleIJjjEEENS0_10empty_typeEEEZNS1_10merge_implIS3_NS0_12zip_iteratorINS5_IJN6thrust23THRUST_200600_302600_NS6detail15normal_iteratorINSC_10device_ptrIKjEEEESI_EEEEESK_NSA_INS5_IJNSC_16discard_iteratorINSC_11use_defaultEEESN_EEEEEPS7_SQ_SQ_NSC_11hip_rocprim7__merge17predicate_wrapperIjjNSC_4lessIjEEEEEE10hipError_tPvRmT0_T1_T2_T3_T4_T5_mmT6_P12ihipStream_tbEUlT_E_NS1_11comp_targetILNS1_3genE3ELNS1_11target_archE908ELNS1_3gpuE7ELNS1_3repE0EEENS1_30default_config_static_selectorELNS0_4arch9wavefront6targetE0EEEvS11_
	.globl	_ZN7rocprim17ROCPRIM_400000_NS6detail17trampoline_kernelINS0_14default_configENS1_21merge_config_selectorINS0_5tupleIJjjEEENS0_10empty_typeEEEZNS1_10merge_implIS3_NS0_12zip_iteratorINS5_IJN6thrust23THRUST_200600_302600_NS6detail15normal_iteratorINSC_10device_ptrIKjEEEESI_EEEEESK_NSA_INS5_IJNSC_16discard_iteratorINSC_11use_defaultEEESN_EEEEEPS7_SQ_SQ_NSC_11hip_rocprim7__merge17predicate_wrapperIjjNSC_4lessIjEEEEEE10hipError_tPvRmT0_T1_T2_T3_T4_T5_mmT6_P12ihipStream_tbEUlT_E_NS1_11comp_targetILNS1_3genE3ELNS1_11target_archE908ELNS1_3gpuE7ELNS1_3repE0EEENS1_30default_config_static_selectorELNS0_4arch9wavefront6targetE0EEEvS11_
	.p2align	8
	.type	_ZN7rocprim17ROCPRIM_400000_NS6detail17trampoline_kernelINS0_14default_configENS1_21merge_config_selectorINS0_5tupleIJjjEEENS0_10empty_typeEEEZNS1_10merge_implIS3_NS0_12zip_iteratorINS5_IJN6thrust23THRUST_200600_302600_NS6detail15normal_iteratorINSC_10device_ptrIKjEEEESI_EEEEESK_NSA_INS5_IJNSC_16discard_iteratorINSC_11use_defaultEEESN_EEEEEPS7_SQ_SQ_NSC_11hip_rocprim7__merge17predicate_wrapperIjjNSC_4lessIjEEEEEE10hipError_tPvRmT0_T1_T2_T3_T4_T5_mmT6_P12ihipStream_tbEUlT_E_NS1_11comp_targetILNS1_3genE3ELNS1_11target_archE908ELNS1_3gpuE7ELNS1_3repE0EEENS1_30default_config_static_selectorELNS0_4arch9wavefront6targetE0EEEvS11_,@function
_ZN7rocprim17ROCPRIM_400000_NS6detail17trampoline_kernelINS0_14default_configENS1_21merge_config_selectorINS0_5tupleIJjjEEENS0_10empty_typeEEEZNS1_10merge_implIS3_NS0_12zip_iteratorINS5_IJN6thrust23THRUST_200600_302600_NS6detail15normal_iteratorINSC_10device_ptrIKjEEEESI_EEEEESK_NSA_INS5_IJNSC_16discard_iteratorINSC_11use_defaultEEESN_EEEEEPS7_SQ_SQ_NSC_11hip_rocprim7__merge17predicate_wrapperIjjNSC_4lessIjEEEEEE10hipError_tPvRmT0_T1_T2_T3_T4_T5_mmT6_P12ihipStream_tbEUlT_E_NS1_11comp_targetILNS1_3genE3ELNS1_11target_archE908ELNS1_3gpuE7ELNS1_3repE0EEENS1_30default_config_static_selectorELNS0_4arch9wavefront6targetE0EEEvS11_: ; @_ZN7rocprim17ROCPRIM_400000_NS6detail17trampoline_kernelINS0_14default_configENS1_21merge_config_selectorINS0_5tupleIJjjEEENS0_10empty_typeEEEZNS1_10merge_implIS3_NS0_12zip_iteratorINS5_IJN6thrust23THRUST_200600_302600_NS6detail15normal_iteratorINSC_10device_ptrIKjEEEESI_EEEEESK_NSA_INS5_IJNSC_16discard_iteratorINSC_11use_defaultEEESN_EEEEEPS7_SQ_SQ_NSC_11hip_rocprim7__merge17predicate_wrapperIjjNSC_4lessIjEEEEEE10hipError_tPvRmT0_T1_T2_T3_T4_T5_mmT6_P12ihipStream_tbEUlT_E_NS1_11comp_targetILNS1_3genE3ELNS1_11target_archE908ELNS1_3gpuE7ELNS1_3repE0EEENS1_30default_config_static_selectorELNS0_4arch9wavefront6targetE0EEEvS11_
; %bb.0:
	.section	.rodata,"a",@progbits
	.p2align	6, 0x0
	.amdhsa_kernel _ZN7rocprim17ROCPRIM_400000_NS6detail17trampoline_kernelINS0_14default_configENS1_21merge_config_selectorINS0_5tupleIJjjEEENS0_10empty_typeEEEZNS1_10merge_implIS3_NS0_12zip_iteratorINS5_IJN6thrust23THRUST_200600_302600_NS6detail15normal_iteratorINSC_10device_ptrIKjEEEESI_EEEEESK_NSA_INS5_IJNSC_16discard_iteratorINSC_11use_defaultEEESN_EEEEEPS7_SQ_SQ_NSC_11hip_rocprim7__merge17predicate_wrapperIjjNSC_4lessIjEEEEEE10hipError_tPvRmT0_T1_T2_T3_T4_T5_mmT6_P12ihipStream_tbEUlT_E_NS1_11comp_targetILNS1_3genE3ELNS1_11target_archE908ELNS1_3gpuE7ELNS1_3repE0EEENS1_30default_config_static_selectorELNS0_4arch9wavefront6targetE0EEEvS11_
		.amdhsa_group_segment_fixed_size 0
		.amdhsa_private_segment_fixed_size 0
		.amdhsa_kernarg_size 64
		.amdhsa_user_sgpr_count 6
		.amdhsa_user_sgpr_private_segment_buffer 1
		.amdhsa_user_sgpr_dispatch_ptr 0
		.amdhsa_user_sgpr_queue_ptr 0
		.amdhsa_user_sgpr_kernarg_segment_ptr 1
		.amdhsa_user_sgpr_dispatch_id 0
		.amdhsa_user_sgpr_flat_scratch_init 0
		.amdhsa_user_sgpr_private_segment_size 0
		.amdhsa_wavefront_size32 1
		.amdhsa_uses_dynamic_stack 0
		.amdhsa_system_sgpr_private_segment_wavefront_offset 0
		.amdhsa_system_sgpr_workgroup_id_x 1
		.amdhsa_system_sgpr_workgroup_id_y 0
		.amdhsa_system_sgpr_workgroup_id_z 0
		.amdhsa_system_sgpr_workgroup_info 0
		.amdhsa_system_vgpr_workitem_id 0
		.amdhsa_next_free_vgpr 1
		.amdhsa_next_free_sgpr 1
		.amdhsa_reserve_vcc 0
		.amdhsa_reserve_flat_scratch 0
		.amdhsa_float_round_mode_32 0
		.amdhsa_float_round_mode_16_64 0
		.amdhsa_float_denorm_mode_32 3
		.amdhsa_float_denorm_mode_16_64 3
		.amdhsa_dx10_clamp 1
		.amdhsa_ieee_mode 1
		.amdhsa_fp16_overflow 0
		.amdhsa_workgroup_processor_mode 1
		.amdhsa_memory_ordered 1
		.amdhsa_forward_progress 1
		.amdhsa_shared_vgpr_count 0
		.amdhsa_exception_fp_ieee_invalid_op 0
		.amdhsa_exception_fp_denorm_src 0
		.amdhsa_exception_fp_ieee_div_zero 0
		.amdhsa_exception_fp_ieee_overflow 0
		.amdhsa_exception_fp_ieee_underflow 0
		.amdhsa_exception_fp_ieee_inexact 0
		.amdhsa_exception_int_div_zero 0
	.end_amdhsa_kernel
	.section	.text._ZN7rocprim17ROCPRIM_400000_NS6detail17trampoline_kernelINS0_14default_configENS1_21merge_config_selectorINS0_5tupleIJjjEEENS0_10empty_typeEEEZNS1_10merge_implIS3_NS0_12zip_iteratorINS5_IJN6thrust23THRUST_200600_302600_NS6detail15normal_iteratorINSC_10device_ptrIKjEEEESI_EEEEESK_NSA_INS5_IJNSC_16discard_iteratorINSC_11use_defaultEEESN_EEEEEPS7_SQ_SQ_NSC_11hip_rocprim7__merge17predicate_wrapperIjjNSC_4lessIjEEEEEE10hipError_tPvRmT0_T1_T2_T3_T4_T5_mmT6_P12ihipStream_tbEUlT_E_NS1_11comp_targetILNS1_3genE3ELNS1_11target_archE908ELNS1_3gpuE7ELNS1_3repE0EEENS1_30default_config_static_selectorELNS0_4arch9wavefront6targetE0EEEvS11_,"axG",@progbits,_ZN7rocprim17ROCPRIM_400000_NS6detail17trampoline_kernelINS0_14default_configENS1_21merge_config_selectorINS0_5tupleIJjjEEENS0_10empty_typeEEEZNS1_10merge_implIS3_NS0_12zip_iteratorINS5_IJN6thrust23THRUST_200600_302600_NS6detail15normal_iteratorINSC_10device_ptrIKjEEEESI_EEEEESK_NSA_INS5_IJNSC_16discard_iteratorINSC_11use_defaultEEESN_EEEEEPS7_SQ_SQ_NSC_11hip_rocprim7__merge17predicate_wrapperIjjNSC_4lessIjEEEEEE10hipError_tPvRmT0_T1_T2_T3_T4_T5_mmT6_P12ihipStream_tbEUlT_E_NS1_11comp_targetILNS1_3genE3ELNS1_11target_archE908ELNS1_3gpuE7ELNS1_3repE0EEENS1_30default_config_static_selectorELNS0_4arch9wavefront6targetE0EEEvS11_,comdat
.Lfunc_end536:
	.size	_ZN7rocprim17ROCPRIM_400000_NS6detail17trampoline_kernelINS0_14default_configENS1_21merge_config_selectorINS0_5tupleIJjjEEENS0_10empty_typeEEEZNS1_10merge_implIS3_NS0_12zip_iteratorINS5_IJN6thrust23THRUST_200600_302600_NS6detail15normal_iteratorINSC_10device_ptrIKjEEEESI_EEEEESK_NSA_INS5_IJNSC_16discard_iteratorINSC_11use_defaultEEESN_EEEEEPS7_SQ_SQ_NSC_11hip_rocprim7__merge17predicate_wrapperIjjNSC_4lessIjEEEEEE10hipError_tPvRmT0_T1_T2_T3_T4_T5_mmT6_P12ihipStream_tbEUlT_E_NS1_11comp_targetILNS1_3genE3ELNS1_11target_archE908ELNS1_3gpuE7ELNS1_3repE0EEENS1_30default_config_static_selectorELNS0_4arch9wavefront6targetE0EEEvS11_, .Lfunc_end536-_ZN7rocprim17ROCPRIM_400000_NS6detail17trampoline_kernelINS0_14default_configENS1_21merge_config_selectorINS0_5tupleIJjjEEENS0_10empty_typeEEEZNS1_10merge_implIS3_NS0_12zip_iteratorINS5_IJN6thrust23THRUST_200600_302600_NS6detail15normal_iteratorINSC_10device_ptrIKjEEEESI_EEEEESK_NSA_INS5_IJNSC_16discard_iteratorINSC_11use_defaultEEESN_EEEEEPS7_SQ_SQ_NSC_11hip_rocprim7__merge17predicate_wrapperIjjNSC_4lessIjEEEEEE10hipError_tPvRmT0_T1_T2_T3_T4_T5_mmT6_P12ihipStream_tbEUlT_E_NS1_11comp_targetILNS1_3genE3ELNS1_11target_archE908ELNS1_3gpuE7ELNS1_3repE0EEENS1_30default_config_static_selectorELNS0_4arch9wavefront6targetE0EEEvS11_
                                        ; -- End function
	.set _ZN7rocprim17ROCPRIM_400000_NS6detail17trampoline_kernelINS0_14default_configENS1_21merge_config_selectorINS0_5tupleIJjjEEENS0_10empty_typeEEEZNS1_10merge_implIS3_NS0_12zip_iteratorINS5_IJN6thrust23THRUST_200600_302600_NS6detail15normal_iteratorINSC_10device_ptrIKjEEEESI_EEEEESK_NSA_INS5_IJNSC_16discard_iteratorINSC_11use_defaultEEESN_EEEEEPS7_SQ_SQ_NSC_11hip_rocprim7__merge17predicate_wrapperIjjNSC_4lessIjEEEEEE10hipError_tPvRmT0_T1_T2_T3_T4_T5_mmT6_P12ihipStream_tbEUlT_E_NS1_11comp_targetILNS1_3genE3ELNS1_11target_archE908ELNS1_3gpuE7ELNS1_3repE0EEENS1_30default_config_static_selectorELNS0_4arch9wavefront6targetE0EEEvS11_.num_vgpr, 0
	.set _ZN7rocprim17ROCPRIM_400000_NS6detail17trampoline_kernelINS0_14default_configENS1_21merge_config_selectorINS0_5tupleIJjjEEENS0_10empty_typeEEEZNS1_10merge_implIS3_NS0_12zip_iteratorINS5_IJN6thrust23THRUST_200600_302600_NS6detail15normal_iteratorINSC_10device_ptrIKjEEEESI_EEEEESK_NSA_INS5_IJNSC_16discard_iteratorINSC_11use_defaultEEESN_EEEEEPS7_SQ_SQ_NSC_11hip_rocprim7__merge17predicate_wrapperIjjNSC_4lessIjEEEEEE10hipError_tPvRmT0_T1_T2_T3_T4_T5_mmT6_P12ihipStream_tbEUlT_E_NS1_11comp_targetILNS1_3genE3ELNS1_11target_archE908ELNS1_3gpuE7ELNS1_3repE0EEENS1_30default_config_static_selectorELNS0_4arch9wavefront6targetE0EEEvS11_.num_agpr, 0
	.set _ZN7rocprim17ROCPRIM_400000_NS6detail17trampoline_kernelINS0_14default_configENS1_21merge_config_selectorINS0_5tupleIJjjEEENS0_10empty_typeEEEZNS1_10merge_implIS3_NS0_12zip_iteratorINS5_IJN6thrust23THRUST_200600_302600_NS6detail15normal_iteratorINSC_10device_ptrIKjEEEESI_EEEEESK_NSA_INS5_IJNSC_16discard_iteratorINSC_11use_defaultEEESN_EEEEEPS7_SQ_SQ_NSC_11hip_rocprim7__merge17predicate_wrapperIjjNSC_4lessIjEEEEEE10hipError_tPvRmT0_T1_T2_T3_T4_T5_mmT6_P12ihipStream_tbEUlT_E_NS1_11comp_targetILNS1_3genE3ELNS1_11target_archE908ELNS1_3gpuE7ELNS1_3repE0EEENS1_30default_config_static_selectorELNS0_4arch9wavefront6targetE0EEEvS11_.numbered_sgpr, 0
	.set _ZN7rocprim17ROCPRIM_400000_NS6detail17trampoline_kernelINS0_14default_configENS1_21merge_config_selectorINS0_5tupleIJjjEEENS0_10empty_typeEEEZNS1_10merge_implIS3_NS0_12zip_iteratorINS5_IJN6thrust23THRUST_200600_302600_NS6detail15normal_iteratorINSC_10device_ptrIKjEEEESI_EEEEESK_NSA_INS5_IJNSC_16discard_iteratorINSC_11use_defaultEEESN_EEEEEPS7_SQ_SQ_NSC_11hip_rocprim7__merge17predicate_wrapperIjjNSC_4lessIjEEEEEE10hipError_tPvRmT0_T1_T2_T3_T4_T5_mmT6_P12ihipStream_tbEUlT_E_NS1_11comp_targetILNS1_3genE3ELNS1_11target_archE908ELNS1_3gpuE7ELNS1_3repE0EEENS1_30default_config_static_selectorELNS0_4arch9wavefront6targetE0EEEvS11_.num_named_barrier, 0
	.set _ZN7rocprim17ROCPRIM_400000_NS6detail17trampoline_kernelINS0_14default_configENS1_21merge_config_selectorINS0_5tupleIJjjEEENS0_10empty_typeEEEZNS1_10merge_implIS3_NS0_12zip_iteratorINS5_IJN6thrust23THRUST_200600_302600_NS6detail15normal_iteratorINSC_10device_ptrIKjEEEESI_EEEEESK_NSA_INS5_IJNSC_16discard_iteratorINSC_11use_defaultEEESN_EEEEEPS7_SQ_SQ_NSC_11hip_rocprim7__merge17predicate_wrapperIjjNSC_4lessIjEEEEEE10hipError_tPvRmT0_T1_T2_T3_T4_T5_mmT6_P12ihipStream_tbEUlT_E_NS1_11comp_targetILNS1_3genE3ELNS1_11target_archE908ELNS1_3gpuE7ELNS1_3repE0EEENS1_30default_config_static_selectorELNS0_4arch9wavefront6targetE0EEEvS11_.private_seg_size, 0
	.set _ZN7rocprim17ROCPRIM_400000_NS6detail17trampoline_kernelINS0_14default_configENS1_21merge_config_selectorINS0_5tupleIJjjEEENS0_10empty_typeEEEZNS1_10merge_implIS3_NS0_12zip_iteratorINS5_IJN6thrust23THRUST_200600_302600_NS6detail15normal_iteratorINSC_10device_ptrIKjEEEESI_EEEEESK_NSA_INS5_IJNSC_16discard_iteratorINSC_11use_defaultEEESN_EEEEEPS7_SQ_SQ_NSC_11hip_rocprim7__merge17predicate_wrapperIjjNSC_4lessIjEEEEEE10hipError_tPvRmT0_T1_T2_T3_T4_T5_mmT6_P12ihipStream_tbEUlT_E_NS1_11comp_targetILNS1_3genE3ELNS1_11target_archE908ELNS1_3gpuE7ELNS1_3repE0EEENS1_30default_config_static_selectorELNS0_4arch9wavefront6targetE0EEEvS11_.uses_vcc, 0
	.set _ZN7rocprim17ROCPRIM_400000_NS6detail17trampoline_kernelINS0_14default_configENS1_21merge_config_selectorINS0_5tupleIJjjEEENS0_10empty_typeEEEZNS1_10merge_implIS3_NS0_12zip_iteratorINS5_IJN6thrust23THRUST_200600_302600_NS6detail15normal_iteratorINSC_10device_ptrIKjEEEESI_EEEEESK_NSA_INS5_IJNSC_16discard_iteratorINSC_11use_defaultEEESN_EEEEEPS7_SQ_SQ_NSC_11hip_rocprim7__merge17predicate_wrapperIjjNSC_4lessIjEEEEEE10hipError_tPvRmT0_T1_T2_T3_T4_T5_mmT6_P12ihipStream_tbEUlT_E_NS1_11comp_targetILNS1_3genE3ELNS1_11target_archE908ELNS1_3gpuE7ELNS1_3repE0EEENS1_30default_config_static_selectorELNS0_4arch9wavefront6targetE0EEEvS11_.uses_flat_scratch, 0
	.set _ZN7rocprim17ROCPRIM_400000_NS6detail17trampoline_kernelINS0_14default_configENS1_21merge_config_selectorINS0_5tupleIJjjEEENS0_10empty_typeEEEZNS1_10merge_implIS3_NS0_12zip_iteratorINS5_IJN6thrust23THRUST_200600_302600_NS6detail15normal_iteratorINSC_10device_ptrIKjEEEESI_EEEEESK_NSA_INS5_IJNSC_16discard_iteratorINSC_11use_defaultEEESN_EEEEEPS7_SQ_SQ_NSC_11hip_rocprim7__merge17predicate_wrapperIjjNSC_4lessIjEEEEEE10hipError_tPvRmT0_T1_T2_T3_T4_T5_mmT6_P12ihipStream_tbEUlT_E_NS1_11comp_targetILNS1_3genE3ELNS1_11target_archE908ELNS1_3gpuE7ELNS1_3repE0EEENS1_30default_config_static_selectorELNS0_4arch9wavefront6targetE0EEEvS11_.has_dyn_sized_stack, 0
	.set _ZN7rocprim17ROCPRIM_400000_NS6detail17trampoline_kernelINS0_14default_configENS1_21merge_config_selectorINS0_5tupleIJjjEEENS0_10empty_typeEEEZNS1_10merge_implIS3_NS0_12zip_iteratorINS5_IJN6thrust23THRUST_200600_302600_NS6detail15normal_iteratorINSC_10device_ptrIKjEEEESI_EEEEESK_NSA_INS5_IJNSC_16discard_iteratorINSC_11use_defaultEEESN_EEEEEPS7_SQ_SQ_NSC_11hip_rocprim7__merge17predicate_wrapperIjjNSC_4lessIjEEEEEE10hipError_tPvRmT0_T1_T2_T3_T4_T5_mmT6_P12ihipStream_tbEUlT_E_NS1_11comp_targetILNS1_3genE3ELNS1_11target_archE908ELNS1_3gpuE7ELNS1_3repE0EEENS1_30default_config_static_selectorELNS0_4arch9wavefront6targetE0EEEvS11_.has_recursion, 0
	.set _ZN7rocprim17ROCPRIM_400000_NS6detail17trampoline_kernelINS0_14default_configENS1_21merge_config_selectorINS0_5tupleIJjjEEENS0_10empty_typeEEEZNS1_10merge_implIS3_NS0_12zip_iteratorINS5_IJN6thrust23THRUST_200600_302600_NS6detail15normal_iteratorINSC_10device_ptrIKjEEEESI_EEEEESK_NSA_INS5_IJNSC_16discard_iteratorINSC_11use_defaultEEESN_EEEEEPS7_SQ_SQ_NSC_11hip_rocprim7__merge17predicate_wrapperIjjNSC_4lessIjEEEEEE10hipError_tPvRmT0_T1_T2_T3_T4_T5_mmT6_P12ihipStream_tbEUlT_E_NS1_11comp_targetILNS1_3genE3ELNS1_11target_archE908ELNS1_3gpuE7ELNS1_3repE0EEENS1_30default_config_static_selectorELNS0_4arch9wavefront6targetE0EEEvS11_.has_indirect_call, 0
	.section	.AMDGPU.csdata,"",@progbits
; Kernel info:
; codeLenInByte = 0
; TotalNumSgprs: 0
; NumVgprs: 0
; ScratchSize: 0
; MemoryBound: 0
; FloatMode: 240
; IeeeMode: 1
; LDSByteSize: 0 bytes/workgroup (compile time only)
; SGPRBlocks: 0
; VGPRBlocks: 0
; NumSGPRsForWavesPerEU: 1
; NumVGPRsForWavesPerEU: 1
; Occupancy: 16
; WaveLimiterHint : 0
; COMPUTE_PGM_RSRC2:SCRATCH_EN: 0
; COMPUTE_PGM_RSRC2:USER_SGPR: 6
; COMPUTE_PGM_RSRC2:TRAP_HANDLER: 0
; COMPUTE_PGM_RSRC2:TGID_X_EN: 1
; COMPUTE_PGM_RSRC2:TGID_Y_EN: 0
; COMPUTE_PGM_RSRC2:TGID_Z_EN: 0
; COMPUTE_PGM_RSRC2:TIDIG_COMP_CNT: 0
	.section	.text._ZN7rocprim17ROCPRIM_400000_NS6detail17trampoline_kernelINS0_14default_configENS1_21merge_config_selectorINS0_5tupleIJjjEEENS0_10empty_typeEEEZNS1_10merge_implIS3_NS0_12zip_iteratorINS5_IJN6thrust23THRUST_200600_302600_NS6detail15normal_iteratorINSC_10device_ptrIKjEEEESI_EEEEESK_NSA_INS5_IJNSC_16discard_iteratorINSC_11use_defaultEEESN_EEEEEPS7_SQ_SQ_NSC_11hip_rocprim7__merge17predicate_wrapperIjjNSC_4lessIjEEEEEE10hipError_tPvRmT0_T1_T2_T3_T4_T5_mmT6_P12ihipStream_tbEUlT_E_NS1_11comp_targetILNS1_3genE2ELNS1_11target_archE906ELNS1_3gpuE6ELNS1_3repE0EEENS1_30default_config_static_selectorELNS0_4arch9wavefront6targetE0EEEvS11_,"axG",@progbits,_ZN7rocprim17ROCPRIM_400000_NS6detail17trampoline_kernelINS0_14default_configENS1_21merge_config_selectorINS0_5tupleIJjjEEENS0_10empty_typeEEEZNS1_10merge_implIS3_NS0_12zip_iteratorINS5_IJN6thrust23THRUST_200600_302600_NS6detail15normal_iteratorINSC_10device_ptrIKjEEEESI_EEEEESK_NSA_INS5_IJNSC_16discard_iteratorINSC_11use_defaultEEESN_EEEEEPS7_SQ_SQ_NSC_11hip_rocprim7__merge17predicate_wrapperIjjNSC_4lessIjEEEEEE10hipError_tPvRmT0_T1_T2_T3_T4_T5_mmT6_P12ihipStream_tbEUlT_E_NS1_11comp_targetILNS1_3genE2ELNS1_11target_archE906ELNS1_3gpuE6ELNS1_3repE0EEENS1_30default_config_static_selectorELNS0_4arch9wavefront6targetE0EEEvS11_,comdat
	.protected	_ZN7rocprim17ROCPRIM_400000_NS6detail17trampoline_kernelINS0_14default_configENS1_21merge_config_selectorINS0_5tupleIJjjEEENS0_10empty_typeEEEZNS1_10merge_implIS3_NS0_12zip_iteratorINS5_IJN6thrust23THRUST_200600_302600_NS6detail15normal_iteratorINSC_10device_ptrIKjEEEESI_EEEEESK_NSA_INS5_IJNSC_16discard_iteratorINSC_11use_defaultEEESN_EEEEEPS7_SQ_SQ_NSC_11hip_rocprim7__merge17predicate_wrapperIjjNSC_4lessIjEEEEEE10hipError_tPvRmT0_T1_T2_T3_T4_T5_mmT6_P12ihipStream_tbEUlT_E_NS1_11comp_targetILNS1_3genE2ELNS1_11target_archE906ELNS1_3gpuE6ELNS1_3repE0EEENS1_30default_config_static_selectorELNS0_4arch9wavefront6targetE0EEEvS11_ ; -- Begin function _ZN7rocprim17ROCPRIM_400000_NS6detail17trampoline_kernelINS0_14default_configENS1_21merge_config_selectorINS0_5tupleIJjjEEENS0_10empty_typeEEEZNS1_10merge_implIS3_NS0_12zip_iteratorINS5_IJN6thrust23THRUST_200600_302600_NS6detail15normal_iteratorINSC_10device_ptrIKjEEEESI_EEEEESK_NSA_INS5_IJNSC_16discard_iteratorINSC_11use_defaultEEESN_EEEEEPS7_SQ_SQ_NSC_11hip_rocprim7__merge17predicate_wrapperIjjNSC_4lessIjEEEEEE10hipError_tPvRmT0_T1_T2_T3_T4_T5_mmT6_P12ihipStream_tbEUlT_E_NS1_11comp_targetILNS1_3genE2ELNS1_11target_archE906ELNS1_3gpuE6ELNS1_3repE0EEENS1_30default_config_static_selectorELNS0_4arch9wavefront6targetE0EEEvS11_
	.globl	_ZN7rocprim17ROCPRIM_400000_NS6detail17trampoline_kernelINS0_14default_configENS1_21merge_config_selectorINS0_5tupleIJjjEEENS0_10empty_typeEEEZNS1_10merge_implIS3_NS0_12zip_iteratorINS5_IJN6thrust23THRUST_200600_302600_NS6detail15normal_iteratorINSC_10device_ptrIKjEEEESI_EEEEESK_NSA_INS5_IJNSC_16discard_iteratorINSC_11use_defaultEEESN_EEEEEPS7_SQ_SQ_NSC_11hip_rocprim7__merge17predicate_wrapperIjjNSC_4lessIjEEEEEE10hipError_tPvRmT0_T1_T2_T3_T4_T5_mmT6_P12ihipStream_tbEUlT_E_NS1_11comp_targetILNS1_3genE2ELNS1_11target_archE906ELNS1_3gpuE6ELNS1_3repE0EEENS1_30default_config_static_selectorELNS0_4arch9wavefront6targetE0EEEvS11_
	.p2align	8
	.type	_ZN7rocprim17ROCPRIM_400000_NS6detail17trampoline_kernelINS0_14default_configENS1_21merge_config_selectorINS0_5tupleIJjjEEENS0_10empty_typeEEEZNS1_10merge_implIS3_NS0_12zip_iteratorINS5_IJN6thrust23THRUST_200600_302600_NS6detail15normal_iteratorINSC_10device_ptrIKjEEEESI_EEEEESK_NSA_INS5_IJNSC_16discard_iteratorINSC_11use_defaultEEESN_EEEEEPS7_SQ_SQ_NSC_11hip_rocprim7__merge17predicate_wrapperIjjNSC_4lessIjEEEEEE10hipError_tPvRmT0_T1_T2_T3_T4_T5_mmT6_P12ihipStream_tbEUlT_E_NS1_11comp_targetILNS1_3genE2ELNS1_11target_archE906ELNS1_3gpuE6ELNS1_3repE0EEENS1_30default_config_static_selectorELNS0_4arch9wavefront6targetE0EEEvS11_,@function
_ZN7rocprim17ROCPRIM_400000_NS6detail17trampoline_kernelINS0_14default_configENS1_21merge_config_selectorINS0_5tupleIJjjEEENS0_10empty_typeEEEZNS1_10merge_implIS3_NS0_12zip_iteratorINS5_IJN6thrust23THRUST_200600_302600_NS6detail15normal_iteratorINSC_10device_ptrIKjEEEESI_EEEEESK_NSA_INS5_IJNSC_16discard_iteratorINSC_11use_defaultEEESN_EEEEEPS7_SQ_SQ_NSC_11hip_rocprim7__merge17predicate_wrapperIjjNSC_4lessIjEEEEEE10hipError_tPvRmT0_T1_T2_T3_T4_T5_mmT6_P12ihipStream_tbEUlT_E_NS1_11comp_targetILNS1_3genE2ELNS1_11target_archE906ELNS1_3gpuE6ELNS1_3repE0EEENS1_30default_config_static_selectorELNS0_4arch9wavefront6targetE0EEEvS11_: ; @_ZN7rocprim17ROCPRIM_400000_NS6detail17trampoline_kernelINS0_14default_configENS1_21merge_config_selectorINS0_5tupleIJjjEEENS0_10empty_typeEEEZNS1_10merge_implIS3_NS0_12zip_iteratorINS5_IJN6thrust23THRUST_200600_302600_NS6detail15normal_iteratorINSC_10device_ptrIKjEEEESI_EEEEESK_NSA_INS5_IJNSC_16discard_iteratorINSC_11use_defaultEEESN_EEEEEPS7_SQ_SQ_NSC_11hip_rocprim7__merge17predicate_wrapperIjjNSC_4lessIjEEEEEE10hipError_tPvRmT0_T1_T2_T3_T4_T5_mmT6_P12ihipStream_tbEUlT_E_NS1_11comp_targetILNS1_3genE2ELNS1_11target_archE906ELNS1_3gpuE6ELNS1_3repE0EEENS1_30default_config_static_selectorELNS0_4arch9wavefront6targetE0EEEvS11_
; %bb.0:
	.section	.rodata,"a",@progbits
	.p2align	6, 0x0
	.amdhsa_kernel _ZN7rocprim17ROCPRIM_400000_NS6detail17trampoline_kernelINS0_14default_configENS1_21merge_config_selectorINS0_5tupleIJjjEEENS0_10empty_typeEEEZNS1_10merge_implIS3_NS0_12zip_iteratorINS5_IJN6thrust23THRUST_200600_302600_NS6detail15normal_iteratorINSC_10device_ptrIKjEEEESI_EEEEESK_NSA_INS5_IJNSC_16discard_iteratorINSC_11use_defaultEEESN_EEEEEPS7_SQ_SQ_NSC_11hip_rocprim7__merge17predicate_wrapperIjjNSC_4lessIjEEEEEE10hipError_tPvRmT0_T1_T2_T3_T4_T5_mmT6_P12ihipStream_tbEUlT_E_NS1_11comp_targetILNS1_3genE2ELNS1_11target_archE906ELNS1_3gpuE6ELNS1_3repE0EEENS1_30default_config_static_selectorELNS0_4arch9wavefront6targetE0EEEvS11_
		.amdhsa_group_segment_fixed_size 0
		.amdhsa_private_segment_fixed_size 0
		.amdhsa_kernarg_size 64
		.amdhsa_user_sgpr_count 6
		.amdhsa_user_sgpr_private_segment_buffer 1
		.amdhsa_user_sgpr_dispatch_ptr 0
		.amdhsa_user_sgpr_queue_ptr 0
		.amdhsa_user_sgpr_kernarg_segment_ptr 1
		.amdhsa_user_sgpr_dispatch_id 0
		.amdhsa_user_sgpr_flat_scratch_init 0
		.amdhsa_user_sgpr_private_segment_size 0
		.amdhsa_wavefront_size32 1
		.amdhsa_uses_dynamic_stack 0
		.amdhsa_system_sgpr_private_segment_wavefront_offset 0
		.amdhsa_system_sgpr_workgroup_id_x 1
		.amdhsa_system_sgpr_workgroup_id_y 0
		.amdhsa_system_sgpr_workgroup_id_z 0
		.amdhsa_system_sgpr_workgroup_info 0
		.amdhsa_system_vgpr_workitem_id 0
		.amdhsa_next_free_vgpr 1
		.amdhsa_next_free_sgpr 1
		.amdhsa_reserve_vcc 0
		.amdhsa_reserve_flat_scratch 0
		.amdhsa_float_round_mode_32 0
		.amdhsa_float_round_mode_16_64 0
		.amdhsa_float_denorm_mode_32 3
		.amdhsa_float_denorm_mode_16_64 3
		.amdhsa_dx10_clamp 1
		.amdhsa_ieee_mode 1
		.amdhsa_fp16_overflow 0
		.amdhsa_workgroup_processor_mode 1
		.amdhsa_memory_ordered 1
		.amdhsa_forward_progress 1
		.amdhsa_shared_vgpr_count 0
		.amdhsa_exception_fp_ieee_invalid_op 0
		.amdhsa_exception_fp_denorm_src 0
		.amdhsa_exception_fp_ieee_div_zero 0
		.amdhsa_exception_fp_ieee_overflow 0
		.amdhsa_exception_fp_ieee_underflow 0
		.amdhsa_exception_fp_ieee_inexact 0
		.amdhsa_exception_int_div_zero 0
	.end_amdhsa_kernel
	.section	.text._ZN7rocprim17ROCPRIM_400000_NS6detail17trampoline_kernelINS0_14default_configENS1_21merge_config_selectorINS0_5tupleIJjjEEENS0_10empty_typeEEEZNS1_10merge_implIS3_NS0_12zip_iteratorINS5_IJN6thrust23THRUST_200600_302600_NS6detail15normal_iteratorINSC_10device_ptrIKjEEEESI_EEEEESK_NSA_INS5_IJNSC_16discard_iteratorINSC_11use_defaultEEESN_EEEEEPS7_SQ_SQ_NSC_11hip_rocprim7__merge17predicate_wrapperIjjNSC_4lessIjEEEEEE10hipError_tPvRmT0_T1_T2_T3_T4_T5_mmT6_P12ihipStream_tbEUlT_E_NS1_11comp_targetILNS1_3genE2ELNS1_11target_archE906ELNS1_3gpuE6ELNS1_3repE0EEENS1_30default_config_static_selectorELNS0_4arch9wavefront6targetE0EEEvS11_,"axG",@progbits,_ZN7rocprim17ROCPRIM_400000_NS6detail17trampoline_kernelINS0_14default_configENS1_21merge_config_selectorINS0_5tupleIJjjEEENS0_10empty_typeEEEZNS1_10merge_implIS3_NS0_12zip_iteratorINS5_IJN6thrust23THRUST_200600_302600_NS6detail15normal_iteratorINSC_10device_ptrIKjEEEESI_EEEEESK_NSA_INS5_IJNSC_16discard_iteratorINSC_11use_defaultEEESN_EEEEEPS7_SQ_SQ_NSC_11hip_rocprim7__merge17predicate_wrapperIjjNSC_4lessIjEEEEEE10hipError_tPvRmT0_T1_T2_T3_T4_T5_mmT6_P12ihipStream_tbEUlT_E_NS1_11comp_targetILNS1_3genE2ELNS1_11target_archE906ELNS1_3gpuE6ELNS1_3repE0EEENS1_30default_config_static_selectorELNS0_4arch9wavefront6targetE0EEEvS11_,comdat
.Lfunc_end537:
	.size	_ZN7rocprim17ROCPRIM_400000_NS6detail17trampoline_kernelINS0_14default_configENS1_21merge_config_selectorINS0_5tupleIJjjEEENS0_10empty_typeEEEZNS1_10merge_implIS3_NS0_12zip_iteratorINS5_IJN6thrust23THRUST_200600_302600_NS6detail15normal_iteratorINSC_10device_ptrIKjEEEESI_EEEEESK_NSA_INS5_IJNSC_16discard_iteratorINSC_11use_defaultEEESN_EEEEEPS7_SQ_SQ_NSC_11hip_rocprim7__merge17predicate_wrapperIjjNSC_4lessIjEEEEEE10hipError_tPvRmT0_T1_T2_T3_T4_T5_mmT6_P12ihipStream_tbEUlT_E_NS1_11comp_targetILNS1_3genE2ELNS1_11target_archE906ELNS1_3gpuE6ELNS1_3repE0EEENS1_30default_config_static_selectorELNS0_4arch9wavefront6targetE0EEEvS11_, .Lfunc_end537-_ZN7rocprim17ROCPRIM_400000_NS6detail17trampoline_kernelINS0_14default_configENS1_21merge_config_selectorINS0_5tupleIJjjEEENS0_10empty_typeEEEZNS1_10merge_implIS3_NS0_12zip_iteratorINS5_IJN6thrust23THRUST_200600_302600_NS6detail15normal_iteratorINSC_10device_ptrIKjEEEESI_EEEEESK_NSA_INS5_IJNSC_16discard_iteratorINSC_11use_defaultEEESN_EEEEEPS7_SQ_SQ_NSC_11hip_rocprim7__merge17predicate_wrapperIjjNSC_4lessIjEEEEEE10hipError_tPvRmT0_T1_T2_T3_T4_T5_mmT6_P12ihipStream_tbEUlT_E_NS1_11comp_targetILNS1_3genE2ELNS1_11target_archE906ELNS1_3gpuE6ELNS1_3repE0EEENS1_30default_config_static_selectorELNS0_4arch9wavefront6targetE0EEEvS11_
                                        ; -- End function
	.set _ZN7rocprim17ROCPRIM_400000_NS6detail17trampoline_kernelINS0_14default_configENS1_21merge_config_selectorINS0_5tupleIJjjEEENS0_10empty_typeEEEZNS1_10merge_implIS3_NS0_12zip_iteratorINS5_IJN6thrust23THRUST_200600_302600_NS6detail15normal_iteratorINSC_10device_ptrIKjEEEESI_EEEEESK_NSA_INS5_IJNSC_16discard_iteratorINSC_11use_defaultEEESN_EEEEEPS7_SQ_SQ_NSC_11hip_rocprim7__merge17predicate_wrapperIjjNSC_4lessIjEEEEEE10hipError_tPvRmT0_T1_T2_T3_T4_T5_mmT6_P12ihipStream_tbEUlT_E_NS1_11comp_targetILNS1_3genE2ELNS1_11target_archE906ELNS1_3gpuE6ELNS1_3repE0EEENS1_30default_config_static_selectorELNS0_4arch9wavefront6targetE0EEEvS11_.num_vgpr, 0
	.set _ZN7rocprim17ROCPRIM_400000_NS6detail17trampoline_kernelINS0_14default_configENS1_21merge_config_selectorINS0_5tupleIJjjEEENS0_10empty_typeEEEZNS1_10merge_implIS3_NS0_12zip_iteratorINS5_IJN6thrust23THRUST_200600_302600_NS6detail15normal_iteratorINSC_10device_ptrIKjEEEESI_EEEEESK_NSA_INS5_IJNSC_16discard_iteratorINSC_11use_defaultEEESN_EEEEEPS7_SQ_SQ_NSC_11hip_rocprim7__merge17predicate_wrapperIjjNSC_4lessIjEEEEEE10hipError_tPvRmT0_T1_T2_T3_T4_T5_mmT6_P12ihipStream_tbEUlT_E_NS1_11comp_targetILNS1_3genE2ELNS1_11target_archE906ELNS1_3gpuE6ELNS1_3repE0EEENS1_30default_config_static_selectorELNS0_4arch9wavefront6targetE0EEEvS11_.num_agpr, 0
	.set _ZN7rocprim17ROCPRIM_400000_NS6detail17trampoline_kernelINS0_14default_configENS1_21merge_config_selectorINS0_5tupleIJjjEEENS0_10empty_typeEEEZNS1_10merge_implIS3_NS0_12zip_iteratorINS5_IJN6thrust23THRUST_200600_302600_NS6detail15normal_iteratorINSC_10device_ptrIKjEEEESI_EEEEESK_NSA_INS5_IJNSC_16discard_iteratorINSC_11use_defaultEEESN_EEEEEPS7_SQ_SQ_NSC_11hip_rocprim7__merge17predicate_wrapperIjjNSC_4lessIjEEEEEE10hipError_tPvRmT0_T1_T2_T3_T4_T5_mmT6_P12ihipStream_tbEUlT_E_NS1_11comp_targetILNS1_3genE2ELNS1_11target_archE906ELNS1_3gpuE6ELNS1_3repE0EEENS1_30default_config_static_selectorELNS0_4arch9wavefront6targetE0EEEvS11_.numbered_sgpr, 0
	.set _ZN7rocprim17ROCPRIM_400000_NS6detail17trampoline_kernelINS0_14default_configENS1_21merge_config_selectorINS0_5tupleIJjjEEENS0_10empty_typeEEEZNS1_10merge_implIS3_NS0_12zip_iteratorINS5_IJN6thrust23THRUST_200600_302600_NS6detail15normal_iteratorINSC_10device_ptrIKjEEEESI_EEEEESK_NSA_INS5_IJNSC_16discard_iteratorINSC_11use_defaultEEESN_EEEEEPS7_SQ_SQ_NSC_11hip_rocprim7__merge17predicate_wrapperIjjNSC_4lessIjEEEEEE10hipError_tPvRmT0_T1_T2_T3_T4_T5_mmT6_P12ihipStream_tbEUlT_E_NS1_11comp_targetILNS1_3genE2ELNS1_11target_archE906ELNS1_3gpuE6ELNS1_3repE0EEENS1_30default_config_static_selectorELNS0_4arch9wavefront6targetE0EEEvS11_.num_named_barrier, 0
	.set _ZN7rocprim17ROCPRIM_400000_NS6detail17trampoline_kernelINS0_14default_configENS1_21merge_config_selectorINS0_5tupleIJjjEEENS0_10empty_typeEEEZNS1_10merge_implIS3_NS0_12zip_iteratorINS5_IJN6thrust23THRUST_200600_302600_NS6detail15normal_iteratorINSC_10device_ptrIKjEEEESI_EEEEESK_NSA_INS5_IJNSC_16discard_iteratorINSC_11use_defaultEEESN_EEEEEPS7_SQ_SQ_NSC_11hip_rocprim7__merge17predicate_wrapperIjjNSC_4lessIjEEEEEE10hipError_tPvRmT0_T1_T2_T3_T4_T5_mmT6_P12ihipStream_tbEUlT_E_NS1_11comp_targetILNS1_3genE2ELNS1_11target_archE906ELNS1_3gpuE6ELNS1_3repE0EEENS1_30default_config_static_selectorELNS0_4arch9wavefront6targetE0EEEvS11_.private_seg_size, 0
	.set _ZN7rocprim17ROCPRIM_400000_NS6detail17trampoline_kernelINS0_14default_configENS1_21merge_config_selectorINS0_5tupleIJjjEEENS0_10empty_typeEEEZNS1_10merge_implIS3_NS0_12zip_iteratorINS5_IJN6thrust23THRUST_200600_302600_NS6detail15normal_iteratorINSC_10device_ptrIKjEEEESI_EEEEESK_NSA_INS5_IJNSC_16discard_iteratorINSC_11use_defaultEEESN_EEEEEPS7_SQ_SQ_NSC_11hip_rocprim7__merge17predicate_wrapperIjjNSC_4lessIjEEEEEE10hipError_tPvRmT0_T1_T2_T3_T4_T5_mmT6_P12ihipStream_tbEUlT_E_NS1_11comp_targetILNS1_3genE2ELNS1_11target_archE906ELNS1_3gpuE6ELNS1_3repE0EEENS1_30default_config_static_selectorELNS0_4arch9wavefront6targetE0EEEvS11_.uses_vcc, 0
	.set _ZN7rocprim17ROCPRIM_400000_NS6detail17trampoline_kernelINS0_14default_configENS1_21merge_config_selectorINS0_5tupleIJjjEEENS0_10empty_typeEEEZNS1_10merge_implIS3_NS0_12zip_iteratorINS5_IJN6thrust23THRUST_200600_302600_NS6detail15normal_iteratorINSC_10device_ptrIKjEEEESI_EEEEESK_NSA_INS5_IJNSC_16discard_iteratorINSC_11use_defaultEEESN_EEEEEPS7_SQ_SQ_NSC_11hip_rocprim7__merge17predicate_wrapperIjjNSC_4lessIjEEEEEE10hipError_tPvRmT0_T1_T2_T3_T4_T5_mmT6_P12ihipStream_tbEUlT_E_NS1_11comp_targetILNS1_3genE2ELNS1_11target_archE906ELNS1_3gpuE6ELNS1_3repE0EEENS1_30default_config_static_selectorELNS0_4arch9wavefront6targetE0EEEvS11_.uses_flat_scratch, 0
	.set _ZN7rocprim17ROCPRIM_400000_NS6detail17trampoline_kernelINS0_14default_configENS1_21merge_config_selectorINS0_5tupleIJjjEEENS0_10empty_typeEEEZNS1_10merge_implIS3_NS0_12zip_iteratorINS5_IJN6thrust23THRUST_200600_302600_NS6detail15normal_iteratorINSC_10device_ptrIKjEEEESI_EEEEESK_NSA_INS5_IJNSC_16discard_iteratorINSC_11use_defaultEEESN_EEEEEPS7_SQ_SQ_NSC_11hip_rocprim7__merge17predicate_wrapperIjjNSC_4lessIjEEEEEE10hipError_tPvRmT0_T1_T2_T3_T4_T5_mmT6_P12ihipStream_tbEUlT_E_NS1_11comp_targetILNS1_3genE2ELNS1_11target_archE906ELNS1_3gpuE6ELNS1_3repE0EEENS1_30default_config_static_selectorELNS0_4arch9wavefront6targetE0EEEvS11_.has_dyn_sized_stack, 0
	.set _ZN7rocprim17ROCPRIM_400000_NS6detail17trampoline_kernelINS0_14default_configENS1_21merge_config_selectorINS0_5tupleIJjjEEENS0_10empty_typeEEEZNS1_10merge_implIS3_NS0_12zip_iteratorINS5_IJN6thrust23THRUST_200600_302600_NS6detail15normal_iteratorINSC_10device_ptrIKjEEEESI_EEEEESK_NSA_INS5_IJNSC_16discard_iteratorINSC_11use_defaultEEESN_EEEEEPS7_SQ_SQ_NSC_11hip_rocprim7__merge17predicate_wrapperIjjNSC_4lessIjEEEEEE10hipError_tPvRmT0_T1_T2_T3_T4_T5_mmT6_P12ihipStream_tbEUlT_E_NS1_11comp_targetILNS1_3genE2ELNS1_11target_archE906ELNS1_3gpuE6ELNS1_3repE0EEENS1_30default_config_static_selectorELNS0_4arch9wavefront6targetE0EEEvS11_.has_recursion, 0
	.set _ZN7rocprim17ROCPRIM_400000_NS6detail17trampoline_kernelINS0_14default_configENS1_21merge_config_selectorINS0_5tupleIJjjEEENS0_10empty_typeEEEZNS1_10merge_implIS3_NS0_12zip_iteratorINS5_IJN6thrust23THRUST_200600_302600_NS6detail15normal_iteratorINSC_10device_ptrIKjEEEESI_EEEEESK_NSA_INS5_IJNSC_16discard_iteratorINSC_11use_defaultEEESN_EEEEEPS7_SQ_SQ_NSC_11hip_rocprim7__merge17predicate_wrapperIjjNSC_4lessIjEEEEEE10hipError_tPvRmT0_T1_T2_T3_T4_T5_mmT6_P12ihipStream_tbEUlT_E_NS1_11comp_targetILNS1_3genE2ELNS1_11target_archE906ELNS1_3gpuE6ELNS1_3repE0EEENS1_30default_config_static_selectorELNS0_4arch9wavefront6targetE0EEEvS11_.has_indirect_call, 0
	.section	.AMDGPU.csdata,"",@progbits
; Kernel info:
; codeLenInByte = 0
; TotalNumSgprs: 0
; NumVgprs: 0
; ScratchSize: 0
; MemoryBound: 0
; FloatMode: 240
; IeeeMode: 1
; LDSByteSize: 0 bytes/workgroup (compile time only)
; SGPRBlocks: 0
; VGPRBlocks: 0
; NumSGPRsForWavesPerEU: 1
; NumVGPRsForWavesPerEU: 1
; Occupancy: 16
; WaveLimiterHint : 0
; COMPUTE_PGM_RSRC2:SCRATCH_EN: 0
; COMPUTE_PGM_RSRC2:USER_SGPR: 6
; COMPUTE_PGM_RSRC2:TRAP_HANDLER: 0
; COMPUTE_PGM_RSRC2:TGID_X_EN: 1
; COMPUTE_PGM_RSRC2:TGID_Y_EN: 0
; COMPUTE_PGM_RSRC2:TGID_Z_EN: 0
; COMPUTE_PGM_RSRC2:TIDIG_COMP_CNT: 0
	.section	.text._ZN7rocprim17ROCPRIM_400000_NS6detail17trampoline_kernelINS0_14default_configENS1_21merge_config_selectorINS0_5tupleIJjjEEENS0_10empty_typeEEEZNS1_10merge_implIS3_NS0_12zip_iteratorINS5_IJN6thrust23THRUST_200600_302600_NS6detail15normal_iteratorINSC_10device_ptrIKjEEEESI_EEEEESK_NSA_INS5_IJNSC_16discard_iteratorINSC_11use_defaultEEESN_EEEEEPS7_SQ_SQ_NSC_11hip_rocprim7__merge17predicate_wrapperIjjNSC_4lessIjEEEEEE10hipError_tPvRmT0_T1_T2_T3_T4_T5_mmT6_P12ihipStream_tbEUlT_E_NS1_11comp_targetILNS1_3genE10ELNS1_11target_archE1201ELNS1_3gpuE5ELNS1_3repE0EEENS1_30default_config_static_selectorELNS0_4arch9wavefront6targetE0EEEvS11_,"axG",@progbits,_ZN7rocprim17ROCPRIM_400000_NS6detail17trampoline_kernelINS0_14default_configENS1_21merge_config_selectorINS0_5tupleIJjjEEENS0_10empty_typeEEEZNS1_10merge_implIS3_NS0_12zip_iteratorINS5_IJN6thrust23THRUST_200600_302600_NS6detail15normal_iteratorINSC_10device_ptrIKjEEEESI_EEEEESK_NSA_INS5_IJNSC_16discard_iteratorINSC_11use_defaultEEESN_EEEEEPS7_SQ_SQ_NSC_11hip_rocprim7__merge17predicate_wrapperIjjNSC_4lessIjEEEEEE10hipError_tPvRmT0_T1_T2_T3_T4_T5_mmT6_P12ihipStream_tbEUlT_E_NS1_11comp_targetILNS1_3genE10ELNS1_11target_archE1201ELNS1_3gpuE5ELNS1_3repE0EEENS1_30default_config_static_selectorELNS0_4arch9wavefront6targetE0EEEvS11_,comdat
	.protected	_ZN7rocprim17ROCPRIM_400000_NS6detail17trampoline_kernelINS0_14default_configENS1_21merge_config_selectorINS0_5tupleIJjjEEENS0_10empty_typeEEEZNS1_10merge_implIS3_NS0_12zip_iteratorINS5_IJN6thrust23THRUST_200600_302600_NS6detail15normal_iteratorINSC_10device_ptrIKjEEEESI_EEEEESK_NSA_INS5_IJNSC_16discard_iteratorINSC_11use_defaultEEESN_EEEEEPS7_SQ_SQ_NSC_11hip_rocprim7__merge17predicate_wrapperIjjNSC_4lessIjEEEEEE10hipError_tPvRmT0_T1_T2_T3_T4_T5_mmT6_P12ihipStream_tbEUlT_E_NS1_11comp_targetILNS1_3genE10ELNS1_11target_archE1201ELNS1_3gpuE5ELNS1_3repE0EEENS1_30default_config_static_selectorELNS0_4arch9wavefront6targetE0EEEvS11_ ; -- Begin function _ZN7rocprim17ROCPRIM_400000_NS6detail17trampoline_kernelINS0_14default_configENS1_21merge_config_selectorINS0_5tupleIJjjEEENS0_10empty_typeEEEZNS1_10merge_implIS3_NS0_12zip_iteratorINS5_IJN6thrust23THRUST_200600_302600_NS6detail15normal_iteratorINSC_10device_ptrIKjEEEESI_EEEEESK_NSA_INS5_IJNSC_16discard_iteratorINSC_11use_defaultEEESN_EEEEEPS7_SQ_SQ_NSC_11hip_rocprim7__merge17predicate_wrapperIjjNSC_4lessIjEEEEEE10hipError_tPvRmT0_T1_T2_T3_T4_T5_mmT6_P12ihipStream_tbEUlT_E_NS1_11comp_targetILNS1_3genE10ELNS1_11target_archE1201ELNS1_3gpuE5ELNS1_3repE0EEENS1_30default_config_static_selectorELNS0_4arch9wavefront6targetE0EEEvS11_
	.globl	_ZN7rocprim17ROCPRIM_400000_NS6detail17trampoline_kernelINS0_14default_configENS1_21merge_config_selectorINS0_5tupleIJjjEEENS0_10empty_typeEEEZNS1_10merge_implIS3_NS0_12zip_iteratorINS5_IJN6thrust23THRUST_200600_302600_NS6detail15normal_iteratorINSC_10device_ptrIKjEEEESI_EEEEESK_NSA_INS5_IJNSC_16discard_iteratorINSC_11use_defaultEEESN_EEEEEPS7_SQ_SQ_NSC_11hip_rocprim7__merge17predicate_wrapperIjjNSC_4lessIjEEEEEE10hipError_tPvRmT0_T1_T2_T3_T4_T5_mmT6_P12ihipStream_tbEUlT_E_NS1_11comp_targetILNS1_3genE10ELNS1_11target_archE1201ELNS1_3gpuE5ELNS1_3repE0EEENS1_30default_config_static_selectorELNS0_4arch9wavefront6targetE0EEEvS11_
	.p2align	8
	.type	_ZN7rocprim17ROCPRIM_400000_NS6detail17trampoline_kernelINS0_14default_configENS1_21merge_config_selectorINS0_5tupleIJjjEEENS0_10empty_typeEEEZNS1_10merge_implIS3_NS0_12zip_iteratorINS5_IJN6thrust23THRUST_200600_302600_NS6detail15normal_iteratorINSC_10device_ptrIKjEEEESI_EEEEESK_NSA_INS5_IJNSC_16discard_iteratorINSC_11use_defaultEEESN_EEEEEPS7_SQ_SQ_NSC_11hip_rocprim7__merge17predicate_wrapperIjjNSC_4lessIjEEEEEE10hipError_tPvRmT0_T1_T2_T3_T4_T5_mmT6_P12ihipStream_tbEUlT_E_NS1_11comp_targetILNS1_3genE10ELNS1_11target_archE1201ELNS1_3gpuE5ELNS1_3repE0EEENS1_30default_config_static_selectorELNS0_4arch9wavefront6targetE0EEEvS11_,@function
_ZN7rocprim17ROCPRIM_400000_NS6detail17trampoline_kernelINS0_14default_configENS1_21merge_config_selectorINS0_5tupleIJjjEEENS0_10empty_typeEEEZNS1_10merge_implIS3_NS0_12zip_iteratorINS5_IJN6thrust23THRUST_200600_302600_NS6detail15normal_iteratorINSC_10device_ptrIKjEEEESI_EEEEESK_NSA_INS5_IJNSC_16discard_iteratorINSC_11use_defaultEEESN_EEEEEPS7_SQ_SQ_NSC_11hip_rocprim7__merge17predicate_wrapperIjjNSC_4lessIjEEEEEE10hipError_tPvRmT0_T1_T2_T3_T4_T5_mmT6_P12ihipStream_tbEUlT_E_NS1_11comp_targetILNS1_3genE10ELNS1_11target_archE1201ELNS1_3gpuE5ELNS1_3repE0EEENS1_30default_config_static_selectorELNS0_4arch9wavefront6targetE0EEEvS11_: ; @_ZN7rocprim17ROCPRIM_400000_NS6detail17trampoline_kernelINS0_14default_configENS1_21merge_config_selectorINS0_5tupleIJjjEEENS0_10empty_typeEEEZNS1_10merge_implIS3_NS0_12zip_iteratorINS5_IJN6thrust23THRUST_200600_302600_NS6detail15normal_iteratorINSC_10device_ptrIKjEEEESI_EEEEESK_NSA_INS5_IJNSC_16discard_iteratorINSC_11use_defaultEEESN_EEEEEPS7_SQ_SQ_NSC_11hip_rocprim7__merge17predicate_wrapperIjjNSC_4lessIjEEEEEE10hipError_tPvRmT0_T1_T2_T3_T4_T5_mmT6_P12ihipStream_tbEUlT_E_NS1_11comp_targetILNS1_3genE10ELNS1_11target_archE1201ELNS1_3gpuE5ELNS1_3repE0EEENS1_30default_config_static_selectorELNS0_4arch9wavefront6targetE0EEEvS11_
; %bb.0:
	.section	.rodata,"a",@progbits
	.p2align	6, 0x0
	.amdhsa_kernel _ZN7rocprim17ROCPRIM_400000_NS6detail17trampoline_kernelINS0_14default_configENS1_21merge_config_selectorINS0_5tupleIJjjEEENS0_10empty_typeEEEZNS1_10merge_implIS3_NS0_12zip_iteratorINS5_IJN6thrust23THRUST_200600_302600_NS6detail15normal_iteratorINSC_10device_ptrIKjEEEESI_EEEEESK_NSA_INS5_IJNSC_16discard_iteratorINSC_11use_defaultEEESN_EEEEEPS7_SQ_SQ_NSC_11hip_rocprim7__merge17predicate_wrapperIjjNSC_4lessIjEEEEEE10hipError_tPvRmT0_T1_T2_T3_T4_T5_mmT6_P12ihipStream_tbEUlT_E_NS1_11comp_targetILNS1_3genE10ELNS1_11target_archE1201ELNS1_3gpuE5ELNS1_3repE0EEENS1_30default_config_static_selectorELNS0_4arch9wavefront6targetE0EEEvS11_
		.amdhsa_group_segment_fixed_size 0
		.amdhsa_private_segment_fixed_size 0
		.amdhsa_kernarg_size 64
		.amdhsa_user_sgpr_count 6
		.amdhsa_user_sgpr_private_segment_buffer 1
		.amdhsa_user_sgpr_dispatch_ptr 0
		.amdhsa_user_sgpr_queue_ptr 0
		.amdhsa_user_sgpr_kernarg_segment_ptr 1
		.amdhsa_user_sgpr_dispatch_id 0
		.amdhsa_user_sgpr_flat_scratch_init 0
		.amdhsa_user_sgpr_private_segment_size 0
		.amdhsa_wavefront_size32 1
		.amdhsa_uses_dynamic_stack 0
		.amdhsa_system_sgpr_private_segment_wavefront_offset 0
		.amdhsa_system_sgpr_workgroup_id_x 1
		.amdhsa_system_sgpr_workgroup_id_y 0
		.amdhsa_system_sgpr_workgroup_id_z 0
		.amdhsa_system_sgpr_workgroup_info 0
		.amdhsa_system_vgpr_workitem_id 0
		.amdhsa_next_free_vgpr 1
		.amdhsa_next_free_sgpr 1
		.amdhsa_reserve_vcc 0
		.amdhsa_reserve_flat_scratch 0
		.amdhsa_float_round_mode_32 0
		.amdhsa_float_round_mode_16_64 0
		.amdhsa_float_denorm_mode_32 3
		.amdhsa_float_denorm_mode_16_64 3
		.amdhsa_dx10_clamp 1
		.amdhsa_ieee_mode 1
		.amdhsa_fp16_overflow 0
		.amdhsa_workgroup_processor_mode 1
		.amdhsa_memory_ordered 1
		.amdhsa_forward_progress 1
		.amdhsa_shared_vgpr_count 0
		.amdhsa_exception_fp_ieee_invalid_op 0
		.amdhsa_exception_fp_denorm_src 0
		.amdhsa_exception_fp_ieee_div_zero 0
		.amdhsa_exception_fp_ieee_overflow 0
		.amdhsa_exception_fp_ieee_underflow 0
		.amdhsa_exception_fp_ieee_inexact 0
		.amdhsa_exception_int_div_zero 0
	.end_amdhsa_kernel
	.section	.text._ZN7rocprim17ROCPRIM_400000_NS6detail17trampoline_kernelINS0_14default_configENS1_21merge_config_selectorINS0_5tupleIJjjEEENS0_10empty_typeEEEZNS1_10merge_implIS3_NS0_12zip_iteratorINS5_IJN6thrust23THRUST_200600_302600_NS6detail15normal_iteratorINSC_10device_ptrIKjEEEESI_EEEEESK_NSA_INS5_IJNSC_16discard_iteratorINSC_11use_defaultEEESN_EEEEEPS7_SQ_SQ_NSC_11hip_rocprim7__merge17predicate_wrapperIjjNSC_4lessIjEEEEEE10hipError_tPvRmT0_T1_T2_T3_T4_T5_mmT6_P12ihipStream_tbEUlT_E_NS1_11comp_targetILNS1_3genE10ELNS1_11target_archE1201ELNS1_3gpuE5ELNS1_3repE0EEENS1_30default_config_static_selectorELNS0_4arch9wavefront6targetE0EEEvS11_,"axG",@progbits,_ZN7rocprim17ROCPRIM_400000_NS6detail17trampoline_kernelINS0_14default_configENS1_21merge_config_selectorINS0_5tupleIJjjEEENS0_10empty_typeEEEZNS1_10merge_implIS3_NS0_12zip_iteratorINS5_IJN6thrust23THRUST_200600_302600_NS6detail15normal_iteratorINSC_10device_ptrIKjEEEESI_EEEEESK_NSA_INS5_IJNSC_16discard_iteratorINSC_11use_defaultEEESN_EEEEEPS7_SQ_SQ_NSC_11hip_rocprim7__merge17predicate_wrapperIjjNSC_4lessIjEEEEEE10hipError_tPvRmT0_T1_T2_T3_T4_T5_mmT6_P12ihipStream_tbEUlT_E_NS1_11comp_targetILNS1_3genE10ELNS1_11target_archE1201ELNS1_3gpuE5ELNS1_3repE0EEENS1_30default_config_static_selectorELNS0_4arch9wavefront6targetE0EEEvS11_,comdat
.Lfunc_end538:
	.size	_ZN7rocprim17ROCPRIM_400000_NS6detail17trampoline_kernelINS0_14default_configENS1_21merge_config_selectorINS0_5tupleIJjjEEENS0_10empty_typeEEEZNS1_10merge_implIS3_NS0_12zip_iteratorINS5_IJN6thrust23THRUST_200600_302600_NS6detail15normal_iteratorINSC_10device_ptrIKjEEEESI_EEEEESK_NSA_INS5_IJNSC_16discard_iteratorINSC_11use_defaultEEESN_EEEEEPS7_SQ_SQ_NSC_11hip_rocprim7__merge17predicate_wrapperIjjNSC_4lessIjEEEEEE10hipError_tPvRmT0_T1_T2_T3_T4_T5_mmT6_P12ihipStream_tbEUlT_E_NS1_11comp_targetILNS1_3genE10ELNS1_11target_archE1201ELNS1_3gpuE5ELNS1_3repE0EEENS1_30default_config_static_selectorELNS0_4arch9wavefront6targetE0EEEvS11_, .Lfunc_end538-_ZN7rocprim17ROCPRIM_400000_NS6detail17trampoline_kernelINS0_14default_configENS1_21merge_config_selectorINS0_5tupleIJjjEEENS0_10empty_typeEEEZNS1_10merge_implIS3_NS0_12zip_iteratorINS5_IJN6thrust23THRUST_200600_302600_NS6detail15normal_iteratorINSC_10device_ptrIKjEEEESI_EEEEESK_NSA_INS5_IJNSC_16discard_iteratorINSC_11use_defaultEEESN_EEEEEPS7_SQ_SQ_NSC_11hip_rocprim7__merge17predicate_wrapperIjjNSC_4lessIjEEEEEE10hipError_tPvRmT0_T1_T2_T3_T4_T5_mmT6_P12ihipStream_tbEUlT_E_NS1_11comp_targetILNS1_3genE10ELNS1_11target_archE1201ELNS1_3gpuE5ELNS1_3repE0EEENS1_30default_config_static_selectorELNS0_4arch9wavefront6targetE0EEEvS11_
                                        ; -- End function
	.set _ZN7rocprim17ROCPRIM_400000_NS6detail17trampoline_kernelINS0_14default_configENS1_21merge_config_selectorINS0_5tupleIJjjEEENS0_10empty_typeEEEZNS1_10merge_implIS3_NS0_12zip_iteratorINS5_IJN6thrust23THRUST_200600_302600_NS6detail15normal_iteratorINSC_10device_ptrIKjEEEESI_EEEEESK_NSA_INS5_IJNSC_16discard_iteratorINSC_11use_defaultEEESN_EEEEEPS7_SQ_SQ_NSC_11hip_rocprim7__merge17predicate_wrapperIjjNSC_4lessIjEEEEEE10hipError_tPvRmT0_T1_T2_T3_T4_T5_mmT6_P12ihipStream_tbEUlT_E_NS1_11comp_targetILNS1_3genE10ELNS1_11target_archE1201ELNS1_3gpuE5ELNS1_3repE0EEENS1_30default_config_static_selectorELNS0_4arch9wavefront6targetE0EEEvS11_.num_vgpr, 0
	.set _ZN7rocprim17ROCPRIM_400000_NS6detail17trampoline_kernelINS0_14default_configENS1_21merge_config_selectorINS0_5tupleIJjjEEENS0_10empty_typeEEEZNS1_10merge_implIS3_NS0_12zip_iteratorINS5_IJN6thrust23THRUST_200600_302600_NS6detail15normal_iteratorINSC_10device_ptrIKjEEEESI_EEEEESK_NSA_INS5_IJNSC_16discard_iteratorINSC_11use_defaultEEESN_EEEEEPS7_SQ_SQ_NSC_11hip_rocprim7__merge17predicate_wrapperIjjNSC_4lessIjEEEEEE10hipError_tPvRmT0_T1_T2_T3_T4_T5_mmT6_P12ihipStream_tbEUlT_E_NS1_11comp_targetILNS1_3genE10ELNS1_11target_archE1201ELNS1_3gpuE5ELNS1_3repE0EEENS1_30default_config_static_selectorELNS0_4arch9wavefront6targetE0EEEvS11_.num_agpr, 0
	.set _ZN7rocprim17ROCPRIM_400000_NS6detail17trampoline_kernelINS0_14default_configENS1_21merge_config_selectorINS0_5tupleIJjjEEENS0_10empty_typeEEEZNS1_10merge_implIS3_NS0_12zip_iteratorINS5_IJN6thrust23THRUST_200600_302600_NS6detail15normal_iteratorINSC_10device_ptrIKjEEEESI_EEEEESK_NSA_INS5_IJNSC_16discard_iteratorINSC_11use_defaultEEESN_EEEEEPS7_SQ_SQ_NSC_11hip_rocprim7__merge17predicate_wrapperIjjNSC_4lessIjEEEEEE10hipError_tPvRmT0_T1_T2_T3_T4_T5_mmT6_P12ihipStream_tbEUlT_E_NS1_11comp_targetILNS1_3genE10ELNS1_11target_archE1201ELNS1_3gpuE5ELNS1_3repE0EEENS1_30default_config_static_selectorELNS0_4arch9wavefront6targetE0EEEvS11_.numbered_sgpr, 0
	.set _ZN7rocprim17ROCPRIM_400000_NS6detail17trampoline_kernelINS0_14default_configENS1_21merge_config_selectorINS0_5tupleIJjjEEENS0_10empty_typeEEEZNS1_10merge_implIS3_NS0_12zip_iteratorINS5_IJN6thrust23THRUST_200600_302600_NS6detail15normal_iteratorINSC_10device_ptrIKjEEEESI_EEEEESK_NSA_INS5_IJNSC_16discard_iteratorINSC_11use_defaultEEESN_EEEEEPS7_SQ_SQ_NSC_11hip_rocprim7__merge17predicate_wrapperIjjNSC_4lessIjEEEEEE10hipError_tPvRmT0_T1_T2_T3_T4_T5_mmT6_P12ihipStream_tbEUlT_E_NS1_11comp_targetILNS1_3genE10ELNS1_11target_archE1201ELNS1_3gpuE5ELNS1_3repE0EEENS1_30default_config_static_selectorELNS0_4arch9wavefront6targetE0EEEvS11_.num_named_barrier, 0
	.set _ZN7rocprim17ROCPRIM_400000_NS6detail17trampoline_kernelINS0_14default_configENS1_21merge_config_selectorINS0_5tupleIJjjEEENS0_10empty_typeEEEZNS1_10merge_implIS3_NS0_12zip_iteratorINS5_IJN6thrust23THRUST_200600_302600_NS6detail15normal_iteratorINSC_10device_ptrIKjEEEESI_EEEEESK_NSA_INS5_IJNSC_16discard_iteratorINSC_11use_defaultEEESN_EEEEEPS7_SQ_SQ_NSC_11hip_rocprim7__merge17predicate_wrapperIjjNSC_4lessIjEEEEEE10hipError_tPvRmT0_T1_T2_T3_T4_T5_mmT6_P12ihipStream_tbEUlT_E_NS1_11comp_targetILNS1_3genE10ELNS1_11target_archE1201ELNS1_3gpuE5ELNS1_3repE0EEENS1_30default_config_static_selectorELNS0_4arch9wavefront6targetE0EEEvS11_.private_seg_size, 0
	.set _ZN7rocprim17ROCPRIM_400000_NS6detail17trampoline_kernelINS0_14default_configENS1_21merge_config_selectorINS0_5tupleIJjjEEENS0_10empty_typeEEEZNS1_10merge_implIS3_NS0_12zip_iteratorINS5_IJN6thrust23THRUST_200600_302600_NS6detail15normal_iteratorINSC_10device_ptrIKjEEEESI_EEEEESK_NSA_INS5_IJNSC_16discard_iteratorINSC_11use_defaultEEESN_EEEEEPS7_SQ_SQ_NSC_11hip_rocprim7__merge17predicate_wrapperIjjNSC_4lessIjEEEEEE10hipError_tPvRmT0_T1_T2_T3_T4_T5_mmT6_P12ihipStream_tbEUlT_E_NS1_11comp_targetILNS1_3genE10ELNS1_11target_archE1201ELNS1_3gpuE5ELNS1_3repE0EEENS1_30default_config_static_selectorELNS0_4arch9wavefront6targetE0EEEvS11_.uses_vcc, 0
	.set _ZN7rocprim17ROCPRIM_400000_NS6detail17trampoline_kernelINS0_14default_configENS1_21merge_config_selectorINS0_5tupleIJjjEEENS0_10empty_typeEEEZNS1_10merge_implIS3_NS0_12zip_iteratorINS5_IJN6thrust23THRUST_200600_302600_NS6detail15normal_iteratorINSC_10device_ptrIKjEEEESI_EEEEESK_NSA_INS5_IJNSC_16discard_iteratorINSC_11use_defaultEEESN_EEEEEPS7_SQ_SQ_NSC_11hip_rocprim7__merge17predicate_wrapperIjjNSC_4lessIjEEEEEE10hipError_tPvRmT0_T1_T2_T3_T4_T5_mmT6_P12ihipStream_tbEUlT_E_NS1_11comp_targetILNS1_3genE10ELNS1_11target_archE1201ELNS1_3gpuE5ELNS1_3repE0EEENS1_30default_config_static_selectorELNS0_4arch9wavefront6targetE0EEEvS11_.uses_flat_scratch, 0
	.set _ZN7rocprim17ROCPRIM_400000_NS6detail17trampoline_kernelINS0_14default_configENS1_21merge_config_selectorINS0_5tupleIJjjEEENS0_10empty_typeEEEZNS1_10merge_implIS3_NS0_12zip_iteratorINS5_IJN6thrust23THRUST_200600_302600_NS6detail15normal_iteratorINSC_10device_ptrIKjEEEESI_EEEEESK_NSA_INS5_IJNSC_16discard_iteratorINSC_11use_defaultEEESN_EEEEEPS7_SQ_SQ_NSC_11hip_rocprim7__merge17predicate_wrapperIjjNSC_4lessIjEEEEEE10hipError_tPvRmT0_T1_T2_T3_T4_T5_mmT6_P12ihipStream_tbEUlT_E_NS1_11comp_targetILNS1_3genE10ELNS1_11target_archE1201ELNS1_3gpuE5ELNS1_3repE0EEENS1_30default_config_static_selectorELNS0_4arch9wavefront6targetE0EEEvS11_.has_dyn_sized_stack, 0
	.set _ZN7rocprim17ROCPRIM_400000_NS6detail17trampoline_kernelINS0_14default_configENS1_21merge_config_selectorINS0_5tupleIJjjEEENS0_10empty_typeEEEZNS1_10merge_implIS3_NS0_12zip_iteratorINS5_IJN6thrust23THRUST_200600_302600_NS6detail15normal_iteratorINSC_10device_ptrIKjEEEESI_EEEEESK_NSA_INS5_IJNSC_16discard_iteratorINSC_11use_defaultEEESN_EEEEEPS7_SQ_SQ_NSC_11hip_rocprim7__merge17predicate_wrapperIjjNSC_4lessIjEEEEEE10hipError_tPvRmT0_T1_T2_T3_T4_T5_mmT6_P12ihipStream_tbEUlT_E_NS1_11comp_targetILNS1_3genE10ELNS1_11target_archE1201ELNS1_3gpuE5ELNS1_3repE0EEENS1_30default_config_static_selectorELNS0_4arch9wavefront6targetE0EEEvS11_.has_recursion, 0
	.set _ZN7rocprim17ROCPRIM_400000_NS6detail17trampoline_kernelINS0_14default_configENS1_21merge_config_selectorINS0_5tupleIJjjEEENS0_10empty_typeEEEZNS1_10merge_implIS3_NS0_12zip_iteratorINS5_IJN6thrust23THRUST_200600_302600_NS6detail15normal_iteratorINSC_10device_ptrIKjEEEESI_EEEEESK_NSA_INS5_IJNSC_16discard_iteratorINSC_11use_defaultEEESN_EEEEEPS7_SQ_SQ_NSC_11hip_rocprim7__merge17predicate_wrapperIjjNSC_4lessIjEEEEEE10hipError_tPvRmT0_T1_T2_T3_T4_T5_mmT6_P12ihipStream_tbEUlT_E_NS1_11comp_targetILNS1_3genE10ELNS1_11target_archE1201ELNS1_3gpuE5ELNS1_3repE0EEENS1_30default_config_static_selectorELNS0_4arch9wavefront6targetE0EEEvS11_.has_indirect_call, 0
	.section	.AMDGPU.csdata,"",@progbits
; Kernel info:
; codeLenInByte = 0
; TotalNumSgprs: 0
; NumVgprs: 0
; ScratchSize: 0
; MemoryBound: 0
; FloatMode: 240
; IeeeMode: 1
; LDSByteSize: 0 bytes/workgroup (compile time only)
; SGPRBlocks: 0
; VGPRBlocks: 0
; NumSGPRsForWavesPerEU: 1
; NumVGPRsForWavesPerEU: 1
; Occupancy: 16
; WaveLimiterHint : 0
; COMPUTE_PGM_RSRC2:SCRATCH_EN: 0
; COMPUTE_PGM_RSRC2:USER_SGPR: 6
; COMPUTE_PGM_RSRC2:TRAP_HANDLER: 0
; COMPUTE_PGM_RSRC2:TGID_X_EN: 1
; COMPUTE_PGM_RSRC2:TGID_Y_EN: 0
; COMPUTE_PGM_RSRC2:TGID_Z_EN: 0
; COMPUTE_PGM_RSRC2:TIDIG_COMP_CNT: 0
	.section	.text._ZN7rocprim17ROCPRIM_400000_NS6detail17trampoline_kernelINS0_14default_configENS1_21merge_config_selectorINS0_5tupleIJjjEEENS0_10empty_typeEEEZNS1_10merge_implIS3_NS0_12zip_iteratorINS5_IJN6thrust23THRUST_200600_302600_NS6detail15normal_iteratorINSC_10device_ptrIKjEEEESI_EEEEESK_NSA_INS5_IJNSC_16discard_iteratorINSC_11use_defaultEEESN_EEEEEPS7_SQ_SQ_NSC_11hip_rocprim7__merge17predicate_wrapperIjjNSC_4lessIjEEEEEE10hipError_tPvRmT0_T1_T2_T3_T4_T5_mmT6_P12ihipStream_tbEUlT_E_NS1_11comp_targetILNS1_3genE10ELNS1_11target_archE1200ELNS1_3gpuE4ELNS1_3repE0EEENS1_30default_config_static_selectorELNS0_4arch9wavefront6targetE0EEEvS11_,"axG",@progbits,_ZN7rocprim17ROCPRIM_400000_NS6detail17trampoline_kernelINS0_14default_configENS1_21merge_config_selectorINS0_5tupleIJjjEEENS0_10empty_typeEEEZNS1_10merge_implIS3_NS0_12zip_iteratorINS5_IJN6thrust23THRUST_200600_302600_NS6detail15normal_iteratorINSC_10device_ptrIKjEEEESI_EEEEESK_NSA_INS5_IJNSC_16discard_iteratorINSC_11use_defaultEEESN_EEEEEPS7_SQ_SQ_NSC_11hip_rocprim7__merge17predicate_wrapperIjjNSC_4lessIjEEEEEE10hipError_tPvRmT0_T1_T2_T3_T4_T5_mmT6_P12ihipStream_tbEUlT_E_NS1_11comp_targetILNS1_3genE10ELNS1_11target_archE1200ELNS1_3gpuE4ELNS1_3repE0EEENS1_30default_config_static_selectorELNS0_4arch9wavefront6targetE0EEEvS11_,comdat
	.protected	_ZN7rocprim17ROCPRIM_400000_NS6detail17trampoline_kernelINS0_14default_configENS1_21merge_config_selectorINS0_5tupleIJjjEEENS0_10empty_typeEEEZNS1_10merge_implIS3_NS0_12zip_iteratorINS5_IJN6thrust23THRUST_200600_302600_NS6detail15normal_iteratorINSC_10device_ptrIKjEEEESI_EEEEESK_NSA_INS5_IJNSC_16discard_iteratorINSC_11use_defaultEEESN_EEEEEPS7_SQ_SQ_NSC_11hip_rocprim7__merge17predicate_wrapperIjjNSC_4lessIjEEEEEE10hipError_tPvRmT0_T1_T2_T3_T4_T5_mmT6_P12ihipStream_tbEUlT_E_NS1_11comp_targetILNS1_3genE10ELNS1_11target_archE1200ELNS1_3gpuE4ELNS1_3repE0EEENS1_30default_config_static_selectorELNS0_4arch9wavefront6targetE0EEEvS11_ ; -- Begin function _ZN7rocprim17ROCPRIM_400000_NS6detail17trampoline_kernelINS0_14default_configENS1_21merge_config_selectorINS0_5tupleIJjjEEENS0_10empty_typeEEEZNS1_10merge_implIS3_NS0_12zip_iteratorINS5_IJN6thrust23THRUST_200600_302600_NS6detail15normal_iteratorINSC_10device_ptrIKjEEEESI_EEEEESK_NSA_INS5_IJNSC_16discard_iteratorINSC_11use_defaultEEESN_EEEEEPS7_SQ_SQ_NSC_11hip_rocprim7__merge17predicate_wrapperIjjNSC_4lessIjEEEEEE10hipError_tPvRmT0_T1_T2_T3_T4_T5_mmT6_P12ihipStream_tbEUlT_E_NS1_11comp_targetILNS1_3genE10ELNS1_11target_archE1200ELNS1_3gpuE4ELNS1_3repE0EEENS1_30default_config_static_selectorELNS0_4arch9wavefront6targetE0EEEvS11_
	.globl	_ZN7rocprim17ROCPRIM_400000_NS6detail17trampoline_kernelINS0_14default_configENS1_21merge_config_selectorINS0_5tupleIJjjEEENS0_10empty_typeEEEZNS1_10merge_implIS3_NS0_12zip_iteratorINS5_IJN6thrust23THRUST_200600_302600_NS6detail15normal_iteratorINSC_10device_ptrIKjEEEESI_EEEEESK_NSA_INS5_IJNSC_16discard_iteratorINSC_11use_defaultEEESN_EEEEEPS7_SQ_SQ_NSC_11hip_rocprim7__merge17predicate_wrapperIjjNSC_4lessIjEEEEEE10hipError_tPvRmT0_T1_T2_T3_T4_T5_mmT6_P12ihipStream_tbEUlT_E_NS1_11comp_targetILNS1_3genE10ELNS1_11target_archE1200ELNS1_3gpuE4ELNS1_3repE0EEENS1_30default_config_static_selectorELNS0_4arch9wavefront6targetE0EEEvS11_
	.p2align	8
	.type	_ZN7rocprim17ROCPRIM_400000_NS6detail17trampoline_kernelINS0_14default_configENS1_21merge_config_selectorINS0_5tupleIJjjEEENS0_10empty_typeEEEZNS1_10merge_implIS3_NS0_12zip_iteratorINS5_IJN6thrust23THRUST_200600_302600_NS6detail15normal_iteratorINSC_10device_ptrIKjEEEESI_EEEEESK_NSA_INS5_IJNSC_16discard_iteratorINSC_11use_defaultEEESN_EEEEEPS7_SQ_SQ_NSC_11hip_rocprim7__merge17predicate_wrapperIjjNSC_4lessIjEEEEEE10hipError_tPvRmT0_T1_T2_T3_T4_T5_mmT6_P12ihipStream_tbEUlT_E_NS1_11comp_targetILNS1_3genE10ELNS1_11target_archE1200ELNS1_3gpuE4ELNS1_3repE0EEENS1_30default_config_static_selectorELNS0_4arch9wavefront6targetE0EEEvS11_,@function
_ZN7rocprim17ROCPRIM_400000_NS6detail17trampoline_kernelINS0_14default_configENS1_21merge_config_selectorINS0_5tupleIJjjEEENS0_10empty_typeEEEZNS1_10merge_implIS3_NS0_12zip_iteratorINS5_IJN6thrust23THRUST_200600_302600_NS6detail15normal_iteratorINSC_10device_ptrIKjEEEESI_EEEEESK_NSA_INS5_IJNSC_16discard_iteratorINSC_11use_defaultEEESN_EEEEEPS7_SQ_SQ_NSC_11hip_rocprim7__merge17predicate_wrapperIjjNSC_4lessIjEEEEEE10hipError_tPvRmT0_T1_T2_T3_T4_T5_mmT6_P12ihipStream_tbEUlT_E_NS1_11comp_targetILNS1_3genE10ELNS1_11target_archE1200ELNS1_3gpuE4ELNS1_3repE0EEENS1_30default_config_static_selectorELNS0_4arch9wavefront6targetE0EEEvS11_: ; @_ZN7rocprim17ROCPRIM_400000_NS6detail17trampoline_kernelINS0_14default_configENS1_21merge_config_selectorINS0_5tupleIJjjEEENS0_10empty_typeEEEZNS1_10merge_implIS3_NS0_12zip_iteratorINS5_IJN6thrust23THRUST_200600_302600_NS6detail15normal_iteratorINSC_10device_ptrIKjEEEESI_EEEEESK_NSA_INS5_IJNSC_16discard_iteratorINSC_11use_defaultEEESN_EEEEEPS7_SQ_SQ_NSC_11hip_rocprim7__merge17predicate_wrapperIjjNSC_4lessIjEEEEEE10hipError_tPvRmT0_T1_T2_T3_T4_T5_mmT6_P12ihipStream_tbEUlT_E_NS1_11comp_targetILNS1_3genE10ELNS1_11target_archE1200ELNS1_3gpuE4ELNS1_3repE0EEENS1_30default_config_static_selectorELNS0_4arch9wavefront6targetE0EEEvS11_
; %bb.0:
	.section	.rodata,"a",@progbits
	.p2align	6, 0x0
	.amdhsa_kernel _ZN7rocprim17ROCPRIM_400000_NS6detail17trampoline_kernelINS0_14default_configENS1_21merge_config_selectorINS0_5tupleIJjjEEENS0_10empty_typeEEEZNS1_10merge_implIS3_NS0_12zip_iteratorINS5_IJN6thrust23THRUST_200600_302600_NS6detail15normal_iteratorINSC_10device_ptrIKjEEEESI_EEEEESK_NSA_INS5_IJNSC_16discard_iteratorINSC_11use_defaultEEESN_EEEEEPS7_SQ_SQ_NSC_11hip_rocprim7__merge17predicate_wrapperIjjNSC_4lessIjEEEEEE10hipError_tPvRmT0_T1_T2_T3_T4_T5_mmT6_P12ihipStream_tbEUlT_E_NS1_11comp_targetILNS1_3genE10ELNS1_11target_archE1200ELNS1_3gpuE4ELNS1_3repE0EEENS1_30default_config_static_selectorELNS0_4arch9wavefront6targetE0EEEvS11_
		.amdhsa_group_segment_fixed_size 0
		.amdhsa_private_segment_fixed_size 0
		.amdhsa_kernarg_size 64
		.amdhsa_user_sgpr_count 6
		.amdhsa_user_sgpr_private_segment_buffer 1
		.amdhsa_user_sgpr_dispatch_ptr 0
		.amdhsa_user_sgpr_queue_ptr 0
		.amdhsa_user_sgpr_kernarg_segment_ptr 1
		.amdhsa_user_sgpr_dispatch_id 0
		.amdhsa_user_sgpr_flat_scratch_init 0
		.amdhsa_user_sgpr_private_segment_size 0
		.amdhsa_wavefront_size32 1
		.amdhsa_uses_dynamic_stack 0
		.amdhsa_system_sgpr_private_segment_wavefront_offset 0
		.amdhsa_system_sgpr_workgroup_id_x 1
		.amdhsa_system_sgpr_workgroup_id_y 0
		.amdhsa_system_sgpr_workgroup_id_z 0
		.amdhsa_system_sgpr_workgroup_info 0
		.amdhsa_system_vgpr_workitem_id 0
		.amdhsa_next_free_vgpr 1
		.amdhsa_next_free_sgpr 1
		.amdhsa_reserve_vcc 0
		.amdhsa_reserve_flat_scratch 0
		.amdhsa_float_round_mode_32 0
		.amdhsa_float_round_mode_16_64 0
		.amdhsa_float_denorm_mode_32 3
		.amdhsa_float_denorm_mode_16_64 3
		.amdhsa_dx10_clamp 1
		.amdhsa_ieee_mode 1
		.amdhsa_fp16_overflow 0
		.amdhsa_workgroup_processor_mode 1
		.amdhsa_memory_ordered 1
		.amdhsa_forward_progress 1
		.amdhsa_shared_vgpr_count 0
		.amdhsa_exception_fp_ieee_invalid_op 0
		.amdhsa_exception_fp_denorm_src 0
		.amdhsa_exception_fp_ieee_div_zero 0
		.amdhsa_exception_fp_ieee_overflow 0
		.amdhsa_exception_fp_ieee_underflow 0
		.amdhsa_exception_fp_ieee_inexact 0
		.amdhsa_exception_int_div_zero 0
	.end_amdhsa_kernel
	.section	.text._ZN7rocprim17ROCPRIM_400000_NS6detail17trampoline_kernelINS0_14default_configENS1_21merge_config_selectorINS0_5tupleIJjjEEENS0_10empty_typeEEEZNS1_10merge_implIS3_NS0_12zip_iteratorINS5_IJN6thrust23THRUST_200600_302600_NS6detail15normal_iteratorINSC_10device_ptrIKjEEEESI_EEEEESK_NSA_INS5_IJNSC_16discard_iteratorINSC_11use_defaultEEESN_EEEEEPS7_SQ_SQ_NSC_11hip_rocprim7__merge17predicate_wrapperIjjNSC_4lessIjEEEEEE10hipError_tPvRmT0_T1_T2_T3_T4_T5_mmT6_P12ihipStream_tbEUlT_E_NS1_11comp_targetILNS1_3genE10ELNS1_11target_archE1200ELNS1_3gpuE4ELNS1_3repE0EEENS1_30default_config_static_selectorELNS0_4arch9wavefront6targetE0EEEvS11_,"axG",@progbits,_ZN7rocprim17ROCPRIM_400000_NS6detail17trampoline_kernelINS0_14default_configENS1_21merge_config_selectorINS0_5tupleIJjjEEENS0_10empty_typeEEEZNS1_10merge_implIS3_NS0_12zip_iteratorINS5_IJN6thrust23THRUST_200600_302600_NS6detail15normal_iteratorINSC_10device_ptrIKjEEEESI_EEEEESK_NSA_INS5_IJNSC_16discard_iteratorINSC_11use_defaultEEESN_EEEEEPS7_SQ_SQ_NSC_11hip_rocprim7__merge17predicate_wrapperIjjNSC_4lessIjEEEEEE10hipError_tPvRmT0_T1_T2_T3_T4_T5_mmT6_P12ihipStream_tbEUlT_E_NS1_11comp_targetILNS1_3genE10ELNS1_11target_archE1200ELNS1_3gpuE4ELNS1_3repE0EEENS1_30default_config_static_selectorELNS0_4arch9wavefront6targetE0EEEvS11_,comdat
.Lfunc_end539:
	.size	_ZN7rocprim17ROCPRIM_400000_NS6detail17trampoline_kernelINS0_14default_configENS1_21merge_config_selectorINS0_5tupleIJjjEEENS0_10empty_typeEEEZNS1_10merge_implIS3_NS0_12zip_iteratorINS5_IJN6thrust23THRUST_200600_302600_NS6detail15normal_iteratorINSC_10device_ptrIKjEEEESI_EEEEESK_NSA_INS5_IJNSC_16discard_iteratorINSC_11use_defaultEEESN_EEEEEPS7_SQ_SQ_NSC_11hip_rocprim7__merge17predicate_wrapperIjjNSC_4lessIjEEEEEE10hipError_tPvRmT0_T1_T2_T3_T4_T5_mmT6_P12ihipStream_tbEUlT_E_NS1_11comp_targetILNS1_3genE10ELNS1_11target_archE1200ELNS1_3gpuE4ELNS1_3repE0EEENS1_30default_config_static_selectorELNS0_4arch9wavefront6targetE0EEEvS11_, .Lfunc_end539-_ZN7rocprim17ROCPRIM_400000_NS6detail17trampoline_kernelINS0_14default_configENS1_21merge_config_selectorINS0_5tupleIJjjEEENS0_10empty_typeEEEZNS1_10merge_implIS3_NS0_12zip_iteratorINS5_IJN6thrust23THRUST_200600_302600_NS6detail15normal_iteratorINSC_10device_ptrIKjEEEESI_EEEEESK_NSA_INS5_IJNSC_16discard_iteratorINSC_11use_defaultEEESN_EEEEEPS7_SQ_SQ_NSC_11hip_rocprim7__merge17predicate_wrapperIjjNSC_4lessIjEEEEEE10hipError_tPvRmT0_T1_T2_T3_T4_T5_mmT6_P12ihipStream_tbEUlT_E_NS1_11comp_targetILNS1_3genE10ELNS1_11target_archE1200ELNS1_3gpuE4ELNS1_3repE0EEENS1_30default_config_static_selectorELNS0_4arch9wavefront6targetE0EEEvS11_
                                        ; -- End function
	.set _ZN7rocprim17ROCPRIM_400000_NS6detail17trampoline_kernelINS0_14default_configENS1_21merge_config_selectorINS0_5tupleIJjjEEENS0_10empty_typeEEEZNS1_10merge_implIS3_NS0_12zip_iteratorINS5_IJN6thrust23THRUST_200600_302600_NS6detail15normal_iteratorINSC_10device_ptrIKjEEEESI_EEEEESK_NSA_INS5_IJNSC_16discard_iteratorINSC_11use_defaultEEESN_EEEEEPS7_SQ_SQ_NSC_11hip_rocprim7__merge17predicate_wrapperIjjNSC_4lessIjEEEEEE10hipError_tPvRmT0_T1_T2_T3_T4_T5_mmT6_P12ihipStream_tbEUlT_E_NS1_11comp_targetILNS1_3genE10ELNS1_11target_archE1200ELNS1_3gpuE4ELNS1_3repE0EEENS1_30default_config_static_selectorELNS0_4arch9wavefront6targetE0EEEvS11_.num_vgpr, 0
	.set _ZN7rocprim17ROCPRIM_400000_NS6detail17trampoline_kernelINS0_14default_configENS1_21merge_config_selectorINS0_5tupleIJjjEEENS0_10empty_typeEEEZNS1_10merge_implIS3_NS0_12zip_iteratorINS5_IJN6thrust23THRUST_200600_302600_NS6detail15normal_iteratorINSC_10device_ptrIKjEEEESI_EEEEESK_NSA_INS5_IJNSC_16discard_iteratorINSC_11use_defaultEEESN_EEEEEPS7_SQ_SQ_NSC_11hip_rocprim7__merge17predicate_wrapperIjjNSC_4lessIjEEEEEE10hipError_tPvRmT0_T1_T2_T3_T4_T5_mmT6_P12ihipStream_tbEUlT_E_NS1_11comp_targetILNS1_3genE10ELNS1_11target_archE1200ELNS1_3gpuE4ELNS1_3repE0EEENS1_30default_config_static_selectorELNS0_4arch9wavefront6targetE0EEEvS11_.num_agpr, 0
	.set _ZN7rocprim17ROCPRIM_400000_NS6detail17trampoline_kernelINS0_14default_configENS1_21merge_config_selectorINS0_5tupleIJjjEEENS0_10empty_typeEEEZNS1_10merge_implIS3_NS0_12zip_iteratorINS5_IJN6thrust23THRUST_200600_302600_NS6detail15normal_iteratorINSC_10device_ptrIKjEEEESI_EEEEESK_NSA_INS5_IJNSC_16discard_iteratorINSC_11use_defaultEEESN_EEEEEPS7_SQ_SQ_NSC_11hip_rocprim7__merge17predicate_wrapperIjjNSC_4lessIjEEEEEE10hipError_tPvRmT0_T1_T2_T3_T4_T5_mmT6_P12ihipStream_tbEUlT_E_NS1_11comp_targetILNS1_3genE10ELNS1_11target_archE1200ELNS1_3gpuE4ELNS1_3repE0EEENS1_30default_config_static_selectorELNS0_4arch9wavefront6targetE0EEEvS11_.numbered_sgpr, 0
	.set _ZN7rocprim17ROCPRIM_400000_NS6detail17trampoline_kernelINS0_14default_configENS1_21merge_config_selectorINS0_5tupleIJjjEEENS0_10empty_typeEEEZNS1_10merge_implIS3_NS0_12zip_iteratorINS5_IJN6thrust23THRUST_200600_302600_NS6detail15normal_iteratorINSC_10device_ptrIKjEEEESI_EEEEESK_NSA_INS5_IJNSC_16discard_iteratorINSC_11use_defaultEEESN_EEEEEPS7_SQ_SQ_NSC_11hip_rocprim7__merge17predicate_wrapperIjjNSC_4lessIjEEEEEE10hipError_tPvRmT0_T1_T2_T3_T4_T5_mmT6_P12ihipStream_tbEUlT_E_NS1_11comp_targetILNS1_3genE10ELNS1_11target_archE1200ELNS1_3gpuE4ELNS1_3repE0EEENS1_30default_config_static_selectorELNS0_4arch9wavefront6targetE0EEEvS11_.num_named_barrier, 0
	.set _ZN7rocprim17ROCPRIM_400000_NS6detail17trampoline_kernelINS0_14default_configENS1_21merge_config_selectorINS0_5tupleIJjjEEENS0_10empty_typeEEEZNS1_10merge_implIS3_NS0_12zip_iteratorINS5_IJN6thrust23THRUST_200600_302600_NS6detail15normal_iteratorINSC_10device_ptrIKjEEEESI_EEEEESK_NSA_INS5_IJNSC_16discard_iteratorINSC_11use_defaultEEESN_EEEEEPS7_SQ_SQ_NSC_11hip_rocprim7__merge17predicate_wrapperIjjNSC_4lessIjEEEEEE10hipError_tPvRmT0_T1_T2_T3_T4_T5_mmT6_P12ihipStream_tbEUlT_E_NS1_11comp_targetILNS1_3genE10ELNS1_11target_archE1200ELNS1_3gpuE4ELNS1_3repE0EEENS1_30default_config_static_selectorELNS0_4arch9wavefront6targetE0EEEvS11_.private_seg_size, 0
	.set _ZN7rocprim17ROCPRIM_400000_NS6detail17trampoline_kernelINS0_14default_configENS1_21merge_config_selectorINS0_5tupleIJjjEEENS0_10empty_typeEEEZNS1_10merge_implIS3_NS0_12zip_iteratorINS5_IJN6thrust23THRUST_200600_302600_NS6detail15normal_iteratorINSC_10device_ptrIKjEEEESI_EEEEESK_NSA_INS5_IJNSC_16discard_iteratorINSC_11use_defaultEEESN_EEEEEPS7_SQ_SQ_NSC_11hip_rocprim7__merge17predicate_wrapperIjjNSC_4lessIjEEEEEE10hipError_tPvRmT0_T1_T2_T3_T4_T5_mmT6_P12ihipStream_tbEUlT_E_NS1_11comp_targetILNS1_3genE10ELNS1_11target_archE1200ELNS1_3gpuE4ELNS1_3repE0EEENS1_30default_config_static_selectorELNS0_4arch9wavefront6targetE0EEEvS11_.uses_vcc, 0
	.set _ZN7rocprim17ROCPRIM_400000_NS6detail17trampoline_kernelINS0_14default_configENS1_21merge_config_selectorINS0_5tupleIJjjEEENS0_10empty_typeEEEZNS1_10merge_implIS3_NS0_12zip_iteratorINS5_IJN6thrust23THRUST_200600_302600_NS6detail15normal_iteratorINSC_10device_ptrIKjEEEESI_EEEEESK_NSA_INS5_IJNSC_16discard_iteratorINSC_11use_defaultEEESN_EEEEEPS7_SQ_SQ_NSC_11hip_rocprim7__merge17predicate_wrapperIjjNSC_4lessIjEEEEEE10hipError_tPvRmT0_T1_T2_T3_T4_T5_mmT6_P12ihipStream_tbEUlT_E_NS1_11comp_targetILNS1_3genE10ELNS1_11target_archE1200ELNS1_3gpuE4ELNS1_3repE0EEENS1_30default_config_static_selectorELNS0_4arch9wavefront6targetE0EEEvS11_.uses_flat_scratch, 0
	.set _ZN7rocprim17ROCPRIM_400000_NS6detail17trampoline_kernelINS0_14default_configENS1_21merge_config_selectorINS0_5tupleIJjjEEENS0_10empty_typeEEEZNS1_10merge_implIS3_NS0_12zip_iteratorINS5_IJN6thrust23THRUST_200600_302600_NS6detail15normal_iteratorINSC_10device_ptrIKjEEEESI_EEEEESK_NSA_INS5_IJNSC_16discard_iteratorINSC_11use_defaultEEESN_EEEEEPS7_SQ_SQ_NSC_11hip_rocprim7__merge17predicate_wrapperIjjNSC_4lessIjEEEEEE10hipError_tPvRmT0_T1_T2_T3_T4_T5_mmT6_P12ihipStream_tbEUlT_E_NS1_11comp_targetILNS1_3genE10ELNS1_11target_archE1200ELNS1_3gpuE4ELNS1_3repE0EEENS1_30default_config_static_selectorELNS0_4arch9wavefront6targetE0EEEvS11_.has_dyn_sized_stack, 0
	.set _ZN7rocprim17ROCPRIM_400000_NS6detail17trampoline_kernelINS0_14default_configENS1_21merge_config_selectorINS0_5tupleIJjjEEENS0_10empty_typeEEEZNS1_10merge_implIS3_NS0_12zip_iteratorINS5_IJN6thrust23THRUST_200600_302600_NS6detail15normal_iteratorINSC_10device_ptrIKjEEEESI_EEEEESK_NSA_INS5_IJNSC_16discard_iteratorINSC_11use_defaultEEESN_EEEEEPS7_SQ_SQ_NSC_11hip_rocprim7__merge17predicate_wrapperIjjNSC_4lessIjEEEEEE10hipError_tPvRmT0_T1_T2_T3_T4_T5_mmT6_P12ihipStream_tbEUlT_E_NS1_11comp_targetILNS1_3genE10ELNS1_11target_archE1200ELNS1_3gpuE4ELNS1_3repE0EEENS1_30default_config_static_selectorELNS0_4arch9wavefront6targetE0EEEvS11_.has_recursion, 0
	.set _ZN7rocprim17ROCPRIM_400000_NS6detail17trampoline_kernelINS0_14default_configENS1_21merge_config_selectorINS0_5tupleIJjjEEENS0_10empty_typeEEEZNS1_10merge_implIS3_NS0_12zip_iteratorINS5_IJN6thrust23THRUST_200600_302600_NS6detail15normal_iteratorINSC_10device_ptrIKjEEEESI_EEEEESK_NSA_INS5_IJNSC_16discard_iteratorINSC_11use_defaultEEESN_EEEEEPS7_SQ_SQ_NSC_11hip_rocprim7__merge17predicate_wrapperIjjNSC_4lessIjEEEEEE10hipError_tPvRmT0_T1_T2_T3_T4_T5_mmT6_P12ihipStream_tbEUlT_E_NS1_11comp_targetILNS1_3genE10ELNS1_11target_archE1200ELNS1_3gpuE4ELNS1_3repE0EEENS1_30default_config_static_selectorELNS0_4arch9wavefront6targetE0EEEvS11_.has_indirect_call, 0
	.section	.AMDGPU.csdata,"",@progbits
; Kernel info:
; codeLenInByte = 0
; TotalNumSgprs: 0
; NumVgprs: 0
; ScratchSize: 0
; MemoryBound: 0
; FloatMode: 240
; IeeeMode: 1
; LDSByteSize: 0 bytes/workgroup (compile time only)
; SGPRBlocks: 0
; VGPRBlocks: 0
; NumSGPRsForWavesPerEU: 1
; NumVGPRsForWavesPerEU: 1
; Occupancy: 16
; WaveLimiterHint : 0
; COMPUTE_PGM_RSRC2:SCRATCH_EN: 0
; COMPUTE_PGM_RSRC2:USER_SGPR: 6
; COMPUTE_PGM_RSRC2:TRAP_HANDLER: 0
; COMPUTE_PGM_RSRC2:TGID_X_EN: 1
; COMPUTE_PGM_RSRC2:TGID_Y_EN: 0
; COMPUTE_PGM_RSRC2:TGID_Z_EN: 0
; COMPUTE_PGM_RSRC2:TIDIG_COMP_CNT: 0
	.section	.text._ZN7rocprim17ROCPRIM_400000_NS6detail17trampoline_kernelINS0_14default_configENS1_21merge_config_selectorINS0_5tupleIJjjEEENS0_10empty_typeEEEZNS1_10merge_implIS3_NS0_12zip_iteratorINS5_IJN6thrust23THRUST_200600_302600_NS6detail15normal_iteratorINSC_10device_ptrIKjEEEESI_EEEEESK_NSA_INS5_IJNSC_16discard_iteratorINSC_11use_defaultEEESN_EEEEEPS7_SQ_SQ_NSC_11hip_rocprim7__merge17predicate_wrapperIjjNSC_4lessIjEEEEEE10hipError_tPvRmT0_T1_T2_T3_T4_T5_mmT6_P12ihipStream_tbEUlT_E_NS1_11comp_targetILNS1_3genE9ELNS1_11target_archE1100ELNS1_3gpuE3ELNS1_3repE0EEENS1_30default_config_static_selectorELNS0_4arch9wavefront6targetE0EEEvS11_,"axG",@progbits,_ZN7rocprim17ROCPRIM_400000_NS6detail17trampoline_kernelINS0_14default_configENS1_21merge_config_selectorINS0_5tupleIJjjEEENS0_10empty_typeEEEZNS1_10merge_implIS3_NS0_12zip_iteratorINS5_IJN6thrust23THRUST_200600_302600_NS6detail15normal_iteratorINSC_10device_ptrIKjEEEESI_EEEEESK_NSA_INS5_IJNSC_16discard_iteratorINSC_11use_defaultEEESN_EEEEEPS7_SQ_SQ_NSC_11hip_rocprim7__merge17predicate_wrapperIjjNSC_4lessIjEEEEEE10hipError_tPvRmT0_T1_T2_T3_T4_T5_mmT6_P12ihipStream_tbEUlT_E_NS1_11comp_targetILNS1_3genE9ELNS1_11target_archE1100ELNS1_3gpuE3ELNS1_3repE0EEENS1_30default_config_static_selectorELNS0_4arch9wavefront6targetE0EEEvS11_,comdat
	.protected	_ZN7rocprim17ROCPRIM_400000_NS6detail17trampoline_kernelINS0_14default_configENS1_21merge_config_selectorINS0_5tupleIJjjEEENS0_10empty_typeEEEZNS1_10merge_implIS3_NS0_12zip_iteratorINS5_IJN6thrust23THRUST_200600_302600_NS6detail15normal_iteratorINSC_10device_ptrIKjEEEESI_EEEEESK_NSA_INS5_IJNSC_16discard_iteratorINSC_11use_defaultEEESN_EEEEEPS7_SQ_SQ_NSC_11hip_rocprim7__merge17predicate_wrapperIjjNSC_4lessIjEEEEEE10hipError_tPvRmT0_T1_T2_T3_T4_T5_mmT6_P12ihipStream_tbEUlT_E_NS1_11comp_targetILNS1_3genE9ELNS1_11target_archE1100ELNS1_3gpuE3ELNS1_3repE0EEENS1_30default_config_static_selectorELNS0_4arch9wavefront6targetE0EEEvS11_ ; -- Begin function _ZN7rocprim17ROCPRIM_400000_NS6detail17trampoline_kernelINS0_14default_configENS1_21merge_config_selectorINS0_5tupleIJjjEEENS0_10empty_typeEEEZNS1_10merge_implIS3_NS0_12zip_iteratorINS5_IJN6thrust23THRUST_200600_302600_NS6detail15normal_iteratorINSC_10device_ptrIKjEEEESI_EEEEESK_NSA_INS5_IJNSC_16discard_iteratorINSC_11use_defaultEEESN_EEEEEPS7_SQ_SQ_NSC_11hip_rocprim7__merge17predicate_wrapperIjjNSC_4lessIjEEEEEE10hipError_tPvRmT0_T1_T2_T3_T4_T5_mmT6_P12ihipStream_tbEUlT_E_NS1_11comp_targetILNS1_3genE9ELNS1_11target_archE1100ELNS1_3gpuE3ELNS1_3repE0EEENS1_30default_config_static_selectorELNS0_4arch9wavefront6targetE0EEEvS11_
	.globl	_ZN7rocprim17ROCPRIM_400000_NS6detail17trampoline_kernelINS0_14default_configENS1_21merge_config_selectorINS0_5tupleIJjjEEENS0_10empty_typeEEEZNS1_10merge_implIS3_NS0_12zip_iteratorINS5_IJN6thrust23THRUST_200600_302600_NS6detail15normal_iteratorINSC_10device_ptrIKjEEEESI_EEEEESK_NSA_INS5_IJNSC_16discard_iteratorINSC_11use_defaultEEESN_EEEEEPS7_SQ_SQ_NSC_11hip_rocprim7__merge17predicate_wrapperIjjNSC_4lessIjEEEEEE10hipError_tPvRmT0_T1_T2_T3_T4_T5_mmT6_P12ihipStream_tbEUlT_E_NS1_11comp_targetILNS1_3genE9ELNS1_11target_archE1100ELNS1_3gpuE3ELNS1_3repE0EEENS1_30default_config_static_selectorELNS0_4arch9wavefront6targetE0EEEvS11_
	.p2align	8
	.type	_ZN7rocprim17ROCPRIM_400000_NS6detail17trampoline_kernelINS0_14default_configENS1_21merge_config_selectorINS0_5tupleIJjjEEENS0_10empty_typeEEEZNS1_10merge_implIS3_NS0_12zip_iteratorINS5_IJN6thrust23THRUST_200600_302600_NS6detail15normal_iteratorINSC_10device_ptrIKjEEEESI_EEEEESK_NSA_INS5_IJNSC_16discard_iteratorINSC_11use_defaultEEESN_EEEEEPS7_SQ_SQ_NSC_11hip_rocprim7__merge17predicate_wrapperIjjNSC_4lessIjEEEEEE10hipError_tPvRmT0_T1_T2_T3_T4_T5_mmT6_P12ihipStream_tbEUlT_E_NS1_11comp_targetILNS1_3genE9ELNS1_11target_archE1100ELNS1_3gpuE3ELNS1_3repE0EEENS1_30default_config_static_selectorELNS0_4arch9wavefront6targetE0EEEvS11_,@function
_ZN7rocprim17ROCPRIM_400000_NS6detail17trampoline_kernelINS0_14default_configENS1_21merge_config_selectorINS0_5tupleIJjjEEENS0_10empty_typeEEEZNS1_10merge_implIS3_NS0_12zip_iteratorINS5_IJN6thrust23THRUST_200600_302600_NS6detail15normal_iteratorINSC_10device_ptrIKjEEEESI_EEEEESK_NSA_INS5_IJNSC_16discard_iteratorINSC_11use_defaultEEESN_EEEEEPS7_SQ_SQ_NSC_11hip_rocprim7__merge17predicate_wrapperIjjNSC_4lessIjEEEEEE10hipError_tPvRmT0_T1_T2_T3_T4_T5_mmT6_P12ihipStream_tbEUlT_E_NS1_11comp_targetILNS1_3genE9ELNS1_11target_archE1100ELNS1_3gpuE3ELNS1_3repE0EEENS1_30default_config_static_selectorELNS0_4arch9wavefront6targetE0EEEvS11_: ; @_ZN7rocprim17ROCPRIM_400000_NS6detail17trampoline_kernelINS0_14default_configENS1_21merge_config_selectorINS0_5tupleIJjjEEENS0_10empty_typeEEEZNS1_10merge_implIS3_NS0_12zip_iteratorINS5_IJN6thrust23THRUST_200600_302600_NS6detail15normal_iteratorINSC_10device_ptrIKjEEEESI_EEEEESK_NSA_INS5_IJNSC_16discard_iteratorINSC_11use_defaultEEESN_EEEEEPS7_SQ_SQ_NSC_11hip_rocprim7__merge17predicate_wrapperIjjNSC_4lessIjEEEEEE10hipError_tPvRmT0_T1_T2_T3_T4_T5_mmT6_P12ihipStream_tbEUlT_E_NS1_11comp_targetILNS1_3genE9ELNS1_11target_archE1100ELNS1_3gpuE3ELNS1_3repE0EEENS1_30default_config_static_selectorELNS0_4arch9wavefront6targetE0EEEvS11_
; %bb.0:
	.section	.rodata,"a",@progbits
	.p2align	6, 0x0
	.amdhsa_kernel _ZN7rocprim17ROCPRIM_400000_NS6detail17trampoline_kernelINS0_14default_configENS1_21merge_config_selectorINS0_5tupleIJjjEEENS0_10empty_typeEEEZNS1_10merge_implIS3_NS0_12zip_iteratorINS5_IJN6thrust23THRUST_200600_302600_NS6detail15normal_iteratorINSC_10device_ptrIKjEEEESI_EEEEESK_NSA_INS5_IJNSC_16discard_iteratorINSC_11use_defaultEEESN_EEEEEPS7_SQ_SQ_NSC_11hip_rocprim7__merge17predicate_wrapperIjjNSC_4lessIjEEEEEE10hipError_tPvRmT0_T1_T2_T3_T4_T5_mmT6_P12ihipStream_tbEUlT_E_NS1_11comp_targetILNS1_3genE9ELNS1_11target_archE1100ELNS1_3gpuE3ELNS1_3repE0EEENS1_30default_config_static_selectorELNS0_4arch9wavefront6targetE0EEEvS11_
		.amdhsa_group_segment_fixed_size 0
		.amdhsa_private_segment_fixed_size 0
		.amdhsa_kernarg_size 64
		.amdhsa_user_sgpr_count 6
		.amdhsa_user_sgpr_private_segment_buffer 1
		.amdhsa_user_sgpr_dispatch_ptr 0
		.amdhsa_user_sgpr_queue_ptr 0
		.amdhsa_user_sgpr_kernarg_segment_ptr 1
		.amdhsa_user_sgpr_dispatch_id 0
		.amdhsa_user_sgpr_flat_scratch_init 0
		.amdhsa_user_sgpr_private_segment_size 0
		.amdhsa_wavefront_size32 1
		.amdhsa_uses_dynamic_stack 0
		.amdhsa_system_sgpr_private_segment_wavefront_offset 0
		.amdhsa_system_sgpr_workgroup_id_x 1
		.amdhsa_system_sgpr_workgroup_id_y 0
		.amdhsa_system_sgpr_workgroup_id_z 0
		.amdhsa_system_sgpr_workgroup_info 0
		.amdhsa_system_vgpr_workitem_id 0
		.amdhsa_next_free_vgpr 1
		.amdhsa_next_free_sgpr 1
		.amdhsa_reserve_vcc 0
		.amdhsa_reserve_flat_scratch 0
		.amdhsa_float_round_mode_32 0
		.amdhsa_float_round_mode_16_64 0
		.amdhsa_float_denorm_mode_32 3
		.amdhsa_float_denorm_mode_16_64 3
		.amdhsa_dx10_clamp 1
		.amdhsa_ieee_mode 1
		.amdhsa_fp16_overflow 0
		.amdhsa_workgroup_processor_mode 1
		.amdhsa_memory_ordered 1
		.amdhsa_forward_progress 1
		.amdhsa_shared_vgpr_count 0
		.amdhsa_exception_fp_ieee_invalid_op 0
		.amdhsa_exception_fp_denorm_src 0
		.amdhsa_exception_fp_ieee_div_zero 0
		.amdhsa_exception_fp_ieee_overflow 0
		.amdhsa_exception_fp_ieee_underflow 0
		.amdhsa_exception_fp_ieee_inexact 0
		.amdhsa_exception_int_div_zero 0
	.end_amdhsa_kernel
	.section	.text._ZN7rocprim17ROCPRIM_400000_NS6detail17trampoline_kernelINS0_14default_configENS1_21merge_config_selectorINS0_5tupleIJjjEEENS0_10empty_typeEEEZNS1_10merge_implIS3_NS0_12zip_iteratorINS5_IJN6thrust23THRUST_200600_302600_NS6detail15normal_iteratorINSC_10device_ptrIKjEEEESI_EEEEESK_NSA_INS5_IJNSC_16discard_iteratorINSC_11use_defaultEEESN_EEEEEPS7_SQ_SQ_NSC_11hip_rocprim7__merge17predicate_wrapperIjjNSC_4lessIjEEEEEE10hipError_tPvRmT0_T1_T2_T3_T4_T5_mmT6_P12ihipStream_tbEUlT_E_NS1_11comp_targetILNS1_3genE9ELNS1_11target_archE1100ELNS1_3gpuE3ELNS1_3repE0EEENS1_30default_config_static_selectorELNS0_4arch9wavefront6targetE0EEEvS11_,"axG",@progbits,_ZN7rocprim17ROCPRIM_400000_NS6detail17trampoline_kernelINS0_14default_configENS1_21merge_config_selectorINS0_5tupleIJjjEEENS0_10empty_typeEEEZNS1_10merge_implIS3_NS0_12zip_iteratorINS5_IJN6thrust23THRUST_200600_302600_NS6detail15normal_iteratorINSC_10device_ptrIKjEEEESI_EEEEESK_NSA_INS5_IJNSC_16discard_iteratorINSC_11use_defaultEEESN_EEEEEPS7_SQ_SQ_NSC_11hip_rocprim7__merge17predicate_wrapperIjjNSC_4lessIjEEEEEE10hipError_tPvRmT0_T1_T2_T3_T4_T5_mmT6_P12ihipStream_tbEUlT_E_NS1_11comp_targetILNS1_3genE9ELNS1_11target_archE1100ELNS1_3gpuE3ELNS1_3repE0EEENS1_30default_config_static_selectorELNS0_4arch9wavefront6targetE0EEEvS11_,comdat
.Lfunc_end540:
	.size	_ZN7rocprim17ROCPRIM_400000_NS6detail17trampoline_kernelINS0_14default_configENS1_21merge_config_selectorINS0_5tupleIJjjEEENS0_10empty_typeEEEZNS1_10merge_implIS3_NS0_12zip_iteratorINS5_IJN6thrust23THRUST_200600_302600_NS6detail15normal_iteratorINSC_10device_ptrIKjEEEESI_EEEEESK_NSA_INS5_IJNSC_16discard_iteratorINSC_11use_defaultEEESN_EEEEEPS7_SQ_SQ_NSC_11hip_rocprim7__merge17predicate_wrapperIjjNSC_4lessIjEEEEEE10hipError_tPvRmT0_T1_T2_T3_T4_T5_mmT6_P12ihipStream_tbEUlT_E_NS1_11comp_targetILNS1_3genE9ELNS1_11target_archE1100ELNS1_3gpuE3ELNS1_3repE0EEENS1_30default_config_static_selectorELNS0_4arch9wavefront6targetE0EEEvS11_, .Lfunc_end540-_ZN7rocprim17ROCPRIM_400000_NS6detail17trampoline_kernelINS0_14default_configENS1_21merge_config_selectorINS0_5tupleIJjjEEENS0_10empty_typeEEEZNS1_10merge_implIS3_NS0_12zip_iteratorINS5_IJN6thrust23THRUST_200600_302600_NS6detail15normal_iteratorINSC_10device_ptrIKjEEEESI_EEEEESK_NSA_INS5_IJNSC_16discard_iteratorINSC_11use_defaultEEESN_EEEEEPS7_SQ_SQ_NSC_11hip_rocprim7__merge17predicate_wrapperIjjNSC_4lessIjEEEEEE10hipError_tPvRmT0_T1_T2_T3_T4_T5_mmT6_P12ihipStream_tbEUlT_E_NS1_11comp_targetILNS1_3genE9ELNS1_11target_archE1100ELNS1_3gpuE3ELNS1_3repE0EEENS1_30default_config_static_selectorELNS0_4arch9wavefront6targetE0EEEvS11_
                                        ; -- End function
	.set _ZN7rocprim17ROCPRIM_400000_NS6detail17trampoline_kernelINS0_14default_configENS1_21merge_config_selectorINS0_5tupleIJjjEEENS0_10empty_typeEEEZNS1_10merge_implIS3_NS0_12zip_iteratorINS5_IJN6thrust23THRUST_200600_302600_NS6detail15normal_iteratorINSC_10device_ptrIKjEEEESI_EEEEESK_NSA_INS5_IJNSC_16discard_iteratorINSC_11use_defaultEEESN_EEEEEPS7_SQ_SQ_NSC_11hip_rocprim7__merge17predicate_wrapperIjjNSC_4lessIjEEEEEE10hipError_tPvRmT0_T1_T2_T3_T4_T5_mmT6_P12ihipStream_tbEUlT_E_NS1_11comp_targetILNS1_3genE9ELNS1_11target_archE1100ELNS1_3gpuE3ELNS1_3repE0EEENS1_30default_config_static_selectorELNS0_4arch9wavefront6targetE0EEEvS11_.num_vgpr, 0
	.set _ZN7rocprim17ROCPRIM_400000_NS6detail17trampoline_kernelINS0_14default_configENS1_21merge_config_selectorINS0_5tupleIJjjEEENS0_10empty_typeEEEZNS1_10merge_implIS3_NS0_12zip_iteratorINS5_IJN6thrust23THRUST_200600_302600_NS6detail15normal_iteratorINSC_10device_ptrIKjEEEESI_EEEEESK_NSA_INS5_IJNSC_16discard_iteratorINSC_11use_defaultEEESN_EEEEEPS7_SQ_SQ_NSC_11hip_rocprim7__merge17predicate_wrapperIjjNSC_4lessIjEEEEEE10hipError_tPvRmT0_T1_T2_T3_T4_T5_mmT6_P12ihipStream_tbEUlT_E_NS1_11comp_targetILNS1_3genE9ELNS1_11target_archE1100ELNS1_3gpuE3ELNS1_3repE0EEENS1_30default_config_static_selectorELNS0_4arch9wavefront6targetE0EEEvS11_.num_agpr, 0
	.set _ZN7rocprim17ROCPRIM_400000_NS6detail17trampoline_kernelINS0_14default_configENS1_21merge_config_selectorINS0_5tupleIJjjEEENS0_10empty_typeEEEZNS1_10merge_implIS3_NS0_12zip_iteratorINS5_IJN6thrust23THRUST_200600_302600_NS6detail15normal_iteratorINSC_10device_ptrIKjEEEESI_EEEEESK_NSA_INS5_IJNSC_16discard_iteratorINSC_11use_defaultEEESN_EEEEEPS7_SQ_SQ_NSC_11hip_rocprim7__merge17predicate_wrapperIjjNSC_4lessIjEEEEEE10hipError_tPvRmT0_T1_T2_T3_T4_T5_mmT6_P12ihipStream_tbEUlT_E_NS1_11comp_targetILNS1_3genE9ELNS1_11target_archE1100ELNS1_3gpuE3ELNS1_3repE0EEENS1_30default_config_static_selectorELNS0_4arch9wavefront6targetE0EEEvS11_.numbered_sgpr, 0
	.set _ZN7rocprim17ROCPRIM_400000_NS6detail17trampoline_kernelINS0_14default_configENS1_21merge_config_selectorINS0_5tupleIJjjEEENS0_10empty_typeEEEZNS1_10merge_implIS3_NS0_12zip_iteratorINS5_IJN6thrust23THRUST_200600_302600_NS6detail15normal_iteratorINSC_10device_ptrIKjEEEESI_EEEEESK_NSA_INS5_IJNSC_16discard_iteratorINSC_11use_defaultEEESN_EEEEEPS7_SQ_SQ_NSC_11hip_rocprim7__merge17predicate_wrapperIjjNSC_4lessIjEEEEEE10hipError_tPvRmT0_T1_T2_T3_T4_T5_mmT6_P12ihipStream_tbEUlT_E_NS1_11comp_targetILNS1_3genE9ELNS1_11target_archE1100ELNS1_3gpuE3ELNS1_3repE0EEENS1_30default_config_static_selectorELNS0_4arch9wavefront6targetE0EEEvS11_.num_named_barrier, 0
	.set _ZN7rocprim17ROCPRIM_400000_NS6detail17trampoline_kernelINS0_14default_configENS1_21merge_config_selectorINS0_5tupleIJjjEEENS0_10empty_typeEEEZNS1_10merge_implIS3_NS0_12zip_iteratorINS5_IJN6thrust23THRUST_200600_302600_NS6detail15normal_iteratorINSC_10device_ptrIKjEEEESI_EEEEESK_NSA_INS5_IJNSC_16discard_iteratorINSC_11use_defaultEEESN_EEEEEPS7_SQ_SQ_NSC_11hip_rocprim7__merge17predicate_wrapperIjjNSC_4lessIjEEEEEE10hipError_tPvRmT0_T1_T2_T3_T4_T5_mmT6_P12ihipStream_tbEUlT_E_NS1_11comp_targetILNS1_3genE9ELNS1_11target_archE1100ELNS1_3gpuE3ELNS1_3repE0EEENS1_30default_config_static_selectorELNS0_4arch9wavefront6targetE0EEEvS11_.private_seg_size, 0
	.set _ZN7rocprim17ROCPRIM_400000_NS6detail17trampoline_kernelINS0_14default_configENS1_21merge_config_selectorINS0_5tupleIJjjEEENS0_10empty_typeEEEZNS1_10merge_implIS3_NS0_12zip_iteratorINS5_IJN6thrust23THRUST_200600_302600_NS6detail15normal_iteratorINSC_10device_ptrIKjEEEESI_EEEEESK_NSA_INS5_IJNSC_16discard_iteratorINSC_11use_defaultEEESN_EEEEEPS7_SQ_SQ_NSC_11hip_rocprim7__merge17predicate_wrapperIjjNSC_4lessIjEEEEEE10hipError_tPvRmT0_T1_T2_T3_T4_T5_mmT6_P12ihipStream_tbEUlT_E_NS1_11comp_targetILNS1_3genE9ELNS1_11target_archE1100ELNS1_3gpuE3ELNS1_3repE0EEENS1_30default_config_static_selectorELNS0_4arch9wavefront6targetE0EEEvS11_.uses_vcc, 0
	.set _ZN7rocprim17ROCPRIM_400000_NS6detail17trampoline_kernelINS0_14default_configENS1_21merge_config_selectorINS0_5tupleIJjjEEENS0_10empty_typeEEEZNS1_10merge_implIS3_NS0_12zip_iteratorINS5_IJN6thrust23THRUST_200600_302600_NS6detail15normal_iteratorINSC_10device_ptrIKjEEEESI_EEEEESK_NSA_INS5_IJNSC_16discard_iteratorINSC_11use_defaultEEESN_EEEEEPS7_SQ_SQ_NSC_11hip_rocprim7__merge17predicate_wrapperIjjNSC_4lessIjEEEEEE10hipError_tPvRmT0_T1_T2_T3_T4_T5_mmT6_P12ihipStream_tbEUlT_E_NS1_11comp_targetILNS1_3genE9ELNS1_11target_archE1100ELNS1_3gpuE3ELNS1_3repE0EEENS1_30default_config_static_selectorELNS0_4arch9wavefront6targetE0EEEvS11_.uses_flat_scratch, 0
	.set _ZN7rocprim17ROCPRIM_400000_NS6detail17trampoline_kernelINS0_14default_configENS1_21merge_config_selectorINS0_5tupleIJjjEEENS0_10empty_typeEEEZNS1_10merge_implIS3_NS0_12zip_iteratorINS5_IJN6thrust23THRUST_200600_302600_NS6detail15normal_iteratorINSC_10device_ptrIKjEEEESI_EEEEESK_NSA_INS5_IJNSC_16discard_iteratorINSC_11use_defaultEEESN_EEEEEPS7_SQ_SQ_NSC_11hip_rocprim7__merge17predicate_wrapperIjjNSC_4lessIjEEEEEE10hipError_tPvRmT0_T1_T2_T3_T4_T5_mmT6_P12ihipStream_tbEUlT_E_NS1_11comp_targetILNS1_3genE9ELNS1_11target_archE1100ELNS1_3gpuE3ELNS1_3repE0EEENS1_30default_config_static_selectorELNS0_4arch9wavefront6targetE0EEEvS11_.has_dyn_sized_stack, 0
	.set _ZN7rocprim17ROCPRIM_400000_NS6detail17trampoline_kernelINS0_14default_configENS1_21merge_config_selectorINS0_5tupleIJjjEEENS0_10empty_typeEEEZNS1_10merge_implIS3_NS0_12zip_iteratorINS5_IJN6thrust23THRUST_200600_302600_NS6detail15normal_iteratorINSC_10device_ptrIKjEEEESI_EEEEESK_NSA_INS5_IJNSC_16discard_iteratorINSC_11use_defaultEEESN_EEEEEPS7_SQ_SQ_NSC_11hip_rocprim7__merge17predicate_wrapperIjjNSC_4lessIjEEEEEE10hipError_tPvRmT0_T1_T2_T3_T4_T5_mmT6_P12ihipStream_tbEUlT_E_NS1_11comp_targetILNS1_3genE9ELNS1_11target_archE1100ELNS1_3gpuE3ELNS1_3repE0EEENS1_30default_config_static_selectorELNS0_4arch9wavefront6targetE0EEEvS11_.has_recursion, 0
	.set _ZN7rocprim17ROCPRIM_400000_NS6detail17trampoline_kernelINS0_14default_configENS1_21merge_config_selectorINS0_5tupleIJjjEEENS0_10empty_typeEEEZNS1_10merge_implIS3_NS0_12zip_iteratorINS5_IJN6thrust23THRUST_200600_302600_NS6detail15normal_iteratorINSC_10device_ptrIKjEEEESI_EEEEESK_NSA_INS5_IJNSC_16discard_iteratorINSC_11use_defaultEEESN_EEEEEPS7_SQ_SQ_NSC_11hip_rocprim7__merge17predicate_wrapperIjjNSC_4lessIjEEEEEE10hipError_tPvRmT0_T1_T2_T3_T4_T5_mmT6_P12ihipStream_tbEUlT_E_NS1_11comp_targetILNS1_3genE9ELNS1_11target_archE1100ELNS1_3gpuE3ELNS1_3repE0EEENS1_30default_config_static_selectorELNS0_4arch9wavefront6targetE0EEEvS11_.has_indirect_call, 0
	.section	.AMDGPU.csdata,"",@progbits
; Kernel info:
; codeLenInByte = 0
; TotalNumSgprs: 0
; NumVgprs: 0
; ScratchSize: 0
; MemoryBound: 0
; FloatMode: 240
; IeeeMode: 1
; LDSByteSize: 0 bytes/workgroup (compile time only)
; SGPRBlocks: 0
; VGPRBlocks: 0
; NumSGPRsForWavesPerEU: 1
; NumVGPRsForWavesPerEU: 1
; Occupancy: 16
; WaveLimiterHint : 0
; COMPUTE_PGM_RSRC2:SCRATCH_EN: 0
; COMPUTE_PGM_RSRC2:USER_SGPR: 6
; COMPUTE_PGM_RSRC2:TRAP_HANDLER: 0
; COMPUTE_PGM_RSRC2:TGID_X_EN: 1
; COMPUTE_PGM_RSRC2:TGID_Y_EN: 0
; COMPUTE_PGM_RSRC2:TGID_Z_EN: 0
; COMPUTE_PGM_RSRC2:TIDIG_COMP_CNT: 0
	.section	.text._ZN7rocprim17ROCPRIM_400000_NS6detail17trampoline_kernelINS0_14default_configENS1_21merge_config_selectorINS0_5tupleIJjjEEENS0_10empty_typeEEEZNS1_10merge_implIS3_NS0_12zip_iteratorINS5_IJN6thrust23THRUST_200600_302600_NS6detail15normal_iteratorINSC_10device_ptrIKjEEEESI_EEEEESK_NSA_INS5_IJNSC_16discard_iteratorINSC_11use_defaultEEESN_EEEEEPS7_SQ_SQ_NSC_11hip_rocprim7__merge17predicate_wrapperIjjNSC_4lessIjEEEEEE10hipError_tPvRmT0_T1_T2_T3_T4_T5_mmT6_P12ihipStream_tbEUlT_E_NS1_11comp_targetILNS1_3genE8ELNS1_11target_archE1030ELNS1_3gpuE2ELNS1_3repE0EEENS1_30default_config_static_selectorELNS0_4arch9wavefront6targetE0EEEvS11_,"axG",@progbits,_ZN7rocprim17ROCPRIM_400000_NS6detail17trampoline_kernelINS0_14default_configENS1_21merge_config_selectorINS0_5tupleIJjjEEENS0_10empty_typeEEEZNS1_10merge_implIS3_NS0_12zip_iteratorINS5_IJN6thrust23THRUST_200600_302600_NS6detail15normal_iteratorINSC_10device_ptrIKjEEEESI_EEEEESK_NSA_INS5_IJNSC_16discard_iteratorINSC_11use_defaultEEESN_EEEEEPS7_SQ_SQ_NSC_11hip_rocprim7__merge17predicate_wrapperIjjNSC_4lessIjEEEEEE10hipError_tPvRmT0_T1_T2_T3_T4_T5_mmT6_P12ihipStream_tbEUlT_E_NS1_11comp_targetILNS1_3genE8ELNS1_11target_archE1030ELNS1_3gpuE2ELNS1_3repE0EEENS1_30default_config_static_selectorELNS0_4arch9wavefront6targetE0EEEvS11_,comdat
	.protected	_ZN7rocprim17ROCPRIM_400000_NS6detail17trampoline_kernelINS0_14default_configENS1_21merge_config_selectorINS0_5tupleIJjjEEENS0_10empty_typeEEEZNS1_10merge_implIS3_NS0_12zip_iteratorINS5_IJN6thrust23THRUST_200600_302600_NS6detail15normal_iteratorINSC_10device_ptrIKjEEEESI_EEEEESK_NSA_INS5_IJNSC_16discard_iteratorINSC_11use_defaultEEESN_EEEEEPS7_SQ_SQ_NSC_11hip_rocprim7__merge17predicate_wrapperIjjNSC_4lessIjEEEEEE10hipError_tPvRmT0_T1_T2_T3_T4_T5_mmT6_P12ihipStream_tbEUlT_E_NS1_11comp_targetILNS1_3genE8ELNS1_11target_archE1030ELNS1_3gpuE2ELNS1_3repE0EEENS1_30default_config_static_selectorELNS0_4arch9wavefront6targetE0EEEvS11_ ; -- Begin function _ZN7rocprim17ROCPRIM_400000_NS6detail17trampoline_kernelINS0_14default_configENS1_21merge_config_selectorINS0_5tupleIJjjEEENS0_10empty_typeEEEZNS1_10merge_implIS3_NS0_12zip_iteratorINS5_IJN6thrust23THRUST_200600_302600_NS6detail15normal_iteratorINSC_10device_ptrIKjEEEESI_EEEEESK_NSA_INS5_IJNSC_16discard_iteratorINSC_11use_defaultEEESN_EEEEEPS7_SQ_SQ_NSC_11hip_rocprim7__merge17predicate_wrapperIjjNSC_4lessIjEEEEEE10hipError_tPvRmT0_T1_T2_T3_T4_T5_mmT6_P12ihipStream_tbEUlT_E_NS1_11comp_targetILNS1_3genE8ELNS1_11target_archE1030ELNS1_3gpuE2ELNS1_3repE0EEENS1_30default_config_static_selectorELNS0_4arch9wavefront6targetE0EEEvS11_
	.globl	_ZN7rocprim17ROCPRIM_400000_NS6detail17trampoline_kernelINS0_14default_configENS1_21merge_config_selectorINS0_5tupleIJjjEEENS0_10empty_typeEEEZNS1_10merge_implIS3_NS0_12zip_iteratorINS5_IJN6thrust23THRUST_200600_302600_NS6detail15normal_iteratorINSC_10device_ptrIKjEEEESI_EEEEESK_NSA_INS5_IJNSC_16discard_iteratorINSC_11use_defaultEEESN_EEEEEPS7_SQ_SQ_NSC_11hip_rocprim7__merge17predicate_wrapperIjjNSC_4lessIjEEEEEE10hipError_tPvRmT0_T1_T2_T3_T4_T5_mmT6_P12ihipStream_tbEUlT_E_NS1_11comp_targetILNS1_3genE8ELNS1_11target_archE1030ELNS1_3gpuE2ELNS1_3repE0EEENS1_30default_config_static_selectorELNS0_4arch9wavefront6targetE0EEEvS11_
	.p2align	8
	.type	_ZN7rocprim17ROCPRIM_400000_NS6detail17trampoline_kernelINS0_14default_configENS1_21merge_config_selectorINS0_5tupleIJjjEEENS0_10empty_typeEEEZNS1_10merge_implIS3_NS0_12zip_iteratorINS5_IJN6thrust23THRUST_200600_302600_NS6detail15normal_iteratorINSC_10device_ptrIKjEEEESI_EEEEESK_NSA_INS5_IJNSC_16discard_iteratorINSC_11use_defaultEEESN_EEEEEPS7_SQ_SQ_NSC_11hip_rocprim7__merge17predicate_wrapperIjjNSC_4lessIjEEEEEE10hipError_tPvRmT0_T1_T2_T3_T4_T5_mmT6_P12ihipStream_tbEUlT_E_NS1_11comp_targetILNS1_3genE8ELNS1_11target_archE1030ELNS1_3gpuE2ELNS1_3repE0EEENS1_30default_config_static_selectorELNS0_4arch9wavefront6targetE0EEEvS11_,@function
_ZN7rocprim17ROCPRIM_400000_NS6detail17trampoline_kernelINS0_14default_configENS1_21merge_config_selectorINS0_5tupleIJjjEEENS0_10empty_typeEEEZNS1_10merge_implIS3_NS0_12zip_iteratorINS5_IJN6thrust23THRUST_200600_302600_NS6detail15normal_iteratorINSC_10device_ptrIKjEEEESI_EEEEESK_NSA_INS5_IJNSC_16discard_iteratorINSC_11use_defaultEEESN_EEEEEPS7_SQ_SQ_NSC_11hip_rocprim7__merge17predicate_wrapperIjjNSC_4lessIjEEEEEE10hipError_tPvRmT0_T1_T2_T3_T4_T5_mmT6_P12ihipStream_tbEUlT_E_NS1_11comp_targetILNS1_3genE8ELNS1_11target_archE1030ELNS1_3gpuE2ELNS1_3repE0EEENS1_30default_config_static_selectorELNS0_4arch9wavefront6targetE0EEEvS11_: ; @_ZN7rocprim17ROCPRIM_400000_NS6detail17trampoline_kernelINS0_14default_configENS1_21merge_config_selectorINS0_5tupleIJjjEEENS0_10empty_typeEEEZNS1_10merge_implIS3_NS0_12zip_iteratorINS5_IJN6thrust23THRUST_200600_302600_NS6detail15normal_iteratorINSC_10device_ptrIKjEEEESI_EEEEESK_NSA_INS5_IJNSC_16discard_iteratorINSC_11use_defaultEEESN_EEEEEPS7_SQ_SQ_NSC_11hip_rocprim7__merge17predicate_wrapperIjjNSC_4lessIjEEEEEE10hipError_tPvRmT0_T1_T2_T3_T4_T5_mmT6_P12ihipStream_tbEUlT_E_NS1_11comp_targetILNS1_3genE8ELNS1_11target_archE1030ELNS1_3gpuE2ELNS1_3repE0EEENS1_30default_config_static_selectorELNS0_4arch9wavefront6targetE0EEEvS11_
; %bb.0:
	s_clause 0x2
	s_load_dword s2, s[4:5], 0x38
	s_load_dword s0, s[4:5], 0x4c
	s_load_dwordx4 s[12:15], s[4:5], 0x28
	s_waitcnt lgkmcnt(0)
	v_cvt_f32_u32_e32 v1, s2
	s_and_b32 s3, s0, 0xffff
	s_add_u32 s0, s14, s12
	s_addc_u32 s1, s15, s13
	s_sub_i32 s8, 0, s2
	v_rcp_iflag_f32_e32 v1, v1
	s_add_i32 s9, s2, s0
	s_add_i32 s9, s9, -1
	v_mul_f32_e32 v1, 0x4f7ffffe, v1
	v_cvt_u32_f32_e32 v1, v1
	v_readfirstlane_b32 s7, v1
	v_mad_u64_u32 v[0:1], null, s6, s3, v[0:1]
	s_mul_i32 s8, s8, s7
	s_mul_hi_u32 s8, s7, s8
	s_add_i32 s7, s7, s8
	s_mul_hi_u32 s7, s9, s7
	s_mul_i32 s8, s7, s2
	s_sub_i32 s8, s9, s8
	s_add_i32 s9, s7, 1
	s_sub_i32 s10, s8, s2
	s_cmp_ge_u32 s8, s2
	s_cselect_b32 s3, s9, s7
	s_cselect_b32 s6, s10, s8
	s_add_i32 s7, s3, 1
	s_cmp_ge_u32 s6, s2
	s_cselect_b32 s3, s7, s3
	v_cmp_ge_u32_e32 vcc_lo, s3, v0
	s_and_saveexec_b32 s3, vcc_lo
	s_cbranch_execz .LBB541_6
; %bb.1:
	v_mul_lo_u32 v1, v0, s2
	v_mov_b32_e32 v2, 0
	s_load_dwordx4 s[8:11], s[4:5], 0x0
	v_cmp_gt_u64_e32 vcc_lo, s[0:1], v[1:2]
	v_cndmask_b32_e32 v6, s0, v1, vcc_lo
	v_cndmask_b32_e64 v7, s1, 0, vcc_lo
	v_sub_co_u32 v1, vcc_lo, v6, s14
	v_subrev_co_ci_u32_e64 v2, null, s15, v7, vcc_lo
	v_cmp_gt_u64_e64 s0, s[12:13], v[6:7]
	v_cmp_gt_u64_e32 vcc_lo, v[1:2], v[6:7]
	v_cndmask_b32_e64 v5, s13, v7, s0
	v_cndmask_b32_e64 v4, s12, v6, s0
	s_mov_b32 s0, exec_lo
	v_cndmask_b32_e64 v3, v2, 0, vcc_lo
	v_cndmask_b32_e64 v2, v1, 0, vcc_lo
	v_cmpx_lt_u64_e64 v[2:3], v[4:5]
	s_cbranch_execz .LBB541_5
; %bb.2:
	s_load_dwordx2 s[2:3], s[4:5], 0x18
	v_lshlrev_b64 v[6:7], 2, v[6:7]
	s_mov_b32 s1, 0
	s_waitcnt lgkmcnt(0)
	v_add_co_u32 v1, vcc_lo, s2, v6
	v_add_co_ci_u32_e64 v6, null, s3, v7, vcc_lo
	s_inst_prefetch 0x1
	.p2align	6
.LBB541_3:                              ; =>This Inner Loop Header: Depth=1
	v_add_co_u32 v7, vcc_lo, v4, v2
	v_add_co_ci_u32_e64 v8, null, v5, v3, vcc_lo
	v_lshrrev_b64 v[7:8], 1, v[7:8]
	v_lshlrev_b64 v[9:10], 2, v[7:8]
	v_xor_b32_e32 v11, -4, v9
	v_xor_b32_e32 v12, -1, v10
	v_add_co_u32 v9, vcc_lo, s10, v9
	v_add_co_ci_u32_e64 v10, null, s11, v10, vcc_lo
	v_add_co_u32 v11, vcc_lo, v1, v11
	v_add_co_ci_u32_e64 v12, null, v6, v12, vcc_lo
	global_load_dword v9, v[9:10], off
	global_load_dword v10, v[11:12], off
	v_add_co_u32 v11, vcc_lo, v7, 1
	v_add_co_ci_u32_e64 v12, null, 0, v8, vcc_lo
	s_waitcnt vmcnt(0)
	v_cmp_lt_u32_e32 vcc_lo, v10, v9
	v_cndmask_b32_e32 v5, v5, v8, vcc_lo
	v_cndmask_b32_e32 v4, v4, v7, vcc_lo
	;; [unrolled: 1-line block ×4, first 2 shown]
	v_cmp_ge_u64_e32 vcc_lo, v[2:3], v[4:5]
	s_or_b32 s1, vcc_lo, s1
	s_andn2_b32 exec_lo, exec_lo, s1
	s_cbranch_execnz .LBB541_3
; %bb.4:
	s_inst_prefetch 0x2
	s_or_b32 exec_lo, exec_lo, s1
.LBB541_5:
	s_or_b32 exec_lo, exec_lo, s0
	v_mov_b32_e32 v1, 0
	v_lshlrev_b64 v[0:1], 2, v[0:1]
	s_waitcnt lgkmcnt(0)
	v_add_co_u32 v0, vcc_lo, s8, v0
	v_add_co_ci_u32_e64 v1, null, s9, v1, vcc_lo
	global_store_dword v[0:1], v2, off
.LBB541_6:
	s_endpgm
	.section	.rodata,"a",@progbits
	.p2align	6, 0x0
	.amdhsa_kernel _ZN7rocprim17ROCPRIM_400000_NS6detail17trampoline_kernelINS0_14default_configENS1_21merge_config_selectorINS0_5tupleIJjjEEENS0_10empty_typeEEEZNS1_10merge_implIS3_NS0_12zip_iteratorINS5_IJN6thrust23THRUST_200600_302600_NS6detail15normal_iteratorINSC_10device_ptrIKjEEEESI_EEEEESK_NSA_INS5_IJNSC_16discard_iteratorINSC_11use_defaultEEESN_EEEEEPS7_SQ_SQ_NSC_11hip_rocprim7__merge17predicate_wrapperIjjNSC_4lessIjEEEEEE10hipError_tPvRmT0_T1_T2_T3_T4_T5_mmT6_P12ihipStream_tbEUlT_E_NS1_11comp_targetILNS1_3genE8ELNS1_11target_archE1030ELNS1_3gpuE2ELNS1_3repE0EEENS1_30default_config_static_selectorELNS0_4arch9wavefront6targetE0EEEvS11_
		.amdhsa_group_segment_fixed_size 0
		.amdhsa_private_segment_fixed_size 0
		.amdhsa_kernarg_size 320
		.amdhsa_user_sgpr_count 6
		.amdhsa_user_sgpr_private_segment_buffer 1
		.amdhsa_user_sgpr_dispatch_ptr 0
		.amdhsa_user_sgpr_queue_ptr 0
		.amdhsa_user_sgpr_kernarg_segment_ptr 1
		.amdhsa_user_sgpr_dispatch_id 0
		.amdhsa_user_sgpr_flat_scratch_init 0
		.amdhsa_user_sgpr_private_segment_size 0
		.amdhsa_wavefront_size32 1
		.amdhsa_uses_dynamic_stack 0
		.amdhsa_system_sgpr_private_segment_wavefront_offset 0
		.amdhsa_system_sgpr_workgroup_id_x 1
		.amdhsa_system_sgpr_workgroup_id_y 0
		.amdhsa_system_sgpr_workgroup_id_z 0
		.amdhsa_system_sgpr_workgroup_info 0
		.amdhsa_system_vgpr_workitem_id 0
		.amdhsa_next_free_vgpr 13
		.amdhsa_next_free_sgpr 16
		.amdhsa_reserve_vcc 1
		.amdhsa_reserve_flat_scratch 0
		.amdhsa_float_round_mode_32 0
		.amdhsa_float_round_mode_16_64 0
		.amdhsa_float_denorm_mode_32 3
		.amdhsa_float_denorm_mode_16_64 3
		.amdhsa_dx10_clamp 1
		.amdhsa_ieee_mode 1
		.amdhsa_fp16_overflow 0
		.amdhsa_workgroup_processor_mode 1
		.amdhsa_memory_ordered 1
		.amdhsa_forward_progress 1
		.amdhsa_shared_vgpr_count 0
		.amdhsa_exception_fp_ieee_invalid_op 0
		.amdhsa_exception_fp_denorm_src 0
		.amdhsa_exception_fp_ieee_div_zero 0
		.amdhsa_exception_fp_ieee_overflow 0
		.amdhsa_exception_fp_ieee_underflow 0
		.amdhsa_exception_fp_ieee_inexact 0
		.amdhsa_exception_int_div_zero 0
	.end_amdhsa_kernel
	.section	.text._ZN7rocprim17ROCPRIM_400000_NS6detail17trampoline_kernelINS0_14default_configENS1_21merge_config_selectorINS0_5tupleIJjjEEENS0_10empty_typeEEEZNS1_10merge_implIS3_NS0_12zip_iteratorINS5_IJN6thrust23THRUST_200600_302600_NS6detail15normal_iteratorINSC_10device_ptrIKjEEEESI_EEEEESK_NSA_INS5_IJNSC_16discard_iteratorINSC_11use_defaultEEESN_EEEEEPS7_SQ_SQ_NSC_11hip_rocprim7__merge17predicate_wrapperIjjNSC_4lessIjEEEEEE10hipError_tPvRmT0_T1_T2_T3_T4_T5_mmT6_P12ihipStream_tbEUlT_E_NS1_11comp_targetILNS1_3genE8ELNS1_11target_archE1030ELNS1_3gpuE2ELNS1_3repE0EEENS1_30default_config_static_selectorELNS0_4arch9wavefront6targetE0EEEvS11_,"axG",@progbits,_ZN7rocprim17ROCPRIM_400000_NS6detail17trampoline_kernelINS0_14default_configENS1_21merge_config_selectorINS0_5tupleIJjjEEENS0_10empty_typeEEEZNS1_10merge_implIS3_NS0_12zip_iteratorINS5_IJN6thrust23THRUST_200600_302600_NS6detail15normal_iteratorINSC_10device_ptrIKjEEEESI_EEEEESK_NSA_INS5_IJNSC_16discard_iteratorINSC_11use_defaultEEESN_EEEEEPS7_SQ_SQ_NSC_11hip_rocprim7__merge17predicate_wrapperIjjNSC_4lessIjEEEEEE10hipError_tPvRmT0_T1_T2_T3_T4_T5_mmT6_P12ihipStream_tbEUlT_E_NS1_11comp_targetILNS1_3genE8ELNS1_11target_archE1030ELNS1_3gpuE2ELNS1_3repE0EEENS1_30default_config_static_selectorELNS0_4arch9wavefront6targetE0EEEvS11_,comdat
.Lfunc_end541:
	.size	_ZN7rocprim17ROCPRIM_400000_NS6detail17trampoline_kernelINS0_14default_configENS1_21merge_config_selectorINS0_5tupleIJjjEEENS0_10empty_typeEEEZNS1_10merge_implIS3_NS0_12zip_iteratorINS5_IJN6thrust23THRUST_200600_302600_NS6detail15normal_iteratorINSC_10device_ptrIKjEEEESI_EEEEESK_NSA_INS5_IJNSC_16discard_iteratorINSC_11use_defaultEEESN_EEEEEPS7_SQ_SQ_NSC_11hip_rocprim7__merge17predicate_wrapperIjjNSC_4lessIjEEEEEE10hipError_tPvRmT0_T1_T2_T3_T4_T5_mmT6_P12ihipStream_tbEUlT_E_NS1_11comp_targetILNS1_3genE8ELNS1_11target_archE1030ELNS1_3gpuE2ELNS1_3repE0EEENS1_30default_config_static_selectorELNS0_4arch9wavefront6targetE0EEEvS11_, .Lfunc_end541-_ZN7rocprim17ROCPRIM_400000_NS6detail17trampoline_kernelINS0_14default_configENS1_21merge_config_selectorINS0_5tupleIJjjEEENS0_10empty_typeEEEZNS1_10merge_implIS3_NS0_12zip_iteratorINS5_IJN6thrust23THRUST_200600_302600_NS6detail15normal_iteratorINSC_10device_ptrIKjEEEESI_EEEEESK_NSA_INS5_IJNSC_16discard_iteratorINSC_11use_defaultEEESN_EEEEEPS7_SQ_SQ_NSC_11hip_rocprim7__merge17predicate_wrapperIjjNSC_4lessIjEEEEEE10hipError_tPvRmT0_T1_T2_T3_T4_T5_mmT6_P12ihipStream_tbEUlT_E_NS1_11comp_targetILNS1_3genE8ELNS1_11target_archE1030ELNS1_3gpuE2ELNS1_3repE0EEENS1_30default_config_static_selectorELNS0_4arch9wavefront6targetE0EEEvS11_
                                        ; -- End function
	.set _ZN7rocprim17ROCPRIM_400000_NS6detail17trampoline_kernelINS0_14default_configENS1_21merge_config_selectorINS0_5tupleIJjjEEENS0_10empty_typeEEEZNS1_10merge_implIS3_NS0_12zip_iteratorINS5_IJN6thrust23THRUST_200600_302600_NS6detail15normal_iteratorINSC_10device_ptrIKjEEEESI_EEEEESK_NSA_INS5_IJNSC_16discard_iteratorINSC_11use_defaultEEESN_EEEEEPS7_SQ_SQ_NSC_11hip_rocprim7__merge17predicate_wrapperIjjNSC_4lessIjEEEEEE10hipError_tPvRmT0_T1_T2_T3_T4_T5_mmT6_P12ihipStream_tbEUlT_E_NS1_11comp_targetILNS1_3genE8ELNS1_11target_archE1030ELNS1_3gpuE2ELNS1_3repE0EEENS1_30default_config_static_selectorELNS0_4arch9wavefront6targetE0EEEvS11_.num_vgpr, 13
	.set _ZN7rocprim17ROCPRIM_400000_NS6detail17trampoline_kernelINS0_14default_configENS1_21merge_config_selectorINS0_5tupleIJjjEEENS0_10empty_typeEEEZNS1_10merge_implIS3_NS0_12zip_iteratorINS5_IJN6thrust23THRUST_200600_302600_NS6detail15normal_iteratorINSC_10device_ptrIKjEEEESI_EEEEESK_NSA_INS5_IJNSC_16discard_iteratorINSC_11use_defaultEEESN_EEEEEPS7_SQ_SQ_NSC_11hip_rocprim7__merge17predicate_wrapperIjjNSC_4lessIjEEEEEE10hipError_tPvRmT0_T1_T2_T3_T4_T5_mmT6_P12ihipStream_tbEUlT_E_NS1_11comp_targetILNS1_3genE8ELNS1_11target_archE1030ELNS1_3gpuE2ELNS1_3repE0EEENS1_30default_config_static_selectorELNS0_4arch9wavefront6targetE0EEEvS11_.num_agpr, 0
	.set _ZN7rocprim17ROCPRIM_400000_NS6detail17trampoline_kernelINS0_14default_configENS1_21merge_config_selectorINS0_5tupleIJjjEEENS0_10empty_typeEEEZNS1_10merge_implIS3_NS0_12zip_iteratorINS5_IJN6thrust23THRUST_200600_302600_NS6detail15normal_iteratorINSC_10device_ptrIKjEEEESI_EEEEESK_NSA_INS5_IJNSC_16discard_iteratorINSC_11use_defaultEEESN_EEEEEPS7_SQ_SQ_NSC_11hip_rocprim7__merge17predicate_wrapperIjjNSC_4lessIjEEEEEE10hipError_tPvRmT0_T1_T2_T3_T4_T5_mmT6_P12ihipStream_tbEUlT_E_NS1_11comp_targetILNS1_3genE8ELNS1_11target_archE1030ELNS1_3gpuE2ELNS1_3repE0EEENS1_30default_config_static_selectorELNS0_4arch9wavefront6targetE0EEEvS11_.numbered_sgpr, 16
	.set _ZN7rocprim17ROCPRIM_400000_NS6detail17trampoline_kernelINS0_14default_configENS1_21merge_config_selectorINS0_5tupleIJjjEEENS0_10empty_typeEEEZNS1_10merge_implIS3_NS0_12zip_iteratorINS5_IJN6thrust23THRUST_200600_302600_NS6detail15normal_iteratorINSC_10device_ptrIKjEEEESI_EEEEESK_NSA_INS5_IJNSC_16discard_iteratorINSC_11use_defaultEEESN_EEEEEPS7_SQ_SQ_NSC_11hip_rocprim7__merge17predicate_wrapperIjjNSC_4lessIjEEEEEE10hipError_tPvRmT0_T1_T2_T3_T4_T5_mmT6_P12ihipStream_tbEUlT_E_NS1_11comp_targetILNS1_3genE8ELNS1_11target_archE1030ELNS1_3gpuE2ELNS1_3repE0EEENS1_30default_config_static_selectorELNS0_4arch9wavefront6targetE0EEEvS11_.num_named_barrier, 0
	.set _ZN7rocprim17ROCPRIM_400000_NS6detail17trampoline_kernelINS0_14default_configENS1_21merge_config_selectorINS0_5tupleIJjjEEENS0_10empty_typeEEEZNS1_10merge_implIS3_NS0_12zip_iteratorINS5_IJN6thrust23THRUST_200600_302600_NS6detail15normal_iteratorINSC_10device_ptrIKjEEEESI_EEEEESK_NSA_INS5_IJNSC_16discard_iteratorINSC_11use_defaultEEESN_EEEEEPS7_SQ_SQ_NSC_11hip_rocprim7__merge17predicate_wrapperIjjNSC_4lessIjEEEEEE10hipError_tPvRmT0_T1_T2_T3_T4_T5_mmT6_P12ihipStream_tbEUlT_E_NS1_11comp_targetILNS1_3genE8ELNS1_11target_archE1030ELNS1_3gpuE2ELNS1_3repE0EEENS1_30default_config_static_selectorELNS0_4arch9wavefront6targetE0EEEvS11_.private_seg_size, 0
	.set _ZN7rocprim17ROCPRIM_400000_NS6detail17trampoline_kernelINS0_14default_configENS1_21merge_config_selectorINS0_5tupleIJjjEEENS0_10empty_typeEEEZNS1_10merge_implIS3_NS0_12zip_iteratorINS5_IJN6thrust23THRUST_200600_302600_NS6detail15normal_iteratorINSC_10device_ptrIKjEEEESI_EEEEESK_NSA_INS5_IJNSC_16discard_iteratorINSC_11use_defaultEEESN_EEEEEPS7_SQ_SQ_NSC_11hip_rocprim7__merge17predicate_wrapperIjjNSC_4lessIjEEEEEE10hipError_tPvRmT0_T1_T2_T3_T4_T5_mmT6_P12ihipStream_tbEUlT_E_NS1_11comp_targetILNS1_3genE8ELNS1_11target_archE1030ELNS1_3gpuE2ELNS1_3repE0EEENS1_30default_config_static_selectorELNS0_4arch9wavefront6targetE0EEEvS11_.uses_vcc, 1
	.set _ZN7rocprim17ROCPRIM_400000_NS6detail17trampoline_kernelINS0_14default_configENS1_21merge_config_selectorINS0_5tupleIJjjEEENS0_10empty_typeEEEZNS1_10merge_implIS3_NS0_12zip_iteratorINS5_IJN6thrust23THRUST_200600_302600_NS6detail15normal_iteratorINSC_10device_ptrIKjEEEESI_EEEEESK_NSA_INS5_IJNSC_16discard_iteratorINSC_11use_defaultEEESN_EEEEEPS7_SQ_SQ_NSC_11hip_rocprim7__merge17predicate_wrapperIjjNSC_4lessIjEEEEEE10hipError_tPvRmT0_T1_T2_T3_T4_T5_mmT6_P12ihipStream_tbEUlT_E_NS1_11comp_targetILNS1_3genE8ELNS1_11target_archE1030ELNS1_3gpuE2ELNS1_3repE0EEENS1_30default_config_static_selectorELNS0_4arch9wavefront6targetE0EEEvS11_.uses_flat_scratch, 0
	.set _ZN7rocprim17ROCPRIM_400000_NS6detail17trampoline_kernelINS0_14default_configENS1_21merge_config_selectorINS0_5tupleIJjjEEENS0_10empty_typeEEEZNS1_10merge_implIS3_NS0_12zip_iteratorINS5_IJN6thrust23THRUST_200600_302600_NS6detail15normal_iteratorINSC_10device_ptrIKjEEEESI_EEEEESK_NSA_INS5_IJNSC_16discard_iteratorINSC_11use_defaultEEESN_EEEEEPS7_SQ_SQ_NSC_11hip_rocprim7__merge17predicate_wrapperIjjNSC_4lessIjEEEEEE10hipError_tPvRmT0_T1_T2_T3_T4_T5_mmT6_P12ihipStream_tbEUlT_E_NS1_11comp_targetILNS1_3genE8ELNS1_11target_archE1030ELNS1_3gpuE2ELNS1_3repE0EEENS1_30default_config_static_selectorELNS0_4arch9wavefront6targetE0EEEvS11_.has_dyn_sized_stack, 0
	.set _ZN7rocprim17ROCPRIM_400000_NS6detail17trampoline_kernelINS0_14default_configENS1_21merge_config_selectorINS0_5tupleIJjjEEENS0_10empty_typeEEEZNS1_10merge_implIS3_NS0_12zip_iteratorINS5_IJN6thrust23THRUST_200600_302600_NS6detail15normal_iteratorINSC_10device_ptrIKjEEEESI_EEEEESK_NSA_INS5_IJNSC_16discard_iteratorINSC_11use_defaultEEESN_EEEEEPS7_SQ_SQ_NSC_11hip_rocprim7__merge17predicate_wrapperIjjNSC_4lessIjEEEEEE10hipError_tPvRmT0_T1_T2_T3_T4_T5_mmT6_P12ihipStream_tbEUlT_E_NS1_11comp_targetILNS1_3genE8ELNS1_11target_archE1030ELNS1_3gpuE2ELNS1_3repE0EEENS1_30default_config_static_selectorELNS0_4arch9wavefront6targetE0EEEvS11_.has_recursion, 0
	.set _ZN7rocprim17ROCPRIM_400000_NS6detail17trampoline_kernelINS0_14default_configENS1_21merge_config_selectorINS0_5tupleIJjjEEENS0_10empty_typeEEEZNS1_10merge_implIS3_NS0_12zip_iteratorINS5_IJN6thrust23THRUST_200600_302600_NS6detail15normal_iteratorINSC_10device_ptrIKjEEEESI_EEEEESK_NSA_INS5_IJNSC_16discard_iteratorINSC_11use_defaultEEESN_EEEEEPS7_SQ_SQ_NSC_11hip_rocprim7__merge17predicate_wrapperIjjNSC_4lessIjEEEEEE10hipError_tPvRmT0_T1_T2_T3_T4_T5_mmT6_P12ihipStream_tbEUlT_E_NS1_11comp_targetILNS1_3genE8ELNS1_11target_archE1030ELNS1_3gpuE2ELNS1_3repE0EEENS1_30default_config_static_selectorELNS0_4arch9wavefront6targetE0EEEvS11_.has_indirect_call, 0
	.section	.AMDGPU.csdata,"",@progbits
; Kernel info:
; codeLenInByte = 520
; TotalNumSgprs: 18
; NumVgprs: 13
; ScratchSize: 0
; MemoryBound: 0
; FloatMode: 240
; IeeeMode: 1
; LDSByteSize: 0 bytes/workgroup (compile time only)
; SGPRBlocks: 0
; VGPRBlocks: 1
; NumSGPRsForWavesPerEU: 18
; NumVGPRsForWavesPerEU: 13
; Occupancy: 16
; WaveLimiterHint : 0
; COMPUTE_PGM_RSRC2:SCRATCH_EN: 0
; COMPUTE_PGM_RSRC2:USER_SGPR: 6
; COMPUTE_PGM_RSRC2:TRAP_HANDLER: 0
; COMPUTE_PGM_RSRC2:TGID_X_EN: 1
; COMPUTE_PGM_RSRC2:TGID_Y_EN: 0
; COMPUTE_PGM_RSRC2:TGID_Z_EN: 0
; COMPUTE_PGM_RSRC2:TIDIG_COMP_CNT: 0
	.section	.text._ZN7rocprim17ROCPRIM_400000_NS6detail17trampoline_kernelINS0_14default_configENS1_21merge_config_selectorINS0_5tupleIJjjEEENS0_10empty_typeEEEZNS1_10merge_implIS3_NS0_12zip_iteratorINS5_IJN6thrust23THRUST_200600_302600_NS6detail15normal_iteratorINSC_10device_ptrIKjEEEESI_EEEEESK_NSA_INS5_IJNSC_16discard_iteratorINSC_11use_defaultEEESN_EEEEEPS7_SQ_SQ_NSC_11hip_rocprim7__merge17predicate_wrapperIjjNSC_4lessIjEEEEEE10hipError_tPvRmT0_T1_T2_T3_T4_T5_mmT6_P12ihipStream_tbEUlT_E0_NS1_11comp_targetILNS1_3genE0ELNS1_11target_archE4294967295ELNS1_3gpuE0ELNS1_3repE0EEENS1_30default_config_static_selectorELNS0_4arch9wavefront6targetE0EEEvS11_,"axG",@progbits,_ZN7rocprim17ROCPRIM_400000_NS6detail17trampoline_kernelINS0_14default_configENS1_21merge_config_selectorINS0_5tupleIJjjEEENS0_10empty_typeEEEZNS1_10merge_implIS3_NS0_12zip_iteratorINS5_IJN6thrust23THRUST_200600_302600_NS6detail15normal_iteratorINSC_10device_ptrIKjEEEESI_EEEEESK_NSA_INS5_IJNSC_16discard_iteratorINSC_11use_defaultEEESN_EEEEEPS7_SQ_SQ_NSC_11hip_rocprim7__merge17predicate_wrapperIjjNSC_4lessIjEEEEEE10hipError_tPvRmT0_T1_T2_T3_T4_T5_mmT6_P12ihipStream_tbEUlT_E0_NS1_11comp_targetILNS1_3genE0ELNS1_11target_archE4294967295ELNS1_3gpuE0ELNS1_3repE0EEENS1_30default_config_static_selectorELNS0_4arch9wavefront6targetE0EEEvS11_,comdat
	.protected	_ZN7rocprim17ROCPRIM_400000_NS6detail17trampoline_kernelINS0_14default_configENS1_21merge_config_selectorINS0_5tupleIJjjEEENS0_10empty_typeEEEZNS1_10merge_implIS3_NS0_12zip_iteratorINS5_IJN6thrust23THRUST_200600_302600_NS6detail15normal_iteratorINSC_10device_ptrIKjEEEESI_EEEEESK_NSA_INS5_IJNSC_16discard_iteratorINSC_11use_defaultEEESN_EEEEEPS7_SQ_SQ_NSC_11hip_rocprim7__merge17predicate_wrapperIjjNSC_4lessIjEEEEEE10hipError_tPvRmT0_T1_T2_T3_T4_T5_mmT6_P12ihipStream_tbEUlT_E0_NS1_11comp_targetILNS1_3genE0ELNS1_11target_archE4294967295ELNS1_3gpuE0ELNS1_3repE0EEENS1_30default_config_static_selectorELNS0_4arch9wavefront6targetE0EEEvS11_ ; -- Begin function _ZN7rocprim17ROCPRIM_400000_NS6detail17trampoline_kernelINS0_14default_configENS1_21merge_config_selectorINS0_5tupleIJjjEEENS0_10empty_typeEEEZNS1_10merge_implIS3_NS0_12zip_iteratorINS5_IJN6thrust23THRUST_200600_302600_NS6detail15normal_iteratorINSC_10device_ptrIKjEEEESI_EEEEESK_NSA_INS5_IJNSC_16discard_iteratorINSC_11use_defaultEEESN_EEEEEPS7_SQ_SQ_NSC_11hip_rocprim7__merge17predicate_wrapperIjjNSC_4lessIjEEEEEE10hipError_tPvRmT0_T1_T2_T3_T4_T5_mmT6_P12ihipStream_tbEUlT_E0_NS1_11comp_targetILNS1_3genE0ELNS1_11target_archE4294967295ELNS1_3gpuE0ELNS1_3repE0EEENS1_30default_config_static_selectorELNS0_4arch9wavefront6targetE0EEEvS11_
	.globl	_ZN7rocprim17ROCPRIM_400000_NS6detail17trampoline_kernelINS0_14default_configENS1_21merge_config_selectorINS0_5tupleIJjjEEENS0_10empty_typeEEEZNS1_10merge_implIS3_NS0_12zip_iteratorINS5_IJN6thrust23THRUST_200600_302600_NS6detail15normal_iteratorINSC_10device_ptrIKjEEEESI_EEEEESK_NSA_INS5_IJNSC_16discard_iteratorINSC_11use_defaultEEESN_EEEEEPS7_SQ_SQ_NSC_11hip_rocprim7__merge17predicate_wrapperIjjNSC_4lessIjEEEEEE10hipError_tPvRmT0_T1_T2_T3_T4_T5_mmT6_P12ihipStream_tbEUlT_E0_NS1_11comp_targetILNS1_3genE0ELNS1_11target_archE4294967295ELNS1_3gpuE0ELNS1_3repE0EEENS1_30default_config_static_selectorELNS0_4arch9wavefront6targetE0EEEvS11_
	.p2align	8
	.type	_ZN7rocprim17ROCPRIM_400000_NS6detail17trampoline_kernelINS0_14default_configENS1_21merge_config_selectorINS0_5tupleIJjjEEENS0_10empty_typeEEEZNS1_10merge_implIS3_NS0_12zip_iteratorINS5_IJN6thrust23THRUST_200600_302600_NS6detail15normal_iteratorINSC_10device_ptrIKjEEEESI_EEEEESK_NSA_INS5_IJNSC_16discard_iteratorINSC_11use_defaultEEESN_EEEEEPS7_SQ_SQ_NSC_11hip_rocprim7__merge17predicate_wrapperIjjNSC_4lessIjEEEEEE10hipError_tPvRmT0_T1_T2_T3_T4_T5_mmT6_P12ihipStream_tbEUlT_E0_NS1_11comp_targetILNS1_3genE0ELNS1_11target_archE4294967295ELNS1_3gpuE0ELNS1_3repE0EEENS1_30default_config_static_selectorELNS0_4arch9wavefront6targetE0EEEvS11_,@function
_ZN7rocprim17ROCPRIM_400000_NS6detail17trampoline_kernelINS0_14default_configENS1_21merge_config_selectorINS0_5tupleIJjjEEENS0_10empty_typeEEEZNS1_10merge_implIS3_NS0_12zip_iteratorINS5_IJN6thrust23THRUST_200600_302600_NS6detail15normal_iteratorINSC_10device_ptrIKjEEEESI_EEEEESK_NSA_INS5_IJNSC_16discard_iteratorINSC_11use_defaultEEESN_EEEEEPS7_SQ_SQ_NSC_11hip_rocprim7__merge17predicate_wrapperIjjNSC_4lessIjEEEEEE10hipError_tPvRmT0_T1_T2_T3_T4_T5_mmT6_P12ihipStream_tbEUlT_E0_NS1_11comp_targetILNS1_3genE0ELNS1_11target_archE4294967295ELNS1_3gpuE0ELNS1_3repE0EEENS1_30default_config_static_selectorELNS0_4arch9wavefront6targetE0EEEvS11_: ; @_ZN7rocprim17ROCPRIM_400000_NS6detail17trampoline_kernelINS0_14default_configENS1_21merge_config_selectorINS0_5tupleIJjjEEENS0_10empty_typeEEEZNS1_10merge_implIS3_NS0_12zip_iteratorINS5_IJN6thrust23THRUST_200600_302600_NS6detail15normal_iteratorINSC_10device_ptrIKjEEEESI_EEEEESK_NSA_INS5_IJNSC_16discard_iteratorINSC_11use_defaultEEESN_EEEEEPS7_SQ_SQ_NSC_11hip_rocprim7__merge17predicate_wrapperIjjNSC_4lessIjEEEEEE10hipError_tPvRmT0_T1_T2_T3_T4_T5_mmT6_P12ihipStream_tbEUlT_E0_NS1_11comp_targetILNS1_3genE0ELNS1_11target_archE4294967295ELNS1_3gpuE0ELNS1_3repE0EEENS1_30default_config_static_selectorELNS0_4arch9wavefront6targetE0EEEvS11_
; %bb.0:
	.section	.rodata,"a",@progbits
	.p2align	6, 0x0
	.amdhsa_kernel _ZN7rocprim17ROCPRIM_400000_NS6detail17trampoline_kernelINS0_14default_configENS1_21merge_config_selectorINS0_5tupleIJjjEEENS0_10empty_typeEEEZNS1_10merge_implIS3_NS0_12zip_iteratorINS5_IJN6thrust23THRUST_200600_302600_NS6detail15normal_iteratorINSC_10device_ptrIKjEEEESI_EEEEESK_NSA_INS5_IJNSC_16discard_iteratorINSC_11use_defaultEEESN_EEEEEPS7_SQ_SQ_NSC_11hip_rocprim7__merge17predicate_wrapperIjjNSC_4lessIjEEEEEE10hipError_tPvRmT0_T1_T2_T3_T4_T5_mmT6_P12ihipStream_tbEUlT_E0_NS1_11comp_targetILNS1_3genE0ELNS1_11target_archE4294967295ELNS1_3gpuE0ELNS1_3repE0EEENS1_30default_config_static_selectorELNS0_4arch9wavefront6targetE0EEEvS11_
		.amdhsa_group_segment_fixed_size 0
		.amdhsa_private_segment_fixed_size 0
		.amdhsa_kernarg_size 128
		.amdhsa_user_sgpr_count 6
		.amdhsa_user_sgpr_private_segment_buffer 1
		.amdhsa_user_sgpr_dispatch_ptr 0
		.amdhsa_user_sgpr_queue_ptr 0
		.amdhsa_user_sgpr_kernarg_segment_ptr 1
		.amdhsa_user_sgpr_dispatch_id 0
		.amdhsa_user_sgpr_flat_scratch_init 0
		.amdhsa_user_sgpr_private_segment_size 0
		.amdhsa_wavefront_size32 1
		.amdhsa_uses_dynamic_stack 0
		.amdhsa_system_sgpr_private_segment_wavefront_offset 0
		.amdhsa_system_sgpr_workgroup_id_x 1
		.amdhsa_system_sgpr_workgroup_id_y 0
		.amdhsa_system_sgpr_workgroup_id_z 0
		.amdhsa_system_sgpr_workgroup_info 0
		.amdhsa_system_vgpr_workitem_id 0
		.amdhsa_next_free_vgpr 1
		.amdhsa_next_free_sgpr 1
		.amdhsa_reserve_vcc 0
		.amdhsa_reserve_flat_scratch 0
		.amdhsa_float_round_mode_32 0
		.amdhsa_float_round_mode_16_64 0
		.amdhsa_float_denorm_mode_32 3
		.amdhsa_float_denorm_mode_16_64 3
		.amdhsa_dx10_clamp 1
		.amdhsa_ieee_mode 1
		.amdhsa_fp16_overflow 0
		.amdhsa_workgroup_processor_mode 1
		.amdhsa_memory_ordered 1
		.amdhsa_forward_progress 1
		.amdhsa_shared_vgpr_count 0
		.amdhsa_exception_fp_ieee_invalid_op 0
		.amdhsa_exception_fp_denorm_src 0
		.amdhsa_exception_fp_ieee_div_zero 0
		.amdhsa_exception_fp_ieee_overflow 0
		.amdhsa_exception_fp_ieee_underflow 0
		.amdhsa_exception_fp_ieee_inexact 0
		.amdhsa_exception_int_div_zero 0
	.end_amdhsa_kernel
	.section	.text._ZN7rocprim17ROCPRIM_400000_NS6detail17trampoline_kernelINS0_14default_configENS1_21merge_config_selectorINS0_5tupleIJjjEEENS0_10empty_typeEEEZNS1_10merge_implIS3_NS0_12zip_iteratorINS5_IJN6thrust23THRUST_200600_302600_NS6detail15normal_iteratorINSC_10device_ptrIKjEEEESI_EEEEESK_NSA_INS5_IJNSC_16discard_iteratorINSC_11use_defaultEEESN_EEEEEPS7_SQ_SQ_NSC_11hip_rocprim7__merge17predicate_wrapperIjjNSC_4lessIjEEEEEE10hipError_tPvRmT0_T1_T2_T3_T4_T5_mmT6_P12ihipStream_tbEUlT_E0_NS1_11comp_targetILNS1_3genE0ELNS1_11target_archE4294967295ELNS1_3gpuE0ELNS1_3repE0EEENS1_30default_config_static_selectorELNS0_4arch9wavefront6targetE0EEEvS11_,"axG",@progbits,_ZN7rocprim17ROCPRIM_400000_NS6detail17trampoline_kernelINS0_14default_configENS1_21merge_config_selectorINS0_5tupleIJjjEEENS0_10empty_typeEEEZNS1_10merge_implIS3_NS0_12zip_iteratorINS5_IJN6thrust23THRUST_200600_302600_NS6detail15normal_iteratorINSC_10device_ptrIKjEEEESI_EEEEESK_NSA_INS5_IJNSC_16discard_iteratorINSC_11use_defaultEEESN_EEEEEPS7_SQ_SQ_NSC_11hip_rocprim7__merge17predicate_wrapperIjjNSC_4lessIjEEEEEE10hipError_tPvRmT0_T1_T2_T3_T4_T5_mmT6_P12ihipStream_tbEUlT_E0_NS1_11comp_targetILNS1_3genE0ELNS1_11target_archE4294967295ELNS1_3gpuE0ELNS1_3repE0EEENS1_30default_config_static_selectorELNS0_4arch9wavefront6targetE0EEEvS11_,comdat
.Lfunc_end542:
	.size	_ZN7rocprim17ROCPRIM_400000_NS6detail17trampoline_kernelINS0_14default_configENS1_21merge_config_selectorINS0_5tupleIJjjEEENS0_10empty_typeEEEZNS1_10merge_implIS3_NS0_12zip_iteratorINS5_IJN6thrust23THRUST_200600_302600_NS6detail15normal_iteratorINSC_10device_ptrIKjEEEESI_EEEEESK_NSA_INS5_IJNSC_16discard_iteratorINSC_11use_defaultEEESN_EEEEEPS7_SQ_SQ_NSC_11hip_rocprim7__merge17predicate_wrapperIjjNSC_4lessIjEEEEEE10hipError_tPvRmT0_T1_T2_T3_T4_T5_mmT6_P12ihipStream_tbEUlT_E0_NS1_11comp_targetILNS1_3genE0ELNS1_11target_archE4294967295ELNS1_3gpuE0ELNS1_3repE0EEENS1_30default_config_static_selectorELNS0_4arch9wavefront6targetE0EEEvS11_, .Lfunc_end542-_ZN7rocprim17ROCPRIM_400000_NS6detail17trampoline_kernelINS0_14default_configENS1_21merge_config_selectorINS0_5tupleIJjjEEENS0_10empty_typeEEEZNS1_10merge_implIS3_NS0_12zip_iteratorINS5_IJN6thrust23THRUST_200600_302600_NS6detail15normal_iteratorINSC_10device_ptrIKjEEEESI_EEEEESK_NSA_INS5_IJNSC_16discard_iteratorINSC_11use_defaultEEESN_EEEEEPS7_SQ_SQ_NSC_11hip_rocprim7__merge17predicate_wrapperIjjNSC_4lessIjEEEEEE10hipError_tPvRmT0_T1_T2_T3_T4_T5_mmT6_P12ihipStream_tbEUlT_E0_NS1_11comp_targetILNS1_3genE0ELNS1_11target_archE4294967295ELNS1_3gpuE0ELNS1_3repE0EEENS1_30default_config_static_selectorELNS0_4arch9wavefront6targetE0EEEvS11_
                                        ; -- End function
	.set _ZN7rocprim17ROCPRIM_400000_NS6detail17trampoline_kernelINS0_14default_configENS1_21merge_config_selectorINS0_5tupleIJjjEEENS0_10empty_typeEEEZNS1_10merge_implIS3_NS0_12zip_iteratorINS5_IJN6thrust23THRUST_200600_302600_NS6detail15normal_iteratorINSC_10device_ptrIKjEEEESI_EEEEESK_NSA_INS5_IJNSC_16discard_iteratorINSC_11use_defaultEEESN_EEEEEPS7_SQ_SQ_NSC_11hip_rocprim7__merge17predicate_wrapperIjjNSC_4lessIjEEEEEE10hipError_tPvRmT0_T1_T2_T3_T4_T5_mmT6_P12ihipStream_tbEUlT_E0_NS1_11comp_targetILNS1_3genE0ELNS1_11target_archE4294967295ELNS1_3gpuE0ELNS1_3repE0EEENS1_30default_config_static_selectorELNS0_4arch9wavefront6targetE0EEEvS11_.num_vgpr, 0
	.set _ZN7rocprim17ROCPRIM_400000_NS6detail17trampoline_kernelINS0_14default_configENS1_21merge_config_selectorINS0_5tupleIJjjEEENS0_10empty_typeEEEZNS1_10merge_implIS3_NS0_12zip_iteratorINS5_IJN6thrust23THRUST_200600_302600_NS6detail15normal_iteratorINSC_10device_ptrIKjEEEESI_EEEEESK_NSA_INS5_IJNSC_16discard_iteratorINSC_11use_defaultEEESN_EEEEEPS7_SQ_SQ_NSC_11hip_rocprim7__merge17predicate_wrapperIjjNSC_4lessIjEEEEEE10hipError_tPvRmT0_T1_T2_T3_T4_T5_mmT6_P12ihipStream_tbEUlT_E0_NS1_11comp_targetILNS1_3genE0ELNS1_11target_archE4294967295ELNS1_3gpuE0ELNS1_3repE0EEENS1_30default_config_static_selectorELNS0_4arch9wavefront6targetE0EEEvS11_.num_agpr, 0
	.set _ZN7rocprim17ROCPRIM_400000_NS6detail17trampoline_kernelINS0_14default_configENS1_21merge_config_selectorINS0_5tupleIJjjEEENS0_10empty_typeEEEZNS1_10merge_implIS3_NS0_12zip_iteratorINS5_IJN6thrust23THRUST_200600_302600_NS6detail15normal_iteratorINSC_10device_ptrIKjEEEESI_EEEEESK_NSA_INS5_IJNSC_16discard_iteratorINSC_11use_defaultEEESN_EEEEEPS7_SQ_SQ_NSC_11hip_rocprim7__merge17predicate_wrapperIjjNSC_4lessIjEEEEEE10hipError_tPvRmT0_T1_T2_T3_T4_T5_mmT6_P12ihipStream_tbEUlT_E0_NS1_11comp_targetILNS1_3genE0ELNS1_11target_archE4294967295ELNS1_3gpuE0ELNS1_3repE0EEENS1_30default_config_static_selectorELNS0_4arch9wavefront6targetE0EEEvS11_.numbered_sgpr, 0
	.set _ZN7rocprim17ROCPRIM_400000_NS6detail17trampoline_kernelINS0_14default_configENS1_21merge_config_selectorINS0_5tupleIJjjEEENS0_10empty_typeEEEZNS1_10merge_implIS3_NS0_12zip_iteratorINS5_IJN6thrust23THRUST_200600_302600_NS6detail15normal_iteratorINSC_10device_ptrIKjEEEESI_EEEEESK_NSA_INS5_IJNSC_16discard_iteratorINSC_11use_defaultEEESN_EEEEEPS7_SQ_SQ_NSC_11hip_rocprim7__merge17predicate_wrapperIjjNSC_4lessIjEEEEEE10hipError_tPvRmT0_T1_T2_T3_T4_T5_mmT6_P12ihipStream_tbEUlT_E0_NS1_11comp_targetILNS1_3genE0ELNS1_11target_archE4294967295ELNS1_3gpuE0ELNS1_3repE0EEENS1_30default_config_static_selectorELNS0_4arch9wavefront6targetE0EEEvS11_.num_named_barrier, 0
	.set _ZN7rocprim17ROCPRIM_400000_NS6detail17trampoline_kernelINS0_14default_configENS1_21merge_config_selectorINS0_5tupleIJjjEEENS0_10empty_typeEEEZNS1_10merge_implIS3_NS0_12zip_iteratorINS5_IJN6thrust23THRUST_200600_302600_NS6detail15normal_iteratorINSC_10device_ptrIKjEEEESI_EEEEESK_NSA_INS5_IJNSC_16discard_iteratorINSC_11use_defaultEEESN_EEEEEPS7_SQ_SQ_NSC_11hip_rocprim7__merge17predicate_wrapperIjjNSC_4lessIjEEEEEE10hipError_tPvRmT0_T1_T2_T3_T4_T5_mmT6_P12ihipStream_tbEUlT_E0_NS1_11comp_targetILNS1_3genE0ELNS1_11target_archE4294967295ELNS1_3gpuE0ELNS1_3repE0EEENS1_30default_config_static_selectorELNS0_4arch9wavefront6targetE0EEEvS11_.private_seg_size, 0
	.set _ZN7rocprim17ROCPRIM_400000_NS6detail17trampoline_kernelINS0_14default_configENS1_21merge_config_selectorINS0_5tupleIJjjEEENS0_10empty_typeEEEZNS1_10merge_implIS3_NS0_12zip_iteratorINS5_IJN6thrust23THRUST_200600_302600_NS6detail15normal_iteratorINSC_10device_ptrIKjEEEESI_EEEEESK_NSA_INS5_IJNSC_16discard_iteratorINSC_11use_defaultEEESN_EEEEEPS7_SQ_SQ_NSC_11hip_rocprim7__merge17predicate_wrapperIjjNSC_4lessIjEEEEEE10hipError_tPvRmT0_T1_T2_T3_T4_T5_mmT6_P12ihipStream_tbEUlT_E0_NS1_11comp_targetILNS1_3genE0ELNS1_11target_archE4294967295ELNS1_3gpuE0ELNS1_3repE0EEENS1_30default_config_static_selectorELNS0_4arch9wavefront6targetE0EEEvS11_.uses_vcc, 0
	.set _ZN7rocprim17ROCPRIM_400000_NS6detail17trampoline_kernelINS0_14default_configENS1_21merge_config_selectorINS0_5tupleIJjjEEENS0_10empty_typeEEEZNS1_10merge_implIS3_NS0_12zip_iteratorINS5_IJN6thrust23THRUST_200600_302600_NS6detail15normal_iteratorINSC_10device_ptrIKjEEEESI_EEEEESK_NSA_INS5_IJNSC_16discard_iteratorINSC_11use_defaultEEESN_EEEEEPS7_SQ_SQ_NSC_11hip_rocprim7__merge17predicate_wrapperIjjNSC_4lessIjEEEEEE10hipError_tPvRmT0_T1_T2_T3_T4_T5_mmT6_P12ihipStream_tbEUlT_E0_NS1_11comp_targetILNS1_3genE0ELNS1_11target_archE4294967295ELNS1_3gpuE0ELNS1_3repE0EEENS1_30default_config_static_selectorELNS0_4arch9wavefront6targetE0EEEvS11_.uses_flat_scratch, 0
	.set _ZN7rocprim17ROCPRIM_400000_NS6detail17trampoline_kernelINS0_14default_configENS1_21merge_config_selectorINS0_5tupleIJjjEEENS0_10empty_typeEEEZNS1_10merge_implIS3_NS0_12zip_iteratorINS5_IJN6thrust23THRUST_200600_302600_NS6detail15normal_iteratorINSC_10device_ptrIKjEEEESI_EEEEESK_NSA_INS5_IJNSC_16discard_iteratorINSC_11use_defaultEEESN_EEEEEPS7_SQ_SQ_NSC_11hip_rocprim7__merge17predicate_wrapperIjjNSC_4lessIjEEEEEE10hipError_tPvRmT0_T1_T2_T3_T4_T5_mmT6_P12ihipStream_tbEUlT_E0_NS1_11comp_targetILNS1_3genE0ELNS1_11target_archE4294967295ELNS1_3gpuE0ELNS1_3repE0EEENS1_30default_config_static_selectorELNS0_4arch9wavefront6targetE0EEEvS11_.has_dyn_sized_stack, 0
	.set _ZN7rocprim17ROCPRIM_400000_NS6detail17trampoline_kernelINS0_14default_configENS1_21merge_config_selectorINS0_5tupleIJjjEEENS0_10empty_typeEEEZNS1_10merge_implIS3_NS0_12zip_iteratorINS5_IJN6thrust23THRUST_200600_302600_NS6detail15normal_iteratorINSC_10device_ptrIKjEEEESI_EEEEESK_NSA_INS5_IJNSC_16discard_iteratorINSC_11use_defaultEEESN_EEEEEPS7_SQ_SQ_NSC_11hip_rocprim7__merge17predicate_wrapperIjjNSC_4lessIjEEEEEE10hipError_tPvRmT0_T1_T2_T3_T4_T5_mmT6_P12ihipStream_tbEUlT_E0_NS1_11comp_targetILNS1_3genE0ELNS1_11target_archE4294967295ELNS1_3gpuE0ELNS1_3repE0EEENS1_30default_config_static_selectorELNS0_4arch9wavefront6targetE0EEEvS11_.has_recursion, 0
	.set _ZN7rocprim17ROCPRIM_400000_NS6detail17trampoline_kernelINS0_14default_configENS1_21merge_config_selectorINS0_5tupleIJjjEEENS0_10empty_typeEEEZNS1_10merge_implIS3_NS0_12zip_iteratorINS5_IJN6thrust23THRUST_200600_302600_NS6detail15normal_iteratorINSC_10device_ptrIKjEEEESI_EEEEESK_NSA_INS5_IJNSC_16discard_iteratorINSC_11use_defaultEEESN_EEEEEPS7_SQ_SQ_NSC_11hip_rocprim7__merge17predicate_wrapperIjjNSC_4lessIjEEEEEE10hipError_tPvRmT0_T1_T2_T3_T4_T5_mmT6_P12ihipStream_tbEUlT_E0_NS1_11comp_targetILNS1_3genE0ELNS1_11target_archE4294967295ELNS1_3gpuE0ELNS1_3repE0EEENS1_30default_config_static_selectorELNS0_4arch9wavefront6targetE0EEEvS11_.has_indirect_call, 0
	.section	.AMDGPU.csdata,"",@progbits
; Kernel info:
; codeLenInByte = 0
; TotalNumSgprs: 0
; NumVgprs: 0
; ScratchSize: 0
; MemoryBound: 0
; FloatMode: 240
; IeeeMode: 1
; LDSByteSize: 0 bytes/workgroup (compile time only)
; SGPRBlocks: 0
; VGPRBlocks: 0
; NumSGPRsForWavesPerEU: 1
; NumVGPRsForWavesPerEU: 1
; Occupancy: 16
; WaveLimiterHint : 0
; COMPUTE_PGM_RSRC2:SCRATCH_EN: 0
; COMPUTE_PGM_RSRC2:USER_SGPR: 6
; COMPUTE_PGM_RSRC2:TRAP_HANDLER: 0
; COMPUTE_PGM_RSRC2:TGID_X_EN: 1
; COMPUTE_PGM_RSRC2:TGID_Y_EN: 0
; COMPUTE_PGM_RSRC2:TGID_Z_EN: 0
; COMPUTE_PGM_RSRC2:TIDIG_COMP_CNT: 0
	.section	.text._ZN7rocprim17ROCPRIM_400000_NS6detail17trampoline_kernelINS0_14default_configENS1_21merge_config_selectorINS0_5tupleIJjjEEENS0_10empty_typeEEEZNS1_10merge_implIS3_NS0_12zip_iteratorINS5_IJN6thrust23THRUST_200600_302600_NS6detail15normal_iteratorINSC_10device_ptrIKjEEEESI_EEEEESK_NSA_INS5_IJNSC_16discard_iteratorINSC_11use_defaultEEESN_EEEEEPS7_SQ_SQ_NSC_11hip_rocprim7__merge17predicate_wrapperIjjNSC_4lessIjEEEEEE10hipError_tPvRmT0_T1_T2_T3_T4_T5_mmT6_P12ihipStream_tbEUlT_E0_NS1_11comp_targetILNS1_3genE5ELNS1_11target_archE942ELNS1_3gpuE9ELNS1_3repE0EEENS1_30default_config_static_selectorELNS0_4arch9wavefront6targetE0EEEvS11_,"axG",@progbits,_ZN7rocprim17ROCPRIM_400000_NS6detail17trampoline_kernelINS0_14default_configENS1_21merge_config_selectorINS0_5tupleIJjjEEENS0_10empty_typeEEEZNS1_10merge_implIS3_NS0_12zip_iteratorINS5_IJN6thrust23THRUST_200600_302600_NS6detail15normal_iteratorINSC_10device_ptrIKjEEEESI_EEEEESK_NSA_INS5_IJNSC_16discard_iteratorINSC_11use_defaultEEESN_EEEEEPS7_SQ_SQ_NSC_11hip_rocprim7__merge17predicate_wrapperIjjNSC_4lessIjEEEEEE10hipError_tPvRmT0_T1_T2_T3_T4_T5_mmT6_P12ihipStream_tbEUlT_E0_NS1_11comp_targetILNS1_3genE5ELNS1_11target_archE942ELNS1_3gpuE9ELNS1_3repE0EEENS1_30default_config_static_selectorELNS0_4arch9wavefront6targetE0EEEvS11_,comdat
	.protected	_ZN7rocprim17ROCPRIM_400000_NS6detail17trampoline_kernelINS0_14default_configENS1_21merge_config_selectorINS0_5tupleIJjjEEENS0_10empty_typeEEEZNS1_10merge_implIS3_NS0_12zip_iteratorINS5_IJN6thrust23THRUST_200600_302600_NS6detail15normal_iteratorINSC_10device_ptrIKjEEEESI_EEEEESK_NSA_INS5_IJNSC_16discard_iteratorINSC_11use_defaultEEESN_EEEEEPS7_SQ_SQ_NSC_11hip_rocprim7__merge17predicate_wrapperIjjNSC_4lessIjEEEEEE10hipError_tPvRmT0_T1_T2_T3_T4_T5_mmT6_P12ihipStream_tbEUlT_E0_NS1_11comp_targetILNS1_3genE5ELNS1_11target_archE942ELNS1_3gpuE9ELNS1_3repE0EEENS1_30default_config_static_selectorELNS0_4arch9wavefront6targetE0EEEvS11_ ; -- Begin function _ZN7rocprim17ROCPRIM_400000_NS6detail17trampoline_kernelINS0_14default_configENS1_21merge_config_selectorINS0_5tupleIJjjEEENS0_10empty_typeEEEZNS1_10merge_implIS3_NS0_12zip_iteratorINS5_IJN6thrust23THRUST_200600_302600_NS6detail15normal_iteratorINSC_10device_ptrIKjEEEESI_EEEEESK_NSA_INS5_IJNSC_16discard_iteratorINSC_11use_defaultEEESN_EEEEEPS7_SQ_SQ_NSC_11hip_rocprim7__merge17predicate_wrapperIjjNSC_4lessIjEEEEEE10hipError_tPvRmT0_T1_T2_T3_T4_T5_mmT6_P12ihipStream_tbEUlT_E0_NS1_11comp_targetILNS1_3genE5ELNS1_11target_archE942ELNS1_3gpuE9ELNS1_3repE0EEENS1_30default_config_static_selectorELNS0_4arch9wavefront6targetE0EEEvS11_
	.globl	_ZN7rocprim17ROCPRIM_400000_NS6detail17trampoline_kernelINS0_14default_configENS1_21merge_config_selectorINS0_5tupleIJjjEEENS0_10empty_typeEEEZNS1_10merge_implIS3_NS0_12zip_iteratorINS5_IJN6thrust23THRUST_200600_302600_NS6detail15normal_iteratorINSC_10device_ptrIKjEEEESI_EEEEESK_NSA_INS5_IJNSC_16discard_iteratorINSC_11use_defaultEEESN_EEEEEPS7_SQ_SQ_NSC_11hip_rocprim7__merge17predicate_wrapperIjjNSC_4lessIjEEEEEE10hipError_tPvRmT0_T1_T2_T3_T4_T5_mmT6_P12ihipStream_tbEUlT_E0_NS1_11comp_targetILNS1_3genE5ELNS1_11target_archE942ELNS1_3gpuE9ELNS1_3repE0EEENS1_30default_config_static_selectorELNS0_4arch9wavefront6targetE0EEEvS11_
	.p2align	8
	.type	_ZN7rocprim17ROCPRIM_400000_NS6detail17trampoline_kernelINS0_14default_configENS1_21merge_config_selectorINS0_5tupleIJjjEEENS0_10empty_typeEEEZNS1_10merge_implIS3_NS0_12zip_iteratorINS5_IJN6thrust23THRUST_200600_302600_NS6detail15normal_iteratorINSC_10device_ptrIKjEEEESI_EEEEESK_NSA_INS5_IJNSC_16discard_iteratorINSC_11use_defaultEEESN_EEEEEPS7_SQ_SQ_NSC_11hip_rocprim7__merge17predicate_wrapperIjjNSC_4lessIjEEEEEE10hipError_tPvRmT0_T1_T2_T3_T4_T5_mmT6_P12ihipStream_tbEUlT_E0_NS1_11comp_targetILNS1_3genE5ELNS1_11target_archE942ELNS1_3gpuE9ELNS1_3repE0EEENS1_30default_config_static_selectorELNS0_4arch9wavefront6targetE0EEEvS11_,@function
_ZN7rocprim17ROCPRIM_400000_NS6detail17trampoline_kernelINS0_14default_configENS1_21merge_config_selectorINS0_5tupleIJjjEEENS0_10empty_typeEEEZNS1_10merge_implIS3_NS0_12zip_iteratorINS5_IJN6thrust23THRUST_200600_302600_NS6detail15normal_iteratorINSC_10device_ptrIKjEEEESI_EEEEESK_NSA_INS5_IJNSC_16discard_iteratorINSC_11use_defaultEEESN_EEEEEPS7_SQ_SQ_NSC_11hip_rocprim7__merge17predicate_wrapperIjjNSC_4lessIjEEEEEE10hipError_tPvRmT0_T1_T2_T3_T4_T5_mmT6_P12ihipStream_tbEUlT_E0_NS1_11comp_targetILNS1_3genE5ELNS1_11target_archE942ELNS1_3gpuE9ELNS1_3repE0EEENS1_30default_config_static_selectorELNS0_4arch9wavefront6targetE0EEEvS11_: ; @_ZN7rocprim17ROCPRIM_400000_NS6detail17trampoline_kernelINS0_14default_configENS1_21merge_config_selectorINS0_5tupleIJjjEEENS0_10empty_typeEEEZNS1_10merge_implIS3_NS0_12zip_iteratorINS5_IJN6thrust23THRUST_200600_302600_NS6detail15normal_iteratorINSC_10device_ptrIKjEEEESI_EEEEESK_NSA_INS5_IJNSC_16discard_iteratorINSC_11use_defaultEEESN_EEEEEPS7_SQ_SQ_NSC_11hip_rocprim7__merge17predicate_wrapperIjjNSC_4lessIjEEEEEE10hipError_tPvRmT0_T1_T2_T3_T4_T5_mmT6_P12ihipStream_tbEUlT_E0_NS1_11comp_targetILNS1_3genE5ELNS1_11target_archE942ELNS1_3gpuE9ELNS1_3repE0EEENS1_30default_config_static_selectorELNS0_4arch9wavefront6targetE0EEEvS11_
; %bb.0:
	.section	.rodata,"a",@progbits
	.p2align	6, 0x0
	.amdhsa_kernel _ZN7rocprim17ROCPRIM_400000_NS6detail17trampoline_kernelINS0_14default_configENS1_21merge_config_selectorINS0_5tupleIJjjEEENS0_10empty_typeEEEZNS1_10merge_implIS3_NS0_12zip_iteratorINS5_IJN6thrust23THRUST_200600_302600_NS6detail15normal_iteratorINSC_10device_ptrIKjEEEESI_EEEEESK_NSA_INS5_IJNSC_16discard_iteratorINSC_11use_defaultEEESN_EEEEEPS7_SQ_SQ_NSC_11hip_rocprim7__merge17predicate_wrapperIjjNSC_4lessIjEEEEEE10hipError_tPvRmT0_T1_T2_T3_T4_T5_mmT6_P12ihipStream_tbEUlT_E0_NS1_11comp_targetILNS1_3genE5ELNS1_11target_archE942ELNS1_3gpuE9ELNS1_3repE0EEENS1_30default_config_static_selectorELNS0_4arch9wavefront6targetE0EEEvS11_
		.amdhsa_group_segment_fixed_size 0
		.amdhsa_private_segment_fixed_size 0
		.amdhsa_kernarg_size 128
		.amdhsa_user_sgpr_count 6
		.amdhsa_user_sgpr_private_segment_buffer 1
		.amdhsa_user_sgpr_dispatch_ptr 0
		.amdhsa_user_sgpr_queue_ptr 0
		.amdhsa_user_sgpr_kernarg_segment_ptr 1
		.amdhsa_user_sgpr_dispatch_id 0
		.amdhsa_user_sgpr_flat_scratch_init 0
		.amdhsa_user_sgpr_private_segment_size 0
		.amdhsa_wavefront_size32 1
		.amdhsa_uses_dynamic_stack 0
		.amdhsa_system_sgpr_private_segment_wavefront_offset 0
		.amdhsa_system_sgpr_workgroup_id_x 1
		.amdhsa_system_sgpr_workgroup_id_y 0
		.amdhsa_system_sgpr_workgroup_id_z 0
		.amdhsa_system_sgpr_workgroup_info 0
		.amdhsa_system_vgpr_workitem_id 0
		.amdhsa_next_free_vgpr 1
		.amdhsa_next_free_sgpr 1
		.amdhsa_reserve_vcc 0
		.amdhsa_reserve_flat_scratch 0
		.amdhsa_float_round_mode_32 0
		.amdhsa_float_round_mode_16_64 0
		.amdhsa_float_denorm_mode_32 3
		.amdhsa_float_denorm_mode_16_64 3
		.amdhsa_dx10_clamp 1
		.amdhsa_ieee_mode 1
		.amdhsa_fp16_overflow 0
		.amdhsa_workgroup_processor_mode 1
		.amdhsa_memory_ordered 1
		.amdhsa_forward_progress 1
		.amdhsa_shared_vgpr_count 0
		.amdhsa_exception_fp_ieee_invalid_op 0
		.amdhsa_exception_fp_denorm_src 0
		.amdhsa_exception_fp_ieee_div_zero 0
		.amdhsa_exception_fp_ieee_overflow 0
		.amdhsa_exception_fp_ieee_underflow 0
		.amdhsa_exception_fp_ieee_inexact 0
		.amdhsa_exception_int_div_zero 0
	.end_amdhsa_kernel
	.section	.text._ZN7rocprim17ROCPRIM_400000_NS6detail17trampoline_kernelINS0_14default_configENS1_21merge_config_selectorINS0_5tupleIJjjEEENS0_10empty_typeEEEZNS1_10merge_implIS3_NS0_12zip_iteratorINS5_IJN6thrust23THRUST_200600_302600_NS6detail15normal_iteratorINSC_10device_ptrIKjEEEESI_EEEEESK_NSA_INS5_IJNSC_16discard_iteratorINSC_11use_defaultEEESN_EEEEEPS7_SQ_SQ_NSC_11hip_rocprim7__merge17predicate_wrapperIjjNSC_4lessIjEEEEEE10hipError_tPvRmT0_T1_T2_T3_T4_T5_mmT6_P12ihipStream_tbEUlT_E0_NS1_11comp_targetILNS1_3genE5ELNS1_11target_archE942ELNS1_3gpuE9ELNS1_3repE0EEENS1_30default_config_static_selectorELNS0_4arch9wavefront6targetE0EEEvS11_,"axG",@progbits,_ZN7rocprim17ROCPRIM_400000_NS6detail17trampoline_kernelINS0_14default_configENS1_21merge_config_selectorINS0_5tupleIJjjEEENS0_10empty_typeEEEZNS1_10merge_implIS3_NS0_12zip_iteratorINS5_IJN6thrust23THRUST_200600_302600_NS6detail15normal_iteratorINSC_10device_ptrIKjEEEESI_EEEEESK_NSA_INS5_IJNSC_16discard_iteratorINSC_11use_defaultEEESN_EEEEEPS7_SQ_SQ_NSC_11hip_rocprim7__merge17predicate_wrapperIjjNSC_4lessIjEEEEEE10hipError_tPvRmT0_T1_T2_T3_T4_T5_mmT6_P12ihipStream_tbEUlT_E0_NS1_11comp_targetILNS1_3genE5ELNS1_11target_archE942ELNS1_3gpuE9ELNS1_3repE0EEENS1_30default_config_static_selectorELNS0_4arch9wavefront6targetE0EEEvS11_,comdat
.Lfunc_end543:
	.size	_ZN7rocprim17ROCPRIM_400000_NS6detail17trampoline_kernelINS0_14default_configENS1_21merge_config_selectorINS0_5tupleIJjjEEENS0_10empty_typeEEEZNS1_10merge_implIS3_NS0_12zip_iteratorINS5_IJN6thrust23THRUST_200600_302600_NS6detail15normal_iteratorINSC_10device_ptrIKjEEEESI_EEEEESK_NSA_INS5_IJNSC_16discard_iteratorINSC_11use_defaultEEESN_EEEEEPS7_SQ_SQ_NSC_11hip_rocprim7__merge17predicate_wrapperIjjNSC_4lessIjEEEEEE10hipError_tPvRmT0_T1_T2_T3_T4_T5_mmT6_P12ihipStream_tbEUlT_E0_NS1_11comp_targetILNS1_3genE5ELNS1_11target_archE942ELNS1_3gpuE9ELNS1_3repE0EEENS1_30default_config_static_selectorELNS0_4arch9wavefront6targetE0EEEvS11_, .Lfunc_end543-_ZN7rocprim17ROCPRIM_400000_NS6detail17trampoline_kernelINS0_14default_configENS1_21merge_config_selectorINS0_5tupleIJjjEEENS0_10empty_typeEEEZNS1_10merge_implIS3_NS0_12zip_iteratorINS5_IJN6thrust23THRUST_200600_302600_NS6detail15normal_iteratorINSC_10device_ptrIKjEEEESI_EEEEESK_NSA_INS5_IJNSC_16discard_iteratorINSC_11use_defaultEEESN_EEEEEPS7_SQ_SQ_NSC_11hip_rocprim7__merge17predicate_wrapperIjjNSC_4lessIjEEEEEE10hipError_tPvRmT0_T1_T2_T3_T4_T5_mmT6_P12ihipStream_tbEUlT_E0_NS1_11comp_targetILNS1_3genE5ELNS1_11target_archE942ELNS1_3gpuE9ELNS1_3repE0EEENS1_30default_config_static_selectorELNS0_4arch9wavefront6targetE0EEEvS11_
                                        ; -- End function
	.set _ZN7rocprim17ROCPRIM_400000_NS6detail17trampoline_kernelINS0_14default_configENS1_21merge_config_selectorINS0_5tupleIJjjEEENS0_10empty_typeEEEZNS1_10merge_implIS3_NS0_12zip_iteratorINS5_IJN6thrust23THRUST_200600_302600_NS6detail15normal_iteratorINSC_10device_ptrIKjEEEESI_EEEEESK_NSA_INS5_IJNSC_16discard_iteratorINSC_11use_defaultEEESN_EEEEEPS7_SQ_SQ_NSC_11hip_rocprim7__merge17predicate_wrapperIjjNSC_4lessIjEEEEEE10hipError_tPvRmT0_T1_T2_T3_T4_T5_mmT6_P12ihipStream_tbEUlT_E0_NS1_11comp_targetILNS1_3genE5ELNS1_11target_archE942ELNS1_3gpuE9ELNS1_3repE0EEENS1_30default_config_static_selectorELNS0_4arch9wavefront6targetE0EEEvS11_.num_vgpr, 0
	.set _ZN7rocprim17ROCPRIM_400000_NS6detail17trampoline_kernelINS0_14default_configENS1_21merge_config_selectorINS0_5tupleIJjjEEENS0_10empty_typeEEEZNS1_10merge_implIS3_NS0_12zip_iteratorINS5_IJN6thrust23THRUST_200600_302600_NS6detail15normal_iteratorINSC_10device_ptrIKjEEEESI_EEEEESK_NSA_INS5_IJNSC_16discard_iteratorINSC_11use_defaultEEESN_EEEEEPS7_SQ_SQ_NSC_11hip_rocprim7__merge17predicate_wrapperIjjNSC_4lessIjEEEEEE10hipError_tPvRmT0_T1_T2_T3_T4_T5_mmT6_P12ihipStream_tbEUlT_E0_NS1_11comp_targetILNS1_3genE5ELNS1_11target_archE942ELNS1_3gpuE9ELNS1_3repE0EEENS1_30default_config_static_selectorELNS0_4arch9wavefront6targetE0EEEvS11_.num_agpr, 0
	.set _ZN7rocprim17ROCPRIM_400000_NS6detail17trampoline_kernelINS0_14default_configENS1_21merge_config_selectorINS0_5tupleIJjjEEENS0_10empty_typeEEEZNS1_10merge_implIS3_NS0_12zip_iteratorINS5_IJN6thrust23THRUST_200600_302600_NS6detail15normal_iteratorINSC_10device_ptrIKjEEEESI_EEEEESK_NSA_INS5_IJNSC_16discard_iteratorINSC_11use_defaultEEESN_EEEEEPS7_SQ_SQ_NSC_11hip_rocprim7__merge17predicate_wrapperIjjNSC_4lessIjEEEEEE10hipError_tPvRmT0_T1_T2_T3_T4_T5_mmT6_P12ihipStream_tbEUlT_E0_NS1_11comp_targetILNS1_3genE5ELNS1_11target_archE942ELNS1_3gpuE9ELNS1_3repE0EEENS1_30default_config_static_selectorELNS0_4arch9wavefront6targetE0EEEvS11_.numbered_sgpr, 0
	.set _ZN7rocprim17ROCPRIM_400000_NS6detail17trampoline_kernelINS0_14default_configENS1_21merge_config_selectorINS0_5tupleIJjjEEENS0_10empty_typeEEEZNS1_10merge_implIS3_NS0_12zip_iteratorINS5_IJN6thrust23THRUST_200600_302600_NS6detail15normal_iteratorINSC_10device_ptrIKjEEEESI_EEEEESK_NSA_INS5_IJNSC_16discard_iteratorINSC_11use_defaultEEESN_EEEEEPS7_SQ_SQ_NSC_11hip_rocprim7__merge17predicate_wrapperIjjNSC_4lessIjEEEEEE10hipError_tPvRmT0_T1_T2_T3_T4_T5_mmT6_P12ihipStream_tbEUlT_E0_NS1_11comp_targetILNS1_3genE5ELNS1_11target_archE942ELNS1_3gpuE9ELNS1_3repE0EEENS1_30default_config_static_selectorELNS0_4arch9wavefront6targetE0EEEvS11_.num_named_barrier, 0
	.set _ZN7rocprim17ROCPRIM_400000_NS6detail17trampoline_kernelINS0_14default_configENS1_21merge_config_selectorINS0_5tupleIJjjEEENS0_10empty_typeEEEZNS1_10merge_implIS3_NS0_12zip_iteratorINS5_IJN6thrust23THRUST_200600_302600_NS6detail15normal_iteratorINSC_10device_ptrIKjEEEESI_EEEEESK_NSA_INS5_IJNSC_16discard_iteratorINSC_11use_defaultEEESN_EEEEEPS7_SQ_SQ_NSC_11hip_rocprim7__merge17predicate_wrapperIjjNSC_4lessIjEEEEEE10hipError_tPvRmT0_T1_T2_T3_T4_T5_mmT6_P12ihipStream_tbEUlT_E0_NS1_11comp_targetILNS1_3genE5ELNS1_11target_archE942ELNS1_3gpuE9ELNS1_3repE0EEENS1_30default_config_static_selectorELNS0_4arch9wavefront6targetE0EEEvS11_.private_seg_size, 0
	.set _ZN7rocprim17ROCPRIM_400000_NS6detail17trampoline_kernelINS0_14default_configENS1_21merge_config_selectorINS0_5tupleIJjjEEENS0_10empty_typeEEEZNS1_10merge_implIS3_NS0_12zip_iteratorINS5_IJN6thrust23THRUST_200600_302600_NS6detail15normal_iteratorINSC_10device_ptrIKjEEEESI_EEEEESK_NSA_INS5_IJNSC_16discard_iteratorINSC_11use_defaultEEESN_EEEEEPS7_SQ_SQ_NSC_11hip_rocprim7__merge17predicate_wrapperIjjNSC_4lessIjEEEEEE10hipError_tPvRmT0_T1_T2_T3_T4_T5_mmT6_P12ihipStream_tbEUlT_E0_NS1_11comp_targetILNS1_3genE5ELNS1_11target_archE942ELNS1_3gpuE9ELNS1_3repE0EEENS1_30default_config_static_selectorELNS0_4arch9wavefront6targetE0EEEvS11_.uses_vcc, 0
	.set _ZN7rocprim17ROCPRIM_400000_NS6detail17trampoline_kernelINS0_14default_configENS1_21merge_config_selectorINS0_5tupleIJjjEEENS0_10empty_typeEEEZNS1_10merge_implIS3_NS0_12zip_iteratorINS5_IJN6thrust23THRUST_200600_302600_NS6detail15normal_iteratorINSC_10device_ptrIKjEEEESI_EEEEESK_NSA_INS5_IJNSC_16discard_iteratorINSC_11use_defaultEEESN_EEEEEPS7_SQ_SQ_NSC_11hip_rocprim7__merge17predicate_wrapperIjjNSC_4lessIjEEEEEE10hipError_tPvRmT0_T1_T2_T3_T4_T5_mmT6_P12ihipStream_tbEUlT_E0_NS1_11comp_targetILNS1_3genE5ELNS1_11target_archE942ELNS1_3gpuE9ELNS1_3repE0EEENS1_30default_config_static_selectorELNS0_4arch9wavefront6targetE0EEEvS11_.uses_flat_scratch, 0
	.set _ZN7rocprim17ROCPRIM_400000_NS6detail17trampoline_kernelINS0_14default_configENS1_21merge_config_selectorINS0_5tupleIJjjEEENS0_10empty_typeEEEZNS1_10merge_implIS3_NS0_12zip_iteratorINS5_IJN6thrust23THRUST_200600_302600_NS6detail15normal_iteratorINSC_10device_ptrIKjEEEESI_EEEEESK_NSA_INS5_IJNSC_16discard_iteratorINSC_11use_defaultEEESN_EEEEEPS7_SQ_SQ_NSC_11hip_rocprim7__merge17predicate_wrapperIjjNSC_4lessIjEEEEEE10hipError_tPvRmT0_T1_T2_T3_T4_T5_mmT6_P12ihipStream_tbEUlT_E0_NS1_11comp_targetILNS1_3genE5ELNS1_11target_archE942ELNS1_3gpuE9ELNS1_3repE0EEENS1_30default_config_static_selectorELNS0_4arch9wavefront6targetE0EEEvS11_.has_dyn_sized_stack, 0
	.set _ZN7rocprim17ROCPRIM_400000_NS6detail17trampoline_kernelINS0_14default_configENS1_21merge_config_selectorINS0_5tupleIJjjEEENS0_10empty_typeEEEZNS1_10merge_implIS3_NS0_12zip_iteratorINS5_IJN6thrust23THRUST_200600_302600_NS6detail15normal_iteratorINSC_10device_ptrIKjEEEESI_EEEEESK_NSA_INS5_IJNSC_16discard_iteratorINSC_11use_defaultEEESN_EEEEEPS7_SQ_SQ_NSC_11hip_rocprim7__merge17predicate_wrapperIjjNSC_4lessIjEEEEEE10hipError_tPvRmT0_T1_T2_T3_T4_T5_mmT6_P12ihipStream_tbEUlT_E0_NS1_11comp_targetILNS1_3genE5ELNS1_11target_archE942ELNS1_3gpuE9ELNS1_3repE0EEENS1_30default_config_static_selectorELNS0_4arch9wavefront6targetE0EEEvS11_.has_recursion, 0
	.set _ZN7rocprim17ROCPRIM_400000_NS6detail17trampoline_kernelINS0_14default_configENS1_21merge_config_selectorINS0_5tupleIJjjEEENS0_10empty_typeEEEZNS1_10merge_implIS3_NS0_12zip_iteratorINS5_IJN6thrust23THRUST_200600_302600_NS6detail15normal_iteratorINSC_10device_ptrIKjEEEESI_EEEEESK_NSA_INS5_IJNSC_16discard_iteratorINSC_11use_defaultEEESN_EEEEEPS7_SQ_SQ_NSC_11hip_rocprim7__merge17predicate_wrapperIjjNSC_4lessIjEEEEEE10hipError_tPvRmT0_T1_T2_T3_T4_T5_mmT6_P12ihipStream_tbEUlT_E0_NS1_11comp_targetILNS1_3genE5ELNS1_11target_archE942ELNS1_3gpuE9ELNS1_3repE0EEENS1_30default_config_static_selectorELNS0_4arch9wavefront6targetE0EEEvS11_.has_indirect_call, 0
	.section	.AMDGPU.csdata,"",@progbits
; Kernel info:
; codeLenInByte = 0
; TotalNumSgprs: 0
; NumVgprs: 0
; ScratchSize: 0
; MemoryBound: 0
; FloatMode: 240
; IeeeMode: 1
; LDSByteSize: 0 bytes/workgroup (compile time only)
; SGPRBlocks: 0
; VGPRBlocks: 0
; NumSGPRsForWavesPerEU: 1
; NumVGPRsForWavesPerEU: 1
; Occupancy: 16
; WaveLimiterHint : 0
; COMPUTE_PGM_RSRC2:SCRATCH_EN: 0
; COMPUTE_PGM_RSRC2:USER_SGPR: 6
; COMPUTE_PGM_RSRC2:TRAP_HANDLER: 0
; COMPUTE_PGM_RSRC2:TGID_X_EN: 1
; COMPUTE_PGM_RSRC2:TGID_Y_EN: 0
; COMPUTE_PGM_RSRC2:TGID_Z_EN: 0
; COMPUTE_PGM_RSRC2:TIDIG_COMP_CNT: 0
	.section	.text._ZN7rocprim17ROCPRIM_400000_NS6detail17trampoline_kernelINS0_14default_configENS1_21merge_config_selectorINS0_5tupleIJjjEEENS0_10empty_typeEEEZNS1_10merge_implIS3_NS0_12zip_iteratorINS5_IJN6thrust23THRUST_200600_302600_NS6detail15normal_iteratorINSC_10device_ptrIKjEEEESI_EEEEESK_NSA_INS5_IJNSC_16discard_iteratorINSC_11use_defaultEEESN_EEEEEPS7_SQ_SQ_NSC_11hip_rocprim7__merge17predicate_wrapperIjjNSC_4lessIjEEEEEE10hipError_tPvRmT0_T1_T2_T3_T4_T5_mmT6_P12ihipStream_tbEUlT_E0_NS1_11comp_targetILNS1_3genE4ELNS1_11target_archE910ELNS1_3gpuE8ELNS1_3repE0EEENS1_30default_config_static_selectorELNS0_4arch9wavefront6targetE0EEEvS11_,"axG",@progbits,_ZN7rocprim17ROCPRIM_400000_NS6detail17trampoline_kernelINS0_14default_configENS1_21merge_config_selectorINS0_5tupleIJjjEEENS0_10empty_typeEEEZNS1_10merge_implIS3_NS0_12zip_iteratorINS5_IJN6thrust23THRUST_200600_302600_NS6detail15normal_iteratorINSC_10device_ptrIKjEEEESI_EEEEESK_NSA_INS5_IJNSC_16discard_iteratorINSC_11use_defaultEEESN_EEEEEPS7_SQ_SQ_NSC_11hip_rocprim7__merge17predicate_wrapperIjjNSC_4lessIjEEEEEE10hipError_tPvRmT0_T1_T2_T3_T4_T5_mmT6_P12ihipStream_tbEUlT_E0_NS1_11comp_targetILNS1_3genE4ELNS1_11target_archE910ELNS1_3gpuE8ELNS1_3repE0EEENS1_30default_config_static_selectorELNS0_4arch9wavefront6targetE0EEEvS11_,comdat
	.protected	_ZN7rocprim17ROCPRIM_400000_NS6detail17trampoline_kernelINS0_14default_configENS1_21merge_config_selectorINS0_5tupleIJjjEEENS0_10empty_typeEEEZNS1_10merge_implIS3_NS0_12zip_iteratorINS5_IJN6thrust23THRUST_200600_302600_NS6detail15normal_iteratorINSC_10device_ptrIKjEEEESI_EEEEESK_NSA_INS5_IJNSC_16discard_iteratorINSC_11use_defaultEEESN_EEEEEPS7_SQ_SQ_NSC_11hip_rocprim7__merge17predicate_wrapperIjjNSC_4lessIjEEEEEE10hipError_tPvRmT0_T1_T2_T3_T4_T5_mmT6_P12ihipStream_tbEUlT_E0_NS1_11comp_targetILNS1_3genE4ELNS1_11target_archE910ELNS1_3gpuE8ELNS1_3repE0EEENS1_30default_config_static_selectorELNS0_4arch9wavefront6targetE0EEEvS11_ ; -- Begin function _ZN7rocprim17ROCPRIM_400000_NS6detail17trampoline_kernelINS0_14default_configENS1_21merge_config_selectorINS0_5tupleIJjjEEENS0_10empty_typeEEEZNS1_10merge_implIS3_NS0_12zip_iteratorINS5_IJN6thrust23THRUST_200600_302600_NS6detail15normal_iteratorINSC_10device_ptrIKjEEEESI_EEEEESK_NSA_INS5_IJNSC_16discard_iteratorINSC_11use_defaultEEESN_EEEEEPS7_SQ_SQ_NSC_11hip_rocprim7__merge17predicate_wrapperIjjNSC_4lessIjEEEEEE10hipError_tPvRmT0_T1_T2_T3_T4_T5_mmT6_P12ihipStream_tbEUlT_E0_NS1_11comp_targetILNS1_3genE4ELNS1_11target_archE910ELNS1_3gpuE8ELNS1_3repE0EEENS1_30default_config_static_selectorELNS0_4arch9wavefront6targetE0EEEvS11_
	.globl	_ZN7rocprim17ROCPRIM_400000_NS6detail17trampoline_kernelINS0_14default_configENS1_21merge_config_selectorINS0_5tupleIJjjEEENS0_10empty_typeEEEZNS1_10merge_implIS3_NS0_12zip_iteratorINS5_IJN6thrust23THRUST_200600_302600_NS6detail15normal_iteratorINSC_10device_ptrIKjEEEESI_EEEEESK_NSA_INS5_IJNSC_16discard_iteratorINSC_11use_defaultEEESN_EEEEEPS7_SQ_SQ_NSC_11hip_rocprim7__merge17predicate_wrapperIjjNSC_4lessIjEEEEEE10hipError_tPvRmT0_T1_T2_T3_T4_T5_mmT6_P12ihipStream_tbEUlT_E0_NS1_11comp_targetILNS1_3genE4ELNS1_11target_archE910ELNS1_3gpuE8ELNS1_3repE0EEENS1_30default_config_static_selectorELNS0_4arch9wavefront6targetE0EEEvS11_
	.p2align	8
	.type	_ZN7rocprim17ROCPRIM_400000_NS6detail17trampoline_kernelINS0_14default_configENS1_21merge_config_selectorINS0_5tupleIJjjEEENS0_10empty_typeEEEZNS1_10merge_implIS3_NS0_12zip_iteratorINS5_IJN6thrust23THRUST_200600_302600_NS6detail15normal_iteratorINSC_10device_ptrIKjEEEESI_EEEEESK_NSA_INS5_IJNSC_16discard_iteratorINSC_11use_defaultEEESN_EEEEEPS7_SQ_SQ_NSC_11hip_rocprim7__merge17predicate_wrapperIjjNSC_4lessIjEEEEEE10hipError_tPvRmT0_T1_T2_T3_T4_T5_mmT6_P12ihipStream_tbEUlT_E0_NS1_11comp_targetILNS1_3genE4ELNS1_11target_archE910ELNS1_3gpuE8ELNS1_3repE0EEENS1_30default_config_static_selectorELNS0_4arch9wavefront6targetE0EEEvS11_,@function
_ZN7rocprim17ROCPRIM_400000_NS6detail17trampoline_kernelINS0_14default_configENS1_21merge_config_selectorINS0_5tupleIJjjEEENS0_10empty_typeEEEZNS1_10merge_implIS3_NS0_12zip_iteratorINS5_IJN6thrust23THRUST_200600_302600_NS6detail15normal_iteratorINSC_10device_ptrIKjEEEESI_EEEEESK_NSA_INS5_IJNSC_16discard_iteratorINSC_11use_defaultEEESN_EEEEEPS7_SQ_SQ_NSC_11hip_rocprim7__merge17predicate_wrapperIjjNSC_4lessIjEEEEEE10hipError_tPvRmT0_T1_T2_T3_T4_T5_mmT6_P12ihipStream_tbEUlT_E0_NS1_11comp_targetILNS1_3genE4ELNS1_11target_archE910ELNS1_3gpuE8ELNS1_3repE0EEENS1_30default_config_static_selectorELNS0_4arch9wavefront6targetE0EEEvS11_: ; @_ZN7rocprim17ROCPRIM_400000_NS6detail17trampoline_kernelINS0_14default_configENS1_21merge_config_selectorINS0_5tupleIJjjEEENS0_10empty_typeEEEZNS1_10merge_implIS3_NS0_12zip_iteratorINS5_IJN6thrust23THRUST_200600_302600_NS6detail15normal_iteratorINSC_10device_ptrIKjEEEESI_EEEEESK_NSA_INS5_IJNSC_16discard_iteratorINSC_11use_defaultEEESN_EEEEEPS7_SQ_SQ_NSC_11hip_rocprim7__merge17predicate_wrapperIjjNSC_4lessIjEEEEEE10hipError_tPvRmT0_T1_T2_T3_T4_T5_mmT6_P12ihipStream_tbEUlT_E0_NS1_11comp_targetILNS1_3genE4ELNS1_11target_archE910ELNS1_3gpuE8ELNS1_3repE0EEENS1_30default_config_static_selectorELNS0_4arch9wavefront6targetE0EEEvS11_
; %bb.0:
	.section	.rodata,"a",@progbits
	.p2align	6, 0x0
	.amdhsa_kernel _ZN7rocprim17ROCPRIM_400000_NS6detail17trampoline_kernelINS0_14default_configENS1_21merge_config_selectorINS0_5tupleIJjjEEENS0_10empty_typeEEEZNS1_10merge_implIS3_NS0_12zip_iteratorINS5_IJN6thrust23THRUST_200600_302600_NS6detail15normal_iteratorINSC_10device_ptrIKjEEEESI_EEEEESK_NSA_INS5_IJNSC_16discard_iteratorINSC_11use_defaultEEESN_EEEEEPS7_SQ_SQ_NSC_11hip_rocprim7__merge17predicate_wrapperIjjNSC_4lessIjEEEEEE10hipError_tPvRmT0_T1_T2_T3_T4_T5_mmT6_P12ihipStream_tbEUlT_E0_NS1_11comp_targetILNS1_3genE4ELNS1_11target_archE910ELNS1_3gpuE8ELNS1_3repE0EEENS1_30default_config_static_selectorELNS0_4arch9wavefront6targetE0EEEvS11_
		.amdhsa_group_segment_fixed_size 0
		.amdhsa_private_segment_fixed_size 0
		.amdhsa_kernarg_size 128
		.amdhsa_user_sgpr_count 6
		.amdhsa_user_sgpr_private_segment_buffer 1
		.amdhsa_user_sgpr_dispatch_ptr 0
		.amdhsa_user_sgpr_queue_ptr 0
		.amdhsa_user_sgpr_kernarg_segment_ptr 1
		.amdhsa_user_sgpr_dispatch_id 0
		.amdhsa_user_sgpr_flat_scratch_init 0
		.amdhsa_user_sgpr_private_segment_size 0
		.amdhsa_wavefront_size32 1
		.amdhsa_uses_dynamic_stack 0
		.amdhsa_system_sgpr_private_segment_wavefront_offset 0
		.amdhsa_system_sgpr_workgroup_id_x 1
		.amdhsa_system_sgpr_workgroup_id_y 0
		.amdhsa_system_sgpr_workgroup_id_z 0
		.amdhsa_system_sgpr_workgroup_info 0
		.amdhsa_system_vgpr_workitem_id 0
		.amdhsa_next_free_vgpr 1
		.amdhsa_next_free_sgpr 1
		.amdhsa_reserve_vcc 0
		.amdhsa_reserve_flat_scratch 0
		.amdhsa_float_round_mode_32 0
		.amdhsa_float_round_mode_16_64 0
		.amdhsa_float_denorm_mode_32 3
		.amdhsa_float_denorm_mode_16_64 3
		.amdhsa_dx10_clamp 1
		.amdhsa_ieee_mode 1
		.amdhsa_fp16_overflow 0
		.amdhsa_workgroup_processor_mode 1
		.amdhsa_memory_ordered 1
		.amdhsa_forward_progress 1
		.amdhsa_shared_vgpr_count 0
		.amdhsa_exception_fp_ieee_invalid_op 0
		.amdhsa_exception_fp_denorm_src 0
		.amdhsa_exception_fp_ieee_div_zero 0
		.amdhsa_exception_fp_ieee_overflow 0
		.amdhsa_exception_fp_ieee_underflow 0
		.amdhsa_exception_fp_ieee_inexact 0
		.amdhsa_exception_int_div_zero 0
	.end_amdhsa_kernel
	.section	.text._ZN7rocprim17ROCPRIM_400000_NS6detail17trampoline_kernelINS0_14default_configENS1_21merge_config_selectorINS0_5tupleIJjjEEENS0_10empty_typeEEEZNS1_10merge_implIS3_NS0_12zip_iteratorINS5_IJN6thrust23THRUST_200600_302600_NS6detail15normal_iteratorINSC_10device_ptrIKjEEEESI_EEEEESK_NSA_INS5_IJNSC_16discard_iteratorINSC_11use_defaultEEESN_EEEEEPS7_SQ_SQ_NSC_11hip_rocprim7__merge17predicate_wrapperIjjNSC_4lessIjEEEEEE10hipError_tPvRmT0_T1_T2_T3_T4_T5_mmT6_P12ihipStream_tbEUlT_E0_NS1_11comp_targetILNS1_3genE4ELNS1_11target_archE910ELNS1_3gpuE8ELNS1_3repE0EEENS1_30default_config_static_selectorELNS0_4arch9wavefront6targetE0EEEvS11_,"axG",@progbits,_ZN7rocprim17ROCPRIM_400000_NS6detail17trampoline_kernelINS0_14default_configENS1_21merge_config_selectorINS0_5tupleIJjjEEENS0_10empty_typeEEEZNS1_10merge_implIS3_NS0_12zip_iteratorINS5_IJN6thrust23THRUST_200600_302600_NS6detail15normal_iteratorINSC_10device_ptrIKjEEEESI_EEEEESK_NSA_INS5_IJNSC_16discard_iteratorINSC_11use_defaultEEESN_EEEEEPS7_SQ_SQ_NSC_11hip_rocprim7__merge17predicate_wrapperIjjNSC_4lessIjEEEEEE10hipError_tPvRmT0_T1_T2_T3_T4_T5_mmT6_P12ihipStream_tbEUlT_E0_NS1_11comp_targetILNS1_3genE4ELNS1_11target_archE910ELNS1_3gpuE8ELNS1_3repE0EEENS1_30default_config_static_selectorELNS0_4arch9wavefront6targetE0EEEvS11_,comdat
.Lfunc_end544:
	.size	_ZN7rocprim17ROCPRIM_400000_NS6detail17trampoline_kernelINS0_14default_configENS1_21merge_config_selectorINS0_5tupleIJjjEEENS0_10empty_typeEEEZNS1_10merge_implIS3_NS0_12zip_iteratorINS5_IJN6thrust23THRUST_200600_302600_NS6detail15normal_iteratorINSC_10device_ptrIKjEEEESI_EEEEESK_NSA_INS5_IJNSC_16discard_iteratorINSC_11use_defaultEEESN_EEEEEPS7_SQ_SQ_NSC_11hip_rocprim7__merge17predicate_wrapperIjjNSC_4lessIjEEEEEE10hipError_tPvRmT0_T1_T2_T3_T4_T5_mmT6_P12ihipStream_tbEUlT_E0_NS1_11comp_targetILNS1_3genE4ELNS1_11target_archE910ELNS1_3gpuE8ELNS1_3repE0EEENS1_30default_config_static_selectorELNS0_4arch9wavefront6targetE0EEEvS11_, .Lfunc_end544-_ZN7rocprim17ROCPRIM_400000_NS6detail17trampoline_kernelINS0_14default_configENS1_21merge_config_selectorINS0_5tupleIJjjEEENS0_10empty_typeEEEZNS1_10merge_implIS3_NS0_12zip_iteratorINS5_IJN6thrust23THRUST_200600_302600_NS6detail15normal_iteratorINSC_10device_ptrIKjEEEESI_EEEEESK_NSA_INS5_IJNSC_16discard_iteratorINSC_11use_defaultEEESN_EEEEEPS7_SQ_SQ_NSC_11hip_rocprim7__merge17predicate_wrapperIjjNSC_4lessIjEEEEEE10hipError_tPvRmT0_T1_T2_T3_T4_T5_mmT6_P12ihipStream_tbEUlT_E0_NS1_11comp_targetILNS1_3genE4ELNS1_11target_archE910ELNS1_3gpuE8ELNS1_3repE0EEENS1_30default_config_static_selectorELNS0_4arch9wavefront6targetE0EEEvS11_
                                        ; -- End function
	.set _ZN7rocprim17ROCPRIM_400000_NS6detail17trampoline_kernelINS0_14default_configENS1_21merge_config_selectorINS0_5tupleIJjjEEENS0_10empty_typeEEEZNS1_10merge_implIS3_NS0_12zip_iteratorINS5_IJN6thrust23THRUST_200600_302600_NS6detail15normal_iteratorINSC_10device_ptrIKjEEEESI_EEEEESK_NSA_INS5_IJNSC_16discard_iteratorINSC_11use_defaultEEESN_EEEEEPS7_SQ_SQ_NSC_11hip_rocprim7__merge17predicate_wrapperIjjNSC_4lessIjEEEEEE10hipError_tPvRmT0_T1_T2_T3_T4_T5_mmT6_P12ihipStream_tbEUlT_E0_NS1_11comp_targetILNS1_3genE4ELNS1_11target_archE910ELNS1_3gpuE8ELNS1_3repE0EEENS1_30default_config_static_selectorELNS0_4arch9wavefront6targetE0EEEvS11_.num_vgpr, 0
	.set _ZN7rocprim17ROCPRIM_400000_NS6detail17trampoline_kernelINS0_14default_configENS1_21merge_config_selectorINS0_5tupleIJjjEEENS0_10empty_typeEEEZNS1_10merge_implIS3_NS0_12zip_iteratorINS5_IJN6thrust23THRUST_200600_302600_NS6detail15normal_iteratorINSC_10device_ptrIKjEEEESI_EEEEESK_NSA_INS5_IJNSC_16discard_iteratorINSC_11use_defaultEEESN_EEEEEPS7_SQ_SQ_NSC_11hip_rocprim7__merge17predicate_wrapperIjjNSC_4lessIjEEEEEE10hipError_tPvRmT0_T1_T2_T3_T4_T5_mmT6_P12ihipStream_tbEUlT_E0_NS1_11comp_targetILNS1_3genE4ELNS1_11target_archE910ELNS1_3gpuE8ELNS1_3repE0EEENS1_30default_config_static_selectorELNS0_4arch9wavefront6targetE0EEEvS11_.num_agpr, 0
	.set _ZN7rocprim17ROCPRIM_400000_NS6detail17trampoline_kernelINS0_14default_configENS1_21merge_config_selectorINS0_5tupleIJjjEEENS0_10empty_typeEEEZNS1_10merge_implIS3_NS0_12zip_iteratorINS5_IJN6thrust23THRUST_200600_302600_NS6detail15normal_iteratorINSC_10device_ptrIKjEEEESI_EEEEESK_NSA_INS5_IJNSC_16discard_iteratorINSC_11use_defaultEEESN_EEEEEPS7_SQ_SQ_NSC_11hip_rocprim7__merge17predicate_wrapperIjjNSC_4lessIjEEEEEE10hipError_tPvRmT0_T1_T2_T3_T4_T5_mmT6_P12ihipStream_tbEUlT_E0_NS1_11comp_targetILNS1_3genE4ELNS1_11target_archE910ELNS1_3gpuE8ELNS1_3repE0EEENS1_30default_config_static_selectorELNS0_4arch9wavefront6targetE0EEEvS11_.numbered_sgpr, 0
	.set _ZN7rocprim17ROCPRIM_400000_NS6detail17trampoline_kernelINS0_14default_configENS1_21merge_config_selectorINS0_5tupleIJjjEEENS0_10empty_typeEEEZNS1_10merge_implIS3_NS0_12zip_iteratorINS5_IJN6thrust23THRUST_200600_302600_NS6detail15normal_iteratorINSC_10device_ptrIKjEEEESI_EEEEESK_NSA_INS5_IJNSC_16discard_iteratorINSC_11use_defaultEEESN_EEEEEPS7_SQ_SQ_NSC_11hip_rocprim7__merge17predicate_wrapperIjjNSC_4lessIjEEEEEE10hipError_tPvRmT0_T1_T2_T3_T4_T5_mmT6_P12ihipStream_tbEUlT_E0_NS1_11comp_targetILNS1_3genE4ELNS1_11target_archE910ELNS1_3gpuE8ELNS1_3repE0EEENS1_30default_config_static_selectorELNS0_4arch9wavefront6targetE0EEEvS11_.num_named_barrier, 0
	.set _ZN7rocprim17ROCPRIM_400000_NS6detail17trampoline_kernelINS0_14default_configENS1_21merge_config_selectorINS0_5tupleIJjjEEENS0_10empty_typeEEEZNS1_10merge_implIS3_NS0_12zip_iteratorINS5_IJN6thrust23THRUST_200600_302600_NS6detail15normal_iteratorINSC_10device_ptrIKjEEEESI_EEEEESK_NSA_INS5_IJNSC_16discard_iteratorINSC_11use_defaultEEESN_EEEEEPS7_SQ_SQ_NSC_11hip_rocprim7__merge17predicate_wrapperIjjNSC_4lessIjEEEEEE10hipError_tPvRmT0_T1_T2_T3_T4_T5_mmT6_P12ihipStream_tbEUlT_E0_NS1_11comp_targetILNS1_3genE4ELNS1_11target_archE910ELNS1_3gpuE8ELNS1_3repE0EEENS1_30default_config_static_selectorELNS0_4arch9wavefront6targetE0EEEvS11_.private_seg_size, 0
	.set _ZN7rocprim17ROCPRIM_400000_NS6detail17trampoline_kernelINS0_14default_configENS1_21merge_config_selectorINS0_5tupleIJjjEEENS0_10empty_typeEEEZNS1_10merge_implIS3_NS0_12zip_iteratorINS5_IJN6thrust23THRUST_200600_302600_NS6detail15normal_iteratorINSC_10device_ptrIKjEEEESI_EEEEESK_NSA_INS5_IJNSC_16discard_iteratorINSC_11use_defaultEEESN_EEEEEPS7_SQ_SQ_NSC_11hip_rocprim7__merge17predicate_wrapperIjjNSC_4lessIjEEEEEE10hipError_tPvRmT0_T1_T2_T3_T4_T5_mmT6_P12ihipStream_tbEUlT_E0_NS1_11comp_targetILNS1_3genE4ELNS1_11target_archE910ELNS1_3gpuE8ELNS1_3repE0EEENS1_30default_config_static_selectorELNS0_4arch9wavefront6targetE0EEEvS11_.uses_vcc, 0
	.set _ZN7rocprim17ROCPRIM_400000_NS6detail17trampoline_kernelINS0_14default_configENS1_21merge_config_selectorINS0_5tupleIJjjEEENS0_10empty_typeEEEZNS1_10merge_implIS3_NS0_12zip_iteratorINS5_IJN6thrust23THRUST_200600_302600_NS6detail15normal_iteratorINSC_10device_ptrIKjEEEESI_EEEEESK_NSA_INS5_IJNSC_16discard_iteratorINSC_11use_defaultEEESN_EEEEEPS7_SQ_SQ_NSC_11hip_rocprim7__merge17predicate_wrapperIjjNSC_4lessIjEEEEEE10hipError_tPvRmT0_T1_T2_T3_T4_T5_mmT6_P12ihipStream_tbEUlT_E0_NS1_11comp_targetILNS1_3genE4ELNS1_11target_archE910ELNS1_3gpuE8ELNS1_3repE0EEENS1_30default_config_static_selectorELNS0_4arch9wavefront6targetE0EEEvS11_.uses_flat_scratch, 0
	.set _ZN7rocprim17ROCPRIM_400000_NS6detail17trampoline_kernelINS0_14default_configENS1_21merge_config_selectorINS0_5tupleIJjjEEENS0_10empty_typeEEEZNS1_10merge_implIS3_NS0_12zip_iteratorINS5_IJN6thrust23THRUST_200600_302600_NS6detail15normal_iteratorINSC_10device_ptrIKjEEEESI_EEEEESK_NSA_INS5_IJNSC_16discard_iteratorINSC_11use_defaultEEESN_EEEEEPS7_SQ_SQ_NSC_11hip_rocprim7__merge17predicate_wrapperIjjNSC_4lessIjEEEEEE10hipError_tPvRmT0_T1_T2_T3_T4_T5_mmT6_P12ihipStream_tbEUlT_E0_NS1_11comp_targetILNS1_3genE4ELNS1_11target_archE910ELNS1_3gpuE8ELNS1_3repE0EEENS1_30default_config_static_selectorELNS0_4arch9wavefront6targetE0EEEvS11_.has_dyn_sized_stack, 0
	.set _ZN7rocprim17ROCPRIM_400000_NS6detail17trampoline_kernelINS0_14default_configENS1_21merge_config_selectorINS0_5tupleIJjjEEENS0_10empty_typeEEEZNS1_10merge_implIS3_NS0_12zip_iteratorINS5_IJN6thrust23THRUST_200600_302600_NS6detail15normal_iteratorINSC_10device_ptrIKjEEEESI_EEEEESK_NSA_INS5_IJNSC_16discard_iteratorINSC_11use_defaultEEESN_EEEEEPS7_SQ_SQ_NSC_11hip_rocprim7__merge17predicate_wrapperIjjNSC_4lessIjEEEEEE10hipError_tPvRmT0_T1_T2_T3_T4_T5_mmT6_P12ihipStream_tbEUlT_E0_NS1_11comp_targetILNS1_3genE4ELNS1_11target_archE910ELNS1_3gpuE8ELNS1_3repE0EEENS1_30default_config_static_selectorELNS0_4arch9wavefront6targetE0EEEvS11_.has_recursion, 0
	.set _ZN7rocprim17ROCPRIM_400000_NS6detail17trampoline_kernelINS0_14default_configENS1_21merge_config_selectorINS0_5tupleIJjjEEENS0_10empty_typeEEEZNS1_10merge_implIS3_NS0_12zip_iteratorINS5_IJN6thrust23THRUST_200600_302600_NS6detail15normal_iteratorINSC_10device_ptrIKjEEEESI_EEEEESK_NSA_INS5_IJNSC_16discard_iteratorINSC_11use_defaultEEESN_EEEEEPS7_SQ_SQ_NSC_11hip_rocprim7__merge17predicate_wrapperIjjNSC_4lessIjEEEEEE10hipError_tPvRmT0_T1_T2_T3_T4_T5_mmT6_P12ihipStream_tbEUlT_E0_NS1_11comp_targetILNS1_3genE4ELNS1_11target_archE910ELNS1_3gpuE8ELNS1_3repE0EEENS1_30default_config_static_selectorELNS0_4arch9wavefront6targetE0EEEvS11_.has_indirect_call, 0
	.section	.AMDGPU.csdata,"",@progbits
; Kernel info:
; codeLenInByte = 0
; TotalNumSgprs: 0
; NumVgprs: 0
; ScratchSize: 0
; MemoryBound: 0
; FloatMode: 240
; IeeeMode: 1
; LDSByteSize: 0 bytes/workgroup (compile time only)
; SGPRBlocks: 0
; VGPRBlocks: 0
; NumSGPRsForWavesPerEU: 1
; NumVGPRsForWavesPerEU: 1
; Occupancy: 16
; WaveLimiterHint : 0
; COMPUTE_PGM_RSRC2:SCRATCH_EN: 0
; COMPUTE_PGM_RSRC2:USER_SGPR: 6
; COMPUTE_PGM_RSRC2:TRAP_HANDLER: 0
; COMPUTE_PGM_RSRC2:TGID_X_EN: 1
; COMPUTE_PGM_RSRC2:TGID_Y_EN: 0
; COMPUTE_PGM_RSRC2:TGID_Z_EN: 0
; COMPUTE_PGM_RSRC2:TIDIG_COMP_CNT: 0
	.section	.text._ZN7rocprim17ROCPRIM_400000_NS6detail17trampoline_kernelINS0_14default_configENS1_21merge_config_selectorINS0_5tupleIJjjEEENS0_10empty_typeEEEZNS1_10merge_implIS3_NS0_12zip_iteratorINS5_IJN6thrust23THRUST_200600_302600_NS6detail15normal_iteratorINSC_10device_ptrIKjEEEESI_EEEEESK_NSA_INS5_IJNSC_16discard_iteratorINSC_11use_defaultEEESN_EEEEEPS7_SQ_SQ_NSC_11hip_rocprim7__merge17predicate_wrapperIjjNSC_4lessIjEEEEEE10hipError_tPvRmT0_T1_T2_T3_T4_T5_mmT6_P12ihipStream_tbEUlT_E0_NS1_11comp_targetILNS1_3genE3ELNS1_11target_archE908ELNS1_3gpuE7ELNS1_3repE0EEENS1_30default_config_static_selectorELNS0_4arch9wavefront6targetE0EEEvS11_,"axG",@progbits,_ZN7rocprim17ROCPRIM_400000_NS6detail17trampoline_kernelINS0_14default_configENS1_21merge_config_selectorINS0_5tupleIJjjEEENS0_10empty_typeEEEZNS1_10merge_implIS3_NS0_12zip_iteratorINS5_IJN6thrust23THRUST_200600_302600_NS6detail15normal_iteratorINSC_10device_ptrIKjEEEESI_EEEEESK_NSA_INS5_IJNSC_16discard_iteratorINSC_11use_defaultEEESN_EEEEEPS7_SQ_SQ_NSC_11hip_rocprim7__merge17predicate_wrapperIjjNSC_4lessIjEEEEEE10hipError_tPvRmT0_T1_T2_T3_T4_T5_mmT6_P12ihipStream_tbEUlT_E0_NS1_11comp_targetILNS1_3genE3ELNS1_11target_archE908ELNS1_3gpuE7ELNS1_3repE0EEENS1_30default_config_static_selectorELNS0_4arch9wavefront6targetE0EEEvS11_,comdat
	.protected	_ZN7rocprim17ROCPRIM_400000_NS6detail17trampoline_kernelINS0_14default_configENS1_21merge_config_selectorINS0_5tupleIJjjEEENS0_10empty_typeEEEZNS1_10merge_implIS3_NS0_12zip_iteratorINS5_IJN6thrust23THRUST_200600_302600_NS6detail15normal_iteratorINSC_10device_ptrIKjEEEESI_EEEEESK_NSA_INS5_IJNSC_16discard_iteratorINSC_11use_defaultEEESN_EEEEEPS7_SQ_SQ_NSC_11hip_rocprim7__merge17predicate_wrapperIjjNSC_4lessIjEEEEEE10hipError_tPvRmT0_T1_T2_T3_T4_T5_mmT6_P12ihipStream_tbEUlT_E0_NS1_11comp_targetILNS1_3genE3ELNS1_11target_archE908ELNS1_3gpuE7ELNS1_3repE0EEENS1_30default_config_static_selectorELNS0_4arch9wavefront6targetE0EEEvS11_ ; -- Begin function _ZN7rocprim17ROCPRIM_400000_NS6detail17trampoline_kernelINS0_14default_configENS1_21merge_config_selectorINS0_5tupleIJjjEEENS0_10empty_typeEEEZNS1_10merge_implIS3_NS0_12zip_iteratorINS5_IJN6thrust23THRUST_200600_302600_NS6detail15normal_iteratorINSC_10device_ptrIKjEEEESI_EEEEESK_NSA_INS5_IJNSC_16discard_iteratorINSC_11use_defaultEEESN_EEEEEPS7_SQ_SQ_NSC_11hip_rocprim7__merge17predicate_wrapperIjjNSC_4lessIjEEEEEE10hipError_tPvRmT0_T1_T2_T3_T4_T5_mmT6_P12ihipStream_tbEUlT_E0_NS1_11comp_targetILNS1_3genE3ELNS1_11target_archE908ELNS1_3gpuE7ELNS1_3repE0EEENS1_30default_config_static_selectorELNS0_4arch9wavefront6targetE0EEEvS11_
	.globl	_ZN7rocprim17ROCPRIM_400000_NS6detail17trampoline_kernelINS0_14default_configENS1_21merge_config_selectorINS0_5tupleIJjjEEENS0_10empty_typeEEEZNS1_10merge_implIS3_NS0_12zip_iteratorINS5_IJN6thrust23THRUST_200600_302600_NS6detail15normal_iteratorINSC_10device_ptrIKjEEEESI_EEEEESK_NSA_INS5_IJNSC_16discard_iteratorINSC_11use_defaultEEESN_EEEEEPS7_SQ_SQ_NSC_11hip_rocprim7__merge17predicate_wrapperIjjNSC_4lessIjEEEEEE10hipError_tPvRmT0_T1_T2_T3_T4_T5_mmT6_P12ihipStream_tbEUlT_E0_NS1_11comp_targetILNS1_3genE3ELNS1_11target_archE908ELNS1_3gpuE7ELNS1_3repE0EEENS1_30default_config_static_selectorELNS0_4arch9wavefront6targetE0EEEvS11_
	.p2align	8
	.type	_ZN7rocprim17ROCPRIM_400000_NS6detail17trampoline_kernelINS0_14default_configENS1_21merge_config_selectorINS0_5tupleIJjjEEENS0_10empty_typeEEEZNS1_10merge_implIS3_NS0_12zip_iteratorINS5_IJN6thrust23THRUST_200600_302600_NS6detail15normal_iteratorINSC_10device_ptrIKjEEEESI_EEEEESK_NSA_INS5_IJNSC_16discard_iteratorINSC_11use_defaultEEESN_EEEEEPS7_SQ_SQ_NSC_11hip_rocprim7__merge17predicate_wrapperIjjNSC_4lessIjEEEEEE10hipError_tPvRmT0_T1_T2_T3_T4_T5_mmT6_P12ihipStream_tbEUlT_E0_NS1_11comp_targetILNS1_3genE3ELNS1_11target_archE908ELNS1_3gpuE7ELNS1_3repE0EEENS1_30default_config_static_selectorELNS0_4arch9wavefront6targetE0EEEvS11_,@function
_ZN7rocprim17ROCPRIM_400000_NS6detail17trampoline_kernelINS0_14default_configENS1_21merge_config_selectorINS0_5tupleIJjjEEENS0_10empty_typeEEEZNS1_10merge_implIS3_NS0_12zip_iteratorINS5_IJN6thrust23THRUST_200600_302600_NS6detail15normal_iteratorINSC_10device_ptrIKjEEEESI_EEEEESK_NSA_INS5_IJNSC_16discard_iteratorINSC_11use_defaultEEESN_EEEEEPS7_SQ_SQ_NSC_11hip_rocprim7__merge17predicate_wrapperIjjNSC_4lessIjEEEEEE10hipError_tPvRmT0_T1_T2_T3_T4_T5_mmT6_P12ihipStream_tbEUlT_E0_NS1_11comp_targetILNS1_3genE3ELNS1_11target_archE908ELNS1_3gpuE7ELNS1_3repE0EEENS1_30default_config_static_selectorELNS0_4arch9wavefront6targetE0EEEvS11_: ; @_ZN7rocprim17ROCPRIM_400000_NS6detail17trampoline_kernelINS0_14default_configENS1_21merge_config_selectorINS0_5tupleIJjjEEENS0_10empty_typeEEEZNS1_10merge_implIS3_NS0_12zip_iteratorINS5_IJN6thrust23THRUST_200600_302600_NS6detail15normal_iteratorINSC_10device_ptrIKjEEEESI_EEEEESK_NSA_INS5_IJNSC_16discard_iteratorINSC_11use_defaultEEESN_EEEEEPS7_SQ_SQ_NSC_11hip_rocprim7__merge17predicate_wrapperIjjNSC_4lessIjEEEEEE10hipError_tPvRmT0_T1_T2_T3_T4_T5_mmT6_P12ihipStream_tbEUlT_E0_NS1_11comp_targetILNS1_3genE3ELNS1_11target_archE908ELNS1_3gpuE7ELNS1_3repE0EEENS1_30default_config_static_selectorELNS0_4arch9wavefront6targetE0EEEvS11_
; %bb.0:
	.section	.rodata,"a",@progbits
	.p2align	6, 0x0
	.amdhsa_kernel _ZN7rocprim17ROCPRIM_400000_NS6detail17trampoline_kernelINS0_14default_configENS1_21merge_config_selectorINS0_5tupleIJjjEEENS0_10empty_typeEEEZNS1_10merge_implIS3_NS0_12zip_iteratorINS5_IJN6thrust23THRUST_200600_302600_NS6detail15normal_iteratorINSC_10device_ptrIKjEEEESI_EEEEESK_NSA_INS5_IJNSC_16discard_iteratorINSC_11use_defaultEEESN_EEEEEPS7_SQ_SQ_NSC_11hip_rocprim7__merge17predicate_wrapperIjjNSC_4lessIjEEEEEE10hipError_tPvRmT0_T1_T2_T3_T4_T5_mmT6_P12ihipStream_tbEUlT_E0_NS1_11comp_targetILNS1_3genE3ELNS1_11target_archE908ELNS1_3gpuE7ELNS1_3repE0EEENS1_30default_config_static_selectorELNS0_4arch9wavefront6targetE0EEEvS11_
		.amdhsa_group_segment_fixed_size 0
		.amdhsa_private_segment_fixed_size 0
		.amdhsa_kernarg_size 128
		.amdhsa_user_sgpr_count 6
		.amdhsa_user_sgpr_private_segment_buffer 1
		.amdhsa_user_sgpr_dispatch_ptr 0
		.amdhsa_user_sgpr_queue_ptr 0
		.amdhsa_user_sgpr_kernarg_segment_ptr 1
		.amdhsa_user_sgpr_dispatch_id 0
		.amdhsa_user_sgpr_flat_scratch_init 0
		.amdhsa_user_sgpr_private_segment_size 0
		.amdhsa_wavefront_size32 1
		.amdhsa_uses_dynamic_stack 0
		.amdhsa_system_sgpr_private_segment_wavefront_offset 0
		.amdhsa_system_sgpr_workgroup_id_x 1
		.amdhsa_system_sgpr_workgroup_id_y 0
		.amdhsa_system_sgpr_workgroup_id_z 0
		.amdhsa_system_sgpr_workgroup_info 0
		.amdhsa_system_vgpr_workitem_id 0
		.amdhsa_next_free_vgpr 1
		.amdhsa_next_free_sgpr 1
		.amdhsa_reserve_vcc 0
		.amdhsa_reserve_flat_scratch 0
		.amdhsa_float_round_mode_32 0
		.amdhsa_float_round_mode_16_64 0
		.amdhsa_float_denorm_mode_32 3
		.amdhsa_float_denorm_mode_16_64 3
		.amdhsa_dx10_clamp 1
		.amdhsa_ieee_mode 1
		.amdhsa_fp16_overflow 0
		.amdhsa_workgroup_processor_mode 1
		.amdhsa_memory_ordered 1
		.amdhsa_forward_progress 1
		.amdhsa_shared_vgpr_count 0
		.amdhsa_exception_fp_ieee_invalid_op 0
		.amdhsa_exception_fp_denorm_src 0
		.amdhsa_exception_fp_ieee_div_zero 0
		.amdhsa_exception_fp_ieee_overflow 0
		.amdhsa_exception_fp_ieee_underflow 0
		.amdhsa_exception_fp_ieee_inexact 0
		.amdhsa_exception_int_div_zero 0
	.end_amdhsa_kernel
	.section	.text._ZN7rocprim17ROCPRIM_400000_NS6detail17trampoline_kernelINS0_14default_configENS1_21merge_config_selectorINS0_5tupleIJjjEEENS0_10empty_typeEEEZNS1_10merge_implIS3_NS0_12zip_iteratorINS5_IJN6thrust23THRUST_200600_302600_NS6detail15normal_iteratorINSC_10device_ptrIKjEEEESI_EEEEESK_NSA_INS5_IJNSC_16discard_iteratorINSC_11use_defaultEEESN_EEEEEPS7_SQ_SQ_NSC_11hip_rocprim7__merge17predicate_wrapperIjjNSC_4lessIjEEEEEE10hipError_tPvRmT0_T1_T2_T3_T4_T5_mmT6_P12ihipStream_tbEUlT_E0_NS1_11comp_targetILNS1_3genE3ELNS1_11target_archE908ELNS1_3gpuE7ELNS1_3repE0EEENS1_30default_config_static_selectorELNS0_4arch9wavefront6targetE0EEEvS11_,"axG",@progbits,_ZN7rocprim17ROCPRIM_400000_NS6detail17trampoline_kernelINS0_14default_configENS1_21merge_config_selectorINS0_5tupleIJjjEEENS0_10empty_typeEEEZNS1_10merge_implIS3_NS0_12zip_iteratorINS5_IJN6thrust23THRUST_200600_302600_NS6detail15normal_iteratorINSC_10device_ptrIKjEEEESI_EEEEESK_NSA_INS5_IJNSC_16discard_iteratorINSC_11use_defaultEEESN_EEEEEPS7_SQ_SQ_NSC_11hip_rocprim7__merge17predicate_wrapperIjjNSC_4lessIjEEEEEE10hipError_tPvRmT0_T1_T2_T3_T4_T5_mmT6_P12ihipStream_tbEUlT_E0_NS1_11comp_targetILNS1_3genE3ELNS1_11target_archE908ELNS1_3gpuE7ELNS1_3repE0EEENS1_30default_config_static_selectorELNS0_4arch9wavefront6targetE0EEEvS11_,comdat
.Lfunc_end545:
	.size	_ZN7rocprim17ROCPRIM_400000_NS6detail17trampoline_kernelINS0_14default_configENS1_21merge_config_selectorINS0_5tupleIJjjEEENS0_10empty_typeEEEZNS1_10merge_implIS3_NS0_12zip_iteratorINS5_IJN6thrust23THRUST_200600_302600_NS6detail15normal_iteratorINSC_10device_ptrIKjEEEESI_EEEEESK_NSA_INS5_IJNSC_16discard_iteratorINSC_11use_defaultEEESN_EEEEEPS7_SQ_SQ_NSC_11hip_rocprim7__merge17predicate_wrapperIjjNSC_4lessIjEEEEEE10hipError_tPvRmT0_T1_T2_T3_T4_T5_mmT6_P12ihipStream_tbEUlT_E0_NS1_11comp_targetILNS1_3genE3ELNS1_11target_archE908ELNS1_3gpuE7ELNS1_3repE0EEENS1_30default_config_static_selectorELNS0_4arch9wavefront6targetE0EEEvS11_, .Lfunc_end545-_ZN7rocprim17ROCPRIM_400000_NS6detail17trampoline_kernelINS0_14default_configENS1_21merge_config_selectorINS0_5tupleIJjjEEENS0_10empty_typeEEEZNS1_10merge_implIS3_NS0_12zip_iteratorINS5_IJN6thrust23THRUST_200600_302600_NS6detail15normal_iteratorINSC_10device_ptrIKjEEEESI_EEEEESK_NSA_INS5_IJNSC_16discard_iteratorINSC_11use_defaultEEESN_EEEEEPS7_SQ_SQ_NSC_11hip_rocprim7__merge17predicate_wrapperIjjNSC_4lessIjEEEEEE10hipError_tPvRmT0_T1_T2_T3_T4_T5_mmT6_P12ihipStream_tbEUlT_E0_NS1_11comp_targetILNS1_3genE3ELNS1_11target_archE908ELNS1_3gpuE7ELNS1_3repE0EEENS1_30default_config_static_selectorELNS0_4arch9wavefront6targetE0EEEvS11_
                                        ; -- End function
	.set _ZN7rocprim17ROCPRIM_400000_NS6detail17trampoline_kernelINS0_14default_configENS1_21merge_config_selectorINS0_5tupleIJjjEEENS0_10empty_typeEEEZNS1_10merge_implIS3_NS0_12zip_iteratorINS5_IJN6thrust23THRUST_200600_302600_NS6detail15normal_iteratorINSC_10device_ptrIKjEEEESI_EEEEESK_NSA_INS5_IJNSC_16discard_iteratorINSC_11use_defaultEEESN_EEEEEPS7_SQ_SQ_NSC_11hip_rocprim7__merge17predicate_wrapperIjjNSC_4lessIjEEEEEE10hipError_tPvRmT0_T1_T2_T3_T4_T5_mmT6_P12ihipStream_tbEUlT_E0_NS1_11comp_targetILNS1_3genE3ELNS1_11target_archE908ELNS1_3gpuE7ELNS1_3repE0EEENS1_30default_config_static_selectorELNS0_4arch9wavefront6targetE0EEEvS11_.num_vgpr, 0
	.set _ZN7rocprim17ROCPRIM_400000_NS6detail17trampoline_kernelINS0_14default_configENS1_21merge_config_selectorINS0_5tupleIJjjEEENS0_10empty_typeEEEZNS1_10merge_implIS3_NS0_12zip_iteratorINS5_IJN6thrust23THRUST_200600_302600_NS6detail15normal_iteratorINSC_10device_ptrIKjEEEESI_EEEEESK_NSA_INS5_IJNSC_16discard_iteratorINSC_11use_defaultEEESN_EEEEEPS7_SQ_SQ_NSC_11hip_rocprim7__merge17predicate_wrapperIjjNSC_4lessIjEEEEEE10hipError_tPvRmT0_T1_T2_T3_T4_T5_mmT6_P12ihipStream_tbEUlT_E0_NS1_11comp_targetILNS1_3genE3ELNS1_11target_archE908ELNS1_3gpuE7ELNS1_3repE0EEENS1_30default_config_static_selectorELNS0_4arch9wavefront6targetE0EEEvS11_.num_agpr, 0
	.set _ZN7rocprim17ROCPRIM_400000_NS6detail17trampoline_kernelINS0_14default_configENS1_21merge_config_selectorINS0_5tupleIJjjEEENS0_10empty_typeEEEZNS1_10merge_implIS3_NS0_12zip_iteratorINS5_IJN6thrust23THRUST_200600_302600_NS6detail15normal_iteratorINSC_10device_ptrIKjEEEESI_EEEEESK_NSA_INS5_IJNSC_16discard_iteratorINSC_11use_defaultEEESN_EEEEEPS7_SQ_SQ_NSC_11hip_rocprim7__merge17predicate_wrapperIjjNSC_4lessIjEEEEEE10hipError_tPvRmT0_T1_T2_T3_T4_T5_mmT6_P12ihipStream_tbEUlT_E0_NS1_11comp_targetILNS1_3genE3ELNS1_11target_archE908ELNS1_3gpuE7ELNS1_3repE0EEENS1_30default_config_static_selectorELNS0_4arch9wavefront6targetE0EEEvS11_.numbered_sgpr, 0
	.set _ZN7rocprim17ROCPRIM_400000_NS6detail17trampoline_kernelINS0_14default_configENS1_21merge_config_selectorINS0_5tupleIJjjEEENS0_10empty_typeEEEZNS1_10merge_implIS3_NS0_12zip_iteratorINS5_IJN6thrust23THRUST_200600_302600_NS6detail15normal_iteratorINSC_10device_ptrIKjEEEESI_EEEEESK_NSA_INS5_IJNSC_16discard_iteratorINSC_11use_defaultEEESN_EEEEEPS7_SQ_SQ_NSC_11hip_rocprim7__merge17predicate_wrapperIjjNSC_4lessIjEEEEEE10hipError_tPvRmT0_T1_T2_T3_T4_T5_mmT6_P12ihipStream_tbEUlT_E0_NS1_11comp_targetILNS1_3genE3ELNS1_11target_archE908ELNS1_3gpuE7ELNS1_3repE0EEENS1_30default_config_static_selectorELNS0_4arch9wavefront6targetE0EEEvS11_.num_named_barrier, 0
	.set _ZN7rocprim17ROCPRIM_400000_NS6detail17trampoline_kernelINS0_14default_configENS1_21merge_config_selectorINS0_5tupleIJjjEEENS0_10empty_typeEEEZNS1_10merge_implIS3_NS0_12zip_iteratorINS5_IJN6thrust23THRUST_200600_302600_NS6detail15normal_iteratorINSC_10device_ptrIKjEEEESI_EEEEESK_NSA_INS5_IJNSC_16discard_iteratorINSC_11use_defaultEEESN_EEEEEPS7_SQ_SQ_NSC_11hip_rocprim7__merge17predicate_wrapperIjjNSC_4lessIjEEEEEE10hipError_tPvRmT0_T1_T2_T3_T4_T5_mmT6_P12ihipStream_tbEUlT_E0_NS1_11comp_targetILNS1_3genE3ELNS1_11target_archE908ELNS1_3gpuE7ELNS1_3repE0EEENS1_30default_config_static_selectorELNS0_4arch9wavefront6targetE0EEEvS11_.private_seg_size, 0
	.set _ZN7rocprim17ROCPRIM_400000_NS6detail17trampoline_kernelINS0_14default_configENS1_21merge_config_selectorINS0_5tupleIJjjEEENS0_10empty_typeEEEZNS1_10merge_implIS3_NS0_12zip_iteratorINS5_IJN6thrust23THRUST_200600_302600_NS6detail15normal_iteratorINSC_10device_ptrIKjEEEESI_EEEEESK_NSA_INS5_IJNSC_16discard_iteratorINSC_11use_defaultEEESN_EEEEEPS7_SQ_SQ_NSC_11hip_rocprim7__merge17predicate_wrapperIjjNSC_4lessIjEEEEEE10hipError_tPvRmT0_T1_T2_T3_T4_T5_mmT6_P12ihipStream_tbEUlT_E0_NS1_11comp_targetILNS1_3genE3ELNS1_11target_archE908ELNS1_3gpuE7ELNS1_3repE0EEENS1_30default_config_static_selectorELNS0_4arch9wavefront6targetE0EEEvS11_.uses_vcc, 0
	.set _ZN7rocprim17ROCPRIM_400000_NS6detail17trampoline_kernelINS0_14default_configENS1_21merge_config_selectorINS0_5tupleIJjjEEENS0_10empty_typeEEEZNS1_10merge_implIS3_NS0_12zip_iteratorINS5_IJN6thrust23THRUST_200600_302600_NS6detail15normal_iteratorINSC_10device_ptrIKjEEEESI_EEEEESK_NSA_INS5_IJNSC_16discard_iteratorINSC_11use_defaultEEESN_EEEEEPS7_SQ_SQ_NSC_11hip_rocprim7__merge17predicate_wrapperIjjNSC_4lessIjEEEEEE10hipError_tPvRmT0_T1_T2_T3_T4_T5_mmT6_P12ihipStream_tbEUlT_E0_NS1_11comp_targetILNS1_3genE3ELNS1_11target_archE908ELNS1_3gpuE7ELNS1_3repE0EEENS1_30default_config_static_selectorELNS0_4arch9wavefront6targetE0EEEvS11_.uses_flat_scratch, 0
	.set _ZN7rocprim17ROCPRIM_400000_NS6detail17trampoline_kernelINS0_14default_configENS1_21merge_config_selectorINS0_5tupleIJjjEEENS0_10empty_typeEEEZNS1_10merge_implIS3_NS0_12zip_iteratorINS5_IJN6thrust23THRUST_200600_302600_NS6detail15normal_iteratorINSC_10device_ptrIKjEEEESI_EEEEESK_NSA_INS5_IJNSC_16discard_iteratorINSC_11use_defaultEEESN_EEEEEPS7_SQ_SQ_NSC_11hip_rocprim7__merge17predicate_wrapperIjjNSC_4lessIjEEEEEE10hipError_tPvRmT0_T1_T2_T3_T4_T5_mmT6_P12ihipStream_tbEUlT_E0_NS1_11comp_targetILNS1_3genE3ELNS1_11target_archE908ELNS1_3gpuE7ELNS1_3repE0EEENS1_30default_config_static_selectorELNS0_4arch9wavefront6targetE0EEEvS11_.has_dyn_sized_stack, 0
	.set _ZN7rocprim17ROCPRIM_400000_NS6detail17trampoline_kernelINS0_14default_configENS1_21merge_config_selectorINS0_5tupleIJjjEEENS0_10empty_typeEEEZNS1_10merge_implIS3_NS0_12zip_iteratorINS5_IJN6thrust23THRUST_200600_302600_NS6detail15normal_iteratorINSC_10device_ptrIKjEEEESI_EEEEESK_NSA_INS5_IJNSC_16discard_iteratorINSC_11use_defaultEEESN_EEEEEPS7_SQ_SQ_NSC_11hip_rocprim7__merge17predicate_wrapperIjjNSC_4lessIjEEEEEE10hipError_tPvRmT0_T1_T2_T3_T4_T5_mmT6_P12ihipStream_tbEUlT_E0_NS1_11comp_targetILNS1_3genE3ELNS1_11target_archE908ELNS1_3gpuE7ELNS1_3repE0EEENS1_30default_config_static_selectorELNS0_4arch9wavefront6targetE0EEEvS11_.has_recursion, 0
	.set _ZN7rocprim17ROCPRIM_400000_NS6detail17trampoline_kernelINS0_14default_configENS1_21merge_config_selectorINS0_5tupleIJjjEEENS0_10empty_typeEEEZNS1_10merge_implIS3_NS0_12zip_iteratorINS5_IJN6thrust23THRUST_200600_302600_NS6detail15normal_iteratorINSC_10device_ptrIKjEEEESI_EEEEESK_NSA_INS5_IJNSC_16discard_iteratorINSC_11use_defaultEEESN_EEEEEPS7_SQ_SQ_NSC_11hip_rocprim7__merge17predicate_wrapperIjjNSC_4lessIjEEEEEE10hipError_tPvRmT0_T1_T2_T3_T4_T5_mmT6_P12ihipStream_tbEUlT_E0_NS1_11comp_targetILNS1_3genE3ELNS1_11target_archE908ELNS1_3gpuE7ELNS1_3repE0EEENS1_30default_config_static_selectorELNS0_4arch9wavefront6targetE0EEEvS11_.has_indirect_call, 0
	.section	.AMDGPU.csdata,"",@progbits
; Kernel info:
; codeLenInByte = 0
; TotalNumSgprs: 0
; NumVgprs: 0
; ScratchSize: 0
; MemoryBound: 0
; FloatMode: 240
; IeeeMode: 1
; LDSByteSize: 0 bytes/workgroup (compile time only)
; SGPRBlocks: 0
; VGPRBlocks: 0
; NumSGPRsForWavesPerEU: 1
; NumVGPRsForWavesPerEU: 1
; Occupancy: 16
; WaveLimiterHint : 0
; COMPUTE_PGM_RSRC2:SCRATCH_EN: 0
; COMPUTE_PGM_RSRC2:USER_SGPR: 6
; COMPUTE_PGM_RSRC2:TRAP_HANDLER: 0
; COMPUTE_PGM_RSRC2:TGID_X_EN: 1
; COMPUTE_PGM_RSRC2:TGID_Y_EN: 0
; COMPUTE_PGM_RSRC2:TGID_Z_EN: 0
; COMPUTE_PGM_RSRC2:TIDIG_COMP_CNT: 0
	.section	.text._ZN7rocprim17ROCPRIM_400000_NS6detail17trampoline_kernelINS0_14default_configENS1_21merge_config_selectorINS0_5tupleIJjjEEENS0_10empty_typeEEEZNS1_10merge_implIS3_NS0_12zip_iteratorINS5_IJN6thrust23THRUST_200600_302600_NS6detail15normal_iteratorINSC_10device_ptrIKjEEEESI_EEEEESK_NSA_INS5_IJNSC_16discard_iteratorINSC_11use_defaultEEESN_EEEEEPS7_SQ_SQ_NSC_11hip_rocprim7__merge17predicate_wrapperIjjNSC_4lessIjEEEEEE10hipError_tPvRmT0_T1_T2_T3_T4_T5_mmT6_P12ihipStream_tbEUlT_E0_NS1_11comp_targetILNS1_3genE2ELNS1_11target_archE906ELNS1_3gpuE6ELNS1_3repE0EEENS1_30default_config_static_selectorELNS0_4arch9wavefront6targetE0EEEvS11_,"axG",@progbits,_ZN7rocprim17ROCPRIM_400000_NS6detail17trampoline_kernelINS0_14default_configENS1_21merge_config_selectorINS0_5tupleIJjjEEENS0_10empty_typeEEEZNS1_10merge_implIS3_NS0_12zip_iteratorINS5_IJN6thrust23THRUST_200600_302600_NS6detail15normal_iteratorINSC_10device_ptrIKjEEEESI_EEEEESK_NSA_INS5_IJNSC_16discard_iteratorINSC_11use_defaultEEESN_EEEEEPS7_SQ_SQ_NSC_11hip_rocprim7__merge17predicate_wrapperIjjNSC_4lessIjEEEEEE10hipError_tPvRmT0_T1_T2_T3_T4_T5_mmT6_P12ihipStream_tbEUlT_E0_NS1_11comp_targetILNS1_3genE2ELNS1_11target_archE906ELNS1_3gpuE6ELNS1_3repE0EEENS1_30default_config_static_selectorELNS0_4arch9wavefront6targetE0EEEvS11_,comdat
	.protected	_ZN7rocprim17ROCPRIM_400000_NS6detail17trampoline_kernelINS0_14default_configENS1_21merge_config_selectorINS0_5tupleIJjjEEENS0_10empty_typeEEEZNS1_10merge_implIS3_NS0_12zip_iteratorINS5_IJN6thrust23THRUST_200600_302600_NS6detail15normal_iteratorINSC_10device_ptrIKjEEEESI_EEEEESK_NSA_INS5_IJNSC_16discard_iteratorINSC_11use_defaultEEESN_EEEEEPS7_SQ_SQ_NSC_11hip_rocprim7__merge17predicate_wrapperIjjNSC_4lessIjEEEEEE10hipError_tPvRmT0_T1_T2_T3_T4_T5_mmT6_P12ihipStream_tbEUlT_E0_NS1_11comp_targetILNS1_3genE2ELNS1_11target_archE906ELNS1_3gpuE6ELNS1_3repE0EEENS1_30default_config_static_selectorELNS0_4arch9wavefront6targetE0EEEvS11_ ; -- Begin function _ZN7rocprim17ROCPRIM_400000_NS6detail17trampoline_kernelINS0_14default_configENS1_21merge_config_selectorINS0_5tupleIJjjEEENS0_10empty_typeEEEZNS1_10merge_implIS3_NS0_12zip_iteratorINS5_IJN6thrust23THRUST_200600_302600_NS6detail15normal_iteratorINSC_10device_ptrIKjEEEESI_EEEEESK_NSA_INS5_IJNSC_16discard_iteratorINSC_11use_defaultEEESN_EEEEEPS7_SQ_SQ_NSC_11hip_rocprim7__merge17predicate_wrapperIjjNSC_4lessIjEEEEEE10hipError_tPvRmT0_T1_T2_T3_T4_T5_mmT6_P12ihipStream_tbEUlT_E0_NS1_11comp_targetILNS1_3genE2ELNS1_11target_archE906ELNS1_3gpuE6ELNS1_3repE0EEENS1_30default_config_static_selectorELNS0_4arch9wavefront6targetE0EEEvS11_
	.globl	_ZN7rocprim17ROCPRIM_400000_NS6detail17trampoline_kernelINS0_14default_configENS1_21merge_config_selectorINS0_5tupleIJjjEEENS0_10empty_typeEEEZNS1_10merge_implIS3_NS0_12zip_iteratorINS5_IJN6thrust23THRUST_200600_302600_NS6detail15normal_iteratorINSC_10device_ptrIKjEEEESI_EEEEESK_NSA_INS5_IJNSC_16discard_iteratorINSC_11use_defaultEEESN_EEEEEPS7_SQ_SQ_NSC_11hip_rocprim7__merge17predicate_wrapperIjjNSC_4lessIjEEEEEE10hipError_tPvRmT0_T1_T2_T3_T4_T5_mmT6_P12ihipStream_tbEUlT_E0_NS1_11comp_targetILNS1_3genE2ELNS1_11target_archE906ELNS1_3gpuE6ELNS1_3repE0EEENS1_30default_config_static_selectorELNS0_4arch9wavefront6targetE0EEEvS11_
	.p2align	8
	.type	_ZN7rocprim17ROCPRIM_400000_NS6detail17trampoline_kernelINS0_14default_configENS1_21merge_config_selectorINS0_5tupleIJjjEEENS0_10empty_typeEEEZNS1_10merge_implIS3_NS0_12zip_iteratorINS5_IJN6thrust23THRUST_200600_302600_NS6detail15normal_iteratorINSC_10device_ptrIKjEEEESI_EEEEESK_NSA_INS5_IJNSC_16discard_iteratorINSC_11use_defaultEEESN_EEEEEPS7_SQ_SQ_NSC_11hip_rocprim7__merge17predicate_wrapperIjjNSC_4lessIjEEEEEE10hipError_tPvRmT0_T1_T2_T3_T4_T5_mmT6_P12ihipStream_tbEUlT_E0_NS1_11comp_targetILNS1_3genE2ELNS1_11target_archE906ELNS1_3gpuE6ELNS1_3repE0EEENS1_30default_config_static_selectorELNS0_4arch9wavefront6targetE0EEEvS11_,@function
_ZN7rocprim17ROCPRIM_400000_NS6detail17trampoline_kernelINS0_14default_configENS1_21merge_config_selectorINS0_5tupleIJjjEEENS0_10empty_typeEEEZNS1_10merge_implIS3_NS0_12zip_iteratorINS5_IJN6thrust23THRUST_200600_302600_NS6detail15normal_iteratorINSC_10device_ptrIKjEEEESI_EEEEESK_NSA_INS5_IJNSC_16discard_iteratorINSC_11use_defaultEEESN_EEEEEPS7_SQ_SQ_NSC_11hip_rocprim7__merge17predicate_wrapperIjjNSC_4lessIjEEEEEE10hipError_tPvRmT0_T1_T2_T3_T4_T5_mmT6_P12ihipStream_tbEUlT_E0_NS1_11comp_targetILNS1_3genE2ELNS1_11target_archE906ELNS1_3gpuE6ELNS1_3repE0EEENS1_30default_config_static_selectorELNS0_4arch9wavefront6targetE0EEEvS11_: ; @_ZN7rocprim17ROCPRIM_400000_NS6detail17trampoline_kernelINS0_14default_configENS1_21merge_config_selectorINS0_5tupleIJjjEEENS0_10empty_typeEEEZNS1_10merge_implIS3_NS0_12zip_iteratorINS5_IJN6thrust23THRUST_200600_302600_NS6detail15normal_iteratorINSC_10device_ptrIKjEEEESI_EEEEESK_NSA_INS5_IJNSC_16discard_iteratorINSC_11use_defaultEEESN_EEEEEPS7_SQ_SQ_NSC_11hip_rocprim7__merge17predicate_wrapperIjjNSC_4lessIjEEEEEE10hipError_tPvRmT0_T1_T2_T3_T4_T5_mmT6_P12ihipStream_tbEUlT_E0_NS1_11comp_targetILNS1_3genE2ELNS1_11target_archE906ELNS1_3gpuE6ELNS1_3repE0EEENS1_30default_config_static_selectorELNS0_4arch9wavefront6targetE0EEEvS11_
; %bb.0:
	.section	.rodata,"a",@progbits
	.p2align	6, 0x0
	.amdhsa_kernel _ZN7rocprim17ROCPRIM_400000_NS6detail17trampoline_kernelINS0_14default_configENS1_21merge_config_selectorINS0_5tupleIJjjEEENS0_10empty_typeEEEZNS1_10merge_implIS3_NS0_12zip_iteratorINS5_IJN6thrust23THRUST_200600_302600_NS6detail15normal_iteratorINSC_10device_ptrIKjEEEESI_EEEEESK_NSA_INS5_IJNSC_16discard_iteratorINSC_11use_defaultEEESN_EEEEEPS7_SQ_SQ_NSC_11hip_rocprim7__merge17predicate_wrapperIjjNSC_4lessIjEEEEEE10hipError_tPvRmT0_T1_T2_T3_T4_T5_mmT6_P12ihipStream_tbEUlT_E0_NS1_11comp_targetILNS1_3genE2ELNS1_11target_archE906ELNS1_3gpuE6ELNS1_3repE0EEENS1_30default_config_static_selectorELNS0_4arch9wavefront6targetE0EEEvS11_
		.amdhsa_group_segment_fixed_size 0
		.amdhsa_private_segment_fixed_size 0
		.amdhsa_kernarg_size 128
		.amdhsa_user_sgpr_count 6
		.amdhsa_user_sgpr_private_segment_buffer 1
		.amdhsa_user_sgpr_dispatch_ptr 0
		.amdhsa_user_sgpr_queue_ptr 0
		.amdhsa_user_sgpr_kernarg_segment_ptr 1
		.amdhsa_user_sgpr_dispatch_id 0
		.amdhsa_user_sgpr_flat_scratch_init 0
		.amdhsa_user_sgpr_private_segment_size 0
		.amdhsa_wavefront_size32 1
		.amdhsa_uses_dynamic_stack 0
		.amdhsa_system_sgpr_private_segment_wavefront_offset 0
		.amdhsa_system_sgpr_workgroup_id_x 1
		.amdhsa_system_sgpr_workgroup_id_y 0
		.amdhsa_system_sgpr_workgroup_id_z 0
		.amdhsa_system_sgpr_workgroup_info 0
		.amdhsa_system_vgpr_workitem_id 0
		.amdhsa_next_free_vgpr 1
		.amdhsa_next_free_sgpr 1
		.amdhsa_reserve_vcc 0
		.amdhsa_reserve_flat_scratch 0
		.amdhsa_float_round_mode_32 0
		.amdhsa_float_round_mode_16_64 0
		.amdhsa_float_denorm_mode_32 3
		.amdhsa_float_denorm_mode_16_64 3
		.amdhsa_dx10_clamp 1
		.amdhsa_ieee_mode 1
		.amdhsa_fp16_overflow 0
		.amdhsa_workgroup_processor_mode 1
		.amdhsa_memory_ordered 1
		.amdhsa_forward_progress 1
		.amdhsa_shared_vgpr_count 0
		.amdhsa_exception_fp_ieee_invalid_op 0
		.amdhsa_exception_fp_denorm_src 0
		.amdhsa_exception_fp_ieee_div_zero 0
		.amdhsa_exception_fp_ieee_overflow 0
		.amdhsa_exception_fp_ieee_underflow 0
		.amdhsa_exception_fp_ieee_inexact 0
		.amdhsa_exception_int_div_zero 0
	.end_amdhsa_kernel
	.section	.text._ZN7rocprim17ROCPRIM_400000_NS6detail17trampoline_kernelINS0_14default_configENS1_21merge_config_selectorINS0_5tupleIJjjEEENS0_10empty_typeEEEZNS1_10merge_implIS3_NS0_12zip_iteratorINS5_IJN6thrust23THRUST_200600_302600_NS6detail15normal_iteratorINSC_10device_ptrIKjEEEESI_EEEEESK_NSA_INS5_IJNSC_16discard_iteratorINSC_11use_defaultEEESN_EEEEEPS7_SQ_SQ_NSC_11hip_rocprim7__merge17predicate_wrapperIjjNSC_4lessIjEEEEEE10hipError_tPvRmT0_T1_T2_T3_T4_T5_mmT6_P12ihipStream_tbEUlT_E0_NS1_11comp_targetILNS1_3genE2ELNS1_11target_archE906ELNS1_3gpuE6ELNS1_3repE0EEENS1_30default_config_static_selectorELNS0_4arch9wavefront6targetE0EEEvS11_,"axG",@progbits,_ZN7rocprim17ROCPRIM_400000_NS6detail17trampoline_kernelINS0_14default_configENS1_21merge_config_selectorINS0_5tupleIJjjEEENS0_10empty_typeEEEZNS1_10merge_implIS3_NS0_12zip_iteratorINS5_IJN6thrust23THRUST_200600_302600_NS6detail15normal_iteratorINSC_10device_ptrIKjEEEESI_EEEEESK_NSA_INS5_IJNSC_16discard_iteratorINSC_11use_defaultEEESN_EEEEEPS7_SQ_SQ_NSC_11hip_rocprim7__merge17predicate_wrapperIjjNSC_4lessIjEEEEEE10hipError_tPvRmT0_T1_T2_T3_T4_T5_mmT6_P12ihipStream_tbEUlT_E0_NS1_11comp_targetILNS1_3genE2ELNS1_11target_archE906ELNS1_3gpuE6ELNS1_3repE0EEENS1_30default_config_static_selectorELNS0_4arch9wavefront6targetE0EEEvS11_,comdat
.Lfunc_end546:
	.size	_ZN7rocprim17ROCPRIM_400000_NS6detail17trampoline_kernelINS0_14default_configENS1_21merge_config_selectorINS0_5tupleIJjjEEENS0_10empty_typeEEEZNS1_10merge_implIS3_NS0_12zip_iteratorINS5_IJN6thrust23THRUST_200600_302600_NS6detail15normal_iteratorINSC_10device_ptrIKjEEEESI_EEEEESK_NSA_INS5_IJNSC_16discard_iteratorINSC_11use_defaultEEESN_EEEEEPS7_SQ_SQ_NSC_11hip_rocprim7__merge17predicate_wrapperIjjNSC_4lessIjEEEEEE10hipError_tPvRmT0_T1_T2_T3_T4_T5_mmT6_P12ihipStream_tbEUlT_E0_NS1_11comp_targetILNS1_3genE2ELNS1_11target_archE906ELNS1_3gpuE6ELNS1_3repE0EEENS1_30default_config_static_selectorELNS0_4arch9wavefront6targetE0EEEvS11_, .Lfunc_end546-_ZN7rocprim17ROCPRIM_400000_NS6detail17trampoline_kernelINS0_14default_configENS1_21merge_config_selectorINS0_5tupleIJjjEEENS0_10empty_typeEEEZNS1_10merge_implIS3_NS0_12zip_iteratorINS5_IJN6thrust23THRUST_200600_302600_NS6detail15normal_iteratorINSC_10device_ptrIKjEEEESI_EEEEESK_NSA_INS5_IJNSC_16discard_iteratorINSC_11use_defaultEEESN_EEEEEPS7_SQ_SQ_NSC_11hip_rocprim7__merge17predicate_wrapperIjjNSC_4lessIjEEEEEE10hipError_tPvRmT0_T1_T2_T3_T4_T5_mmT6_P12ihipStream_tbEUlT_E0_NS1_11comp_targetILNS1_3genE2ELNS1_11target_archE906ELNS1_3gpuE6ELNS1_3repE0EEENS1_30default_config_static_selectorELNS0_4arch9wavefront6targetE0EEEvS11_
                                        ; -- End function
	.set _ZN7rocprim17ROCPRIM_400000_NS6detail17trampoline_kernelINS0_14default_configENS1_21merge_config_selectorINS0_5tupleIJjjEEENS0_10empty_typeEEEZNS1_10merge_implIS3_NS0_12zip_iteratorINS5_IJN6thrust23THRUST_200600_302600_NS6detail15normal_iteratorINSC_10device_ptrIKjEEEESI_EEEEESK_NSA_INS5_IJNSC_16discard_iteratorINSC_11use_defaultEEESN_EEEEEPS7_SQ_SQ_NSC_11hip_rocprim7__merge17predicate_wrapperIjjNSC_4lessIjEEEEEE10hipError_tPvRmT0_T1_T2_T3_T4_T5_mmT6_P12ihipStream_tbEUlT_E0_NS1_11comp_targetILNS1_3genE2ELNS1_11target_archE906ELNS1_3gpuE6ELNS1_3repE0EEENS1_30default_config_static_selectorELNS0_4arch9wavefront6targetE0EEEvS11_.num_vgpr, 0
	.set _ZN7rocprim17ROCPRIM_400000_NS6detail17trampoline_kernelINS0_14default_configENS1_21merge_config_selectorINS0_5tupleIJjjEEENS0_10empty_typeEEEZNS1_10merge_implIS3_NS0_12zip_iteratorINS5_IJN6thrust23THRUST_200600_302600_NS6detail15normal_iteratorINSC_10device_ptrIKjEEEESI_EEEEESK_NSA_INS5_IJNSC_16discard_iteratorINSC_11use_defaultEEESN_EEEEEPS7_SQ_SQ_NSC_11hip_rocprim7__merge17predicate_wrapperIjjNSC_4lessIjEEEEEE10hipError_tPvRmT0_T1_T2_T3_T4_T5_mmT6_P12ihipStream_tbEUlT_E0_NS1_11comp_targetILNS1_3genE2ELNS1_11target_archE906ELNS1_3gpuE6ELNS1_3repE0EEENS1_30default_config_static_selectorELNS0_4arch9wavefront6targetE0EEEvS11_.num_agpr, 0
	.set _ZN7rocprim17ROCPRIM_400000_NS6detail17trampoline_kernelINS0_14default_configENS1_21merge_config_selectorINS0_5tupleIJjjEEENS0_10empty_typeEEEZNS1_10merge_implIS3_NS0_12zip_iteratorINS5_IJN6thrust23THRUST_200600_302600_NS6detail15normal_iteratorINSC_10device_ptrIKjEEEESI_EEEEESK_NSA_INS5_IJNSC_16discard_iteratorINSC_11use_defaultEEESN_EEEEEPS7_SQ_SQ_NSC_11hip_rocprim7__merge17predicate_wrapperIjjNSC_4lessIjEEEEEE10hipError_tPvRmT0_T1_T2_T3_T4_T5_mmT6_P12ihipStream_tbEUlT_E0_NS1_11comp_targetILNS1_3genE2ELNS1_11target_archE906ELNS1_3gpuE6ELNS1_3repE0EEENS1_30default_config_static_selectorELNS0_4arch9wavefront6targetE0EEEvS11_.numbered_sgpr, 0
	.set _ZN7rocprim17ROCPRIM_400000_NS6detail17trampoline_kernelINS0_14default_configENS1_21merge_config_selectorINS0_5tupleIJjjEEENS0_10empty_typeEEEZNS1_10merge_implIS3_NS0_12zip_iteratorINS5_IJN6thrust23THRUST_200600_302600_NS6detail15normal_iteratorINSC_10device_ptrIKjEEEESI_EEEEESK_NSA_INS5_IJNSC_16discard_iteratorINSC_11use_defaultEEESN_EEEEEPS7_SQ_SQ_NSC_11hip_rocprim7__merge17predicate_wrapperIjjNSC_4lessIjEEEEEE10hipError_tPvRmT0_T1_T2_T3_T4_T5_mmT6_P12ihipStream_tbEUlT_E0_NS1_11comp_targetILNS1_3genE2ELNS1_11target_archE906ELNS1_3gpuE6ELNS1_3repE0EEENS1_30default_config_static_selectorELNS0_4arch9wavefront6targetE0EEEvS11_.num_named_barrier, 0
	.set _ZN7rocprim17ROCPRIM_400000_NS6detail17trampoline_kernelINS0_14default_configENS1_21merge_config_selectorINS0_5tupleIJjjEEENS0_10empty_typeEEEZNS1_10merge_implIS3_NS0_12zip_iteratorINS5_IJN6thrust23THRUST_200600_302600_NS6detail15normal_iteratorINSC_10device_ptrIKjEEEESI_EEEEESK_NSA_INS5_IJNSC_16discard_iteratorINSC_11use_defaultEEESN_EEEEEPS7_SQ_SQ_NSC_11hip_rocprim7__merge17predicate_wrapperIjjNSC_4lessIjEEEEEE10hipError_tPvRmT0_T1_T2_T3_T4_T5_mmT6_P12ihipStream_tbEUlT_E0_NS1_11comp_targetILNS1_3genE2ELNS1_11target_archE906ELNS1_3gpuE6ELNS1_3repE0EEENS1_30default_config_static_selectorELNS0_4arch9wavefront6targetE0EEEvS11_.private_seg_size, 0
	.set _ZN7rocprim17ROCPRIM_400000_NS6detail17trampoline_kernelINS0_14default_configENS1_21merge_config_selectorINS0_5tupleIJjjEEENS0_10empty_typeEEEZNS1_10merge_implIS3_NS0_12zip_iteratorINS5_IJN6thrust23THRUST_200600_302600_NS6detail15normal_iteratorINSC_10device_ptrIKjEEEESI_EEEEESK_NSA_INS5_IJNSC_16discard_iteratorINSC_11use_defaultEEESN_EEEEEPS7_SQ_SQ_NSC_11hip_rocprim7__merge17predicate_wrapperIjjNSC_4lessIjEEEEEE10hipError_tPvRmT0_T1_T2_T3_T4_T5_mmT6_P12ihipStream_tbEUlT_E0_NS1_11comp_targetILNS1_3genE2ELNS1_11target_archE906ELNS1_3gpuE6ELNS1_3repE0EEENS1_30default_config_static_selectorELNS0_4arch9wavefront6targetE0EEEvS11_.uses_vcc, 0
	.set _ZN7rocprim17ROCPRIM_400000_NS6detail17trampoline_kernelINS0_14default_configENS1_21merge_config_selectorINS0_5tupleIJjjEEENS0_10empty_typeEEEZNS1_10merge_implIS3_NS0_12zip_iteratorINS5_IJN6thrust23THRUST_200600_302600_NS6detail15normal_iteratorINSC_10device_ptrIKjEEEESI_EEEEESK_NSA_INS5_IJNSC_16discard_iteratorINSC_11use_defaultEEESN_EEEEEPS7_SQ_SQ_NSC_11hip_rocprim7__merge17predicate_wrapperIjjNSC_4lessIjEEEEEE10hipError_tPvRmT0_T1_T2_T3_T4_T5_mmT6_P12ihipStream_tbEUlT_E0_NS1_11comp_targetILNS1_3genE2ELNS1_11target_archE906ELNS1_3gpuE6ELNS1_3repE0EEENS1_30default_config_static_selectorELNS0_4arch9wavefront6targetE0EEEvS11_.uses_flat_scratch, 0
	.set _ZN7rocprim17ROCPRIM_400000_NS6detail17trampoline_kernelINS0_14default_configENS1_21merge_config_selectorINS0_5tupleIJjjEEENS0_10empty_typeEEEZNS1_10merge_implIS3_NS0_12zip_iteratorINS5_IJN6thrust23THRUST_200600_302600_NS6detail15normal_iteratorINSC_10device_ptrIKjEEEESI_EEEEESK_NSA_INS5_IJNSC_16discard_iteratorINSC_11use_defaultEEESN_EEEEEPS7_SQ_SQ_NSC_11hip_rocprim7__merge17predicate_wrapperIjjNSC_4lessIjEEEEEE10hipError_tPvRmT0_T1_T2_T3_T4_T5_mmT6_P12ihipStream_tbEUlT_E0_NS1_11comp_targetILNS1_3genE2ELNS1_11target_archE906ELNS1_3gpuE6ELNS1_3repE0EEENS1_30default_config_static_selectorELNS0_4arch9wavefront6targetE0EEEvS11_.has_dyn_sized_stack, 0
	.set _ZN7rocprim17ROCPRIM_400000_NS6detail17trampoline_kernelINS0_14default_configENS1_21merge_config_selectorINS0_5tupleIJjjEEENS0_10empty_typeEEEZNS1_10merge_implIS3_NS0_12zip_iteratorINS5_IJN6thrust23THRUST_200600_302600_NS6detail15normal_iteratorINSC_10device_ptrIKjEEEESI_EEEEESK_NSA_INS5_IJNSC_16discard_iteratorINSC_11use_defaultEEESN_EEEEEPS7_SQ_SQ_NSC_11hip_rocprim7__merge17predicate_wrapperIjjNSC_4lessIjEEEEEE10hipError_tPvRmT0_T1_T2_T3_T4_T5_mmT6_P12ihipStream_tbEUlT_E0_NS1_11comp_targetILNS1_3genE2ELNS1_11target_archE906ELNS1_3gpuE6ELNS1_3repE0EEENS1_30default_config_static_selectorELNS0_4arch9wavefront6targetE0EEEvS11_.has_recursion, 0
	.set _ZN7rocprim17ROCPRIM_400000_NS6detail17trampoline_kernelINS0_14default_configENS1_21merge_config_selectorINS0_5tupleIJjjEEENS0_10empty_typeEEEZNS1_10merge_implIS3_NS0_12zip_iteratorINS5_IJN6thrust23THRUST_200600_302600_NS6detail15normal_iteratorINSC_10device_ptrIKjEEEESI_EEEEESK_NSA_INS5_IJNSC_16discard_iteratorINSC_11use_defaultEEESN_EEEEEPS7_SQ_SQ_NSC_11hip_rocprim7__merge17predicate_wrapperIjjNSC_4lessIjEEEEEE10hipError_tPvRmT0_T1_T2_T3_T4_T5_mmT6_P12ihipStream_tbEUlT_E0_NS1_11comp_targetILNS1_3genE2ELNS1_11target_archE906ELNS1_3gpuE6ELNS1_3repE0EEENS1_30default_config_static_selectorELNS0_4arch9wavefront6targetE0EEEvS11_.has_indirect_call, 0
	.section	.AMDGPU.csdata,"",@progbits
; Kernel info:
; codeLenInByte = 0
; TotalNumSgprs: 0
; NumVgprs: 0
; ScratchSize: 0
; MemoryBound: 0
; FloatMode: 240
; IeeeMode: 1
; LDSByteSize: 0 bytes/workgroup (compile time only)
; SGPRBlocks: 0
; VGPRBlocks: 0
; NumSGPRsForWavesPerEU: 1
; NumVGPRsForWavesPerEU: 1
; Occupancy: 16
; WaveLimiterHint : 0
; COMPUTE_PGM_RSRC2:SCRATCH_EN: 0
; COMPUTE_PGM_RSRC2:USER_SGPR: 6
; COMPUTE_PGM_RSRC2:TRAP_HANDLER: 0
; COMPUTE_PGM_RSRC2:TGID_X_EN: 1
; COMPUTE_PGM_RSRC2:TGID_Y_EN: 0
; COMPUTE_PGM_RSRC2:TGID_Z_EN: 0
; COMPUTE_PGM_RSRC2:TIDIG_COMP_CNT: 0
	.section	.text._ZN7rocprim17ROCPRIM_400000_NS6detail17trampoline_kernelINS0_14default_configENS1_21merge_config_selectorINS0_5tupleIJjjEEENS0_10empty_typeEEEZNS1_10merge_implIS3_NS0_12zip_iteratorINS5_IJN6thrust23THRUST_200600_302600_NS6detail15normal_iteratorINSC_10device_ptrIKjEEEESI_EEEEESK_NSA_INS5_IJNSC_16discard_iteratorINSC_11use_defaultEEESN_EEEEEPS7_SQ_SQ_NSC_11hip_rocprim7__merge17predicate_wrapperIjjNSC_4lessIjEEEEEE10hipError_tPvRmT0_T1_T2_T3_T4_T5_mmT6_P12ihipStream_tbEUlT_E0_NS1_11comp_targetILNS1_3genE10ELNS1_11target_archE1201ELNS1_3gpuE5ELNS1_3repE0EEENS1_30default_config_static_selectorELNS0_4arch9wavefront6targetE0EEEvS11_,"axG",@progbits,_ZN7rocprim17ROCPRIM_400000_NS6detail17trampoline_kernelINS0_14default_configENS1_21merge_config_selectorINS0_5tupleIJjjEEENS0_10empty_typeEEEZNS1_10merge_implIS3_NS0_12zip_iteratorINS5_IJN6thrust23THRUST_200600_302600_NS6detail15normal_iteratorINSC_10device_ptrIKjEEEESI_EEEEESK_NSA_INS5_IJNSC_16discard_iteratorINSC_11use_defaultEEESN_EEEEEPS7_SQ_SQ_NSC_11hip_rocprim7__merge17predicate_wrapperIjjNSC_4lessIjEEEEEE10hipError_tPvRmT0_T1_T2_T3_T4_T5_mmT6_P12ihipStream_tbEUlT_E0_NS1_11comp_targetILNS1_3genE10ELNS1_11target_archE1201ELNS1_3gpuE5ELNS1_3repE0EEENS1_30default_config_static_selectorELNS0_4arch9wavefront6targetE0EEEvS11_,comdat
	.protected	_ZN7rocprim17ROCPRIM_400000_NS6detail17trampoline_kernelINS0_14default_configENS1_21merge_config_selectorINS0_5tupleIJjjEEENS0_10empty_typeEEEZNS1_10merge_implIS3_NS0_12zip_iteratorINS5_IJN6thrust23THRUST_200600_302600_NS6detail15normal_iteratorINSC_10device_ptrIKjEEEESI_EEEEESK_NSA_INS5_IJNSC_16discard_iteratorINSC_11use_defaultEEESN_EEEEEPS7_SQ_SQ_NSC_11hip_rocprim7__merge17predicate_wrapperIjjNSC_4lessIjEEEEEE10hipError_tPvRmT0_T1_T2_T3_T4_T5_mmT6_P12ihipStream_tbEUlT_E0_NS1_11comp_targetILNS1_3genE10ELNS1_11target_archE1201ELNS1_3gpuE5ELNS1_3repE0EEENS1_30default_config_static_selectorELNS0_4arch9wavefront6targetE0EEEvS11_ ; -- Begin function _ZN7rocprim17ROCPRIM_400000_NS6detail17trampoline_kernelINS0_14default_configENS1_21merge_config_selectorINS0_5tupleIJjjEEENS0_10empty_typeEEEZNS1_10merge_implIS3_NS0_12zip_iteratorINS5_IJN6thrust23THRUST_200600_302600_NS6detail15normal_iteratorINSC_10device_ptrIKjEEEESI_EEEEESK_NSA_INS5_IJNSC_16discard_iteratorINSC_11use_defaultEEESN_EEEEEPS7_SQ_SQ_NSC_11hip_rocprim7__merge17predicate_wrapperIjjNSC_4lessIjEEEEEE10hipError_tPvRmT0_T1_T2_T3_T4_T5_mmT6_P12ihipStream_tbEUlT_E0_NS1_11comp_targetILNS1_3genE10ELNS1_11target_archE1201ELNS1_3gpuE5ELNS1_3repE0EEENS1_30default_config_static_selectorELNS0_4arch9wavefront6targetE0EEEvS11_
	.globl	_ZN7rocprim17ROCPRIM_400000_NS6detail17trampoline_kernelINS0_14default_configENS1_21merge_config_selectorINS0_5tupleIJjjEEENS0_10empty_typeEEEZNS1_10merge_implIS3_NS0_12zip_iteratorINS5_IJN6thrust23THRUST_200600_302600_NS6detail15normal_iteratorINSC_10device_ptrIKjEEEESI_EEEEESK_NSA_INS5_IJNSC_16discard_iteratorINSC_11use_defaultEEESN_EEEEEPS7_SQ_SQ_NSC_11hip_rocprim7__merge17predicate_wrapperIjjNSC_4lessIjEEEEEE10hipError_tPvRmT0_T1_T2_T3_T4_T5_mmT6_P12ihipStream_tbEUlT_E0_NS1_11comp_targetILNS1_3genE10ELNS1_11target_archE1201ELNS1_3gpuE5ELNS1_3repE0EEENS1_30default_config_static_selectorELNS0_4arch9wavefront6targetE0EEEvS11_
	.p2align	8
	.type	_ZN7rocprim17ROCPRIM_400000_NS6detail17trampoline_kernelINS0_14default_configENS1_21merge_config_selectorINS0_5tupleIJjjEEENS0_10empty_typeEEEZNS1_10merge_implIS3_NS0_12zip_iteratorINS5_IJN6thrust23THRUST_200600_302600_NS6detail15normal_iteratorINSC_10device_ptrIKjEEEESI_EEEEESK_NSA_INS5_IJNSC_16discard_iteratorINSC_11use_defaultEEESN_EEEEEPS7_SQ_SQ_NSC_11hip_rocprim7__merge17predicate_wrapperIjjNSC_4lessIjEEEEEE10hipError_tPvRmT0_T1_T2_T3_T4_T5_mmT6_P12ihipStream_tbEUlT_E0_NS1_11comp_targetILNS1_3genE10ELNS1_11target_archE1201ELNS1_3gpuE5ELNS1_3repE0EEENS1_30default_config_static_selectorELNS0_4arch9wavefront6targetE0EEEvS11_,@function
_ZN7rocprim17ROCPRIM_400000_NS6detail17trampoline_kernelINS0_14default_configENS1_21merge_config_selectorINS0_5tupleIJjjEEENS0_10empty_typeEEEZNS1_10merge_implIS3_NS0_12zip_iteratorINS5_IJN6thrust23THRUST_200600_302600_NS6detail15normal_iteratorINSC_10device_ptrIKjEEEESI_EEEEESK_NSA_INS5_IJNSC_16discard_iteratorINSC_11use_defaultEEESN_EEEEEPS7_SQ_SQ_NSC_11hip_rocprim7__merge17predicate_wrapperIjjNSC_4lessIjEEEEEE10hipError_tPvRmT0_T1_T2_T3_T4_T5_mmT6_P12ihipStream_tbEUlT_E0_NS1_11comp_targetILNS1_3genE10ELNS1_11target_archE1201ELNS1_3gpuE5ELNS1_3repE0EEENS1_30default_config_static_selectorELNS0_4arch9wavefront6targetE0EEEvS11_: ; @_ZN7rocprim17ROCPRIM_400000_NS6detail17trampoline_kernelINS0_14default_configENS1_21merge_config_selectorINS0_5tupleIJjjEEENS0_10empty_typeEEEZNS1_10merge_implIS3_NS0_12zip_iteratorINS5_IJN6thrust23THRUST_200600_302600_NS6detail15normal_iteratorINSC_10device_ptrIKjEEEESI_EEEEESK_NSA_INS5_IJNSC_16discard_iteratorINSC_11use_defaultEEESN_EEEEEPS7_SQ_SQ_NSC_11hip_rocprim7__merge17predicate_wrapperIjjNSC_4lessIjEEEEEE10hipError_tPvRmT0_T1_T2_T3_T4_T5_mmT6_P12ihipStream_tbEUlT_E0_NS1_11comp_targetILNS1_3genE10ELNS1_11target_archE1201ELNS1_3gpuE5ELNS1_3repE0EEENS1_30default_config_static_selectorELNS0_4arch9wavefront6targetE0EEEvS11_
; %bb.0:
	.section	.rodata,"a",@progbits
	.p2align	6, 0x0
	.amdhsa_kernel _ZN7rocprim17ROCPRIM_400000_NS6detail17trampoline_kernelINS0_14default_configENS1_21merge_config_selectorINS0_5tupleIJjjEEENS0_10empty_typeEEEZNS1_10merge_implIS3_NS0_12zip_iteratorINS5_IJN6thrust23THRUST_200600_302600_NS6detail15normal_iteratorINSC_10device_ptrIKjEEEESI_EEEEESK_NSA_INS5_IJNSC_16discard_iteratorINSC_11use_defaultEEESN_EEEEEPS7_SQ_SQ_NSC_11hip_rocprim7__merge17predicate_wrapperIjjNSC_4lessIjEEEEEE10hipError_tPvRmT0_T1_T2_T3_T4_T5_mmT6_P12ihipStream_tbEUlT_E0_NS1_11comp_targetILNS1_3genE10ELNS1_11target_archE1201ELNS1_3gpuE5ELNS1_3repE0EEENS1_30default_config_static_selectorELNS0_4arch9wavefront6targetE0EEEvS11_
		.amdhsa_group_segment_fixed_size 0
		.amdhsa_private_segment_fixed_size 0
		.amdhsa_kernarg_size 128
		.amdhsa_user_sgpr_count 6
		.amdhsa_user_sgpr_private_segment_buffer 1
		.amdhsa_user_sgpr_dispatch_ptr 0
		.amdhsa_user_sgpr_queue_ptr 0
		.amdhsa_user_sgpr_kernarg_segment_ptr 1
		.amdhsa_user_sgpr_dispatch_id 0
		.amdhsa_user_sgpr_flat_scratch_init 0
		.amdhsa_user_sgpr_private_segment_size 0
		.amdhsa_wavefront_size32 1
		.amdhsa_uses_dynamic_stack 0
		.amdhsa_system_sgpr_private_segment_wavefront_offset 0
		.amdhsa_system_sgpr_workgroup_id_x 1
		.amdhsa_system_sgpr_workgroup_id_y 0
		.amdhsa_system_sgpr_workgroup_id_z 0
		.amdhsa_system_sgpr_workgroup_info 0
		.amdhsa_system_vgpr_workitem_id 0
		.amdhsa_next_free_vgpr 1
		.amdhsa_next_free_sgpr 1
		.amdhsa_reserve_vcc 0
		.amdhsa_reserve_flat_scratch 0
		.amdhsa_float_round_mode_32 0
		.amdhsa_float_round_mode_16_64 0
		.amdhsa_float_denorm_mode_32 3
		.amdhsa_float_denorm_mode_16_64 3
		.amdhsa_dx10_clamp 1
		.amdhsa_ieee_mode 1
		.amdhsa_fp16_overflow 0
		.amdhsa_workgroup_processor_mode 1
		.amdhsa_memory_ordered 1
		.amdhsa_forward_progress 1
		.amdhsa_shared_vgpr_count 0
		.amdhsa_exception_fp_ieee_invalid_op 0
		.amdhsa_exception_fp_denorm_src 0
		.amdhsa_exception_fp_ieee_div_zero 0
		.amdhsa_exception_fp_ieee_overflow 0
		.amdhsa_exception_fp_ieee_underflow 0
		.amdhsa_exception_fp_ieee_inexact 0
		.amdhsa_exception_int_div_zero 0
	.end_amdhsa_kernel
	.section	.text._ZN7rocprim17ROCPRIM_400000_NS6detail17trampoline_kernelINS0_14default_configENS1_21merge_config_selectorINS0_5tupleIJjjEEENS0_10empty_typeEEEZNS1_10merge_implIS3_NS0_12zip_iteratorINS5_IJN6thrust23THRUST_200600_302600_NS6detail15normal_iteratorINSC_10device_ptrIKjEEEESI_EEEEESK_NSA_INS5_IJNSC_16discard_iteratorINSC_11use_defaultEEESN_EEEEEPS7_SQ_SQ_NSC_11hip_rocprim7__merge17predicate_wrapperIjjNSC_4lessIjEEEEEE10hipError_tPvRmT0_T1_T2_T3_T4_T5_mmT6_P12ihipStream_tbEUlT_E0_NS1_11comp_targetILNS1_3genE10ELNS1_11target_archE1201ELNS1_3gpuE5ELNS1_3repE0EEENS1_30default_config_static_selectorELNS0_4arch9wavefront6targetE0EEEvS11_,"axG",@progbits,_ZN7rocprim17ROCPRIM_400000_NS6detail17trampoline_kernelINS0_14default_configENS1_21merge_config_selectorINS0_5tupleIJjjEEENS0_10empty_typeEEEZNS1_10merge_implIS3_NS0_12zip_iteratorINS5_IJN6thrust23THRUST_200600_302600_NS6detail15normal_iteratorINSC_10device_ptrIKjEEEESI_EEEEESK_NSA_INS5_IJNSC_16discard_iteratorINSC_11use_defaultEEESN_EEEEEPS7_SQ_SQ_NSC_11hip_rocprim7__merge17predicate_wrapperIjjNSC_4lessIjEEEEEE10hipError_tPvRmT0_T1_T2_T3_T4_T5_mmT6_P12ihipStream_tbEUlT_E0_NS1_11comp_targetILNS1_3genE10ELNS1_11target_archE1201ELNS1_3gpuE5ELNS1_3repE0EEENS1_30default_config_static_selectorELNS0_4arch9wavefront6targetE0EEEvS11_,comdat
.Lfunc_end547:
	.size	_ZN7rocprim17ROCPRIM_400000_NS6detail17trampoline_kernelINS0_14default_configENS1_21merge_config_selectorINS0_5tupleIJjjEEENS0_10empty_typeEEEZNS1_10merge_implIS3_NS0_12zip_iteratorINS5_IJN6thrust23THRUST_200600_302600_NS6detail15normal_iteratorINSC_10device_ptrIKjEEEESI_EEEEESK_NSA_INS5_IJNSC_16discard_iteratorINSC_11use_defaultEEESN_EEEEEPS7_SQ_SQ_NSC_11hip_rocprim7__merge17predicate_wrapperIjjNSC_4lessIjEEEEEE10hipError_tPvRmT0_T1_T2_T3_T4_T5_mmT6_P12ihipStream_tbEUlT_E0_NS1_11comp_targetILNS1_3genE10ELNS1_11target_archE1201ELNS1_3gpuE5ELNS1_3repE0EEENS1_30default_config_static_selectorELNS0_4arch9wavefront6targetE0EEEvS11_, .Lfunc_end547-_ZN7rocprim17ROCPRIM_400000_NS6detail17trampoline_kernelINS0_14default_configENS1_21merge_config_selectorINS0_5tupleIJjjEEENS0_10empty_typeEEEZNS1_10merge_implIS3_NS0_12zip_iteratorINS5_IJN6thrust23THRUST_200600_302600_NS6detail15normal_iteratorINSC_10device_ptrIKjEEEESI_EEEEESK_NSA_INS5_IJNSC_16discard_iteratorINSC_11use_defaultEEESN_EEEEEPS7_SQ_SQ_NSC_11hip_rocprim7__merge17predicate_wrapperIjjNSC_4lessIjEEEEEE10hipError_tPvRmT0_T1_T2_T3_T4_T5_mmT6_P12ihipStream_tbEUlT_E0_NS1_11comp_targetILNS1_3genE10ELNS1_11target_archE1201ELNS1_3gpuE5ELNS1_3repE0EEENS1_30default_config_static_selectorELNS0_4arch9wavefront6targetE0EEEvS11_
                                        ; -- End function
	.set _ZN7rocprim17ROCPRIM_400000_NS6detail17trampoline_kernelINS0_14default_configENS1_21merge_config_selectorINS0_5tupleIJjjEEENS0_10empty_typeEEEZNS1_10merge_implIS3_NS0_12zip_iteratorINS5_IJN6thrust23THRUST_200600_302600_NS6detail15normal_iteratorINSC_10device_ptrIKjEEEESI_EEEEESK_NSA_INS5_IJNSC_16discard_iteratorINSC_11use_defaultEEESN_EEEEEPS7_SQ_SQ_NSC_11hip_rocprim7__merge17predicate_wrapperIjjNSC_4lessIjEEEEEE10hipError_tPvRmT0_T1_T2_T3_T4_T5_mmT6_P12ihipStream_tbEUlT_E0_NS1_11comp_targetILNS1_3genE10ELNS1_11target_archE1201ELNS1_3gpuE5ELNS1_3repE0EEENS1_30default_config_static_selectorELNS0_4arch9wavefront6targetE0EEEvS11_.num_vgpr, 0
	.set _ZN7rocprim17ROCPRIM_400000_NS6detail17trampoline_kernelINS0_14default_configENS1_21merge_config_selectorINS0_5tupleIJjjEEENS0_10empty_typeEEEZNS1_10merge_implIS3_NS0_12zip_iteratorINS5_IJN6thrust23THRUST_200600_302600_NS6detail15normal_iteratorINSC_10device_ptrIKjEEEESI_EEEEESK_NSA_INS5_IJNSC_16discard_iteratorINSC_11use_defaultEEESN_EEEEEPS7_SQ_SQ_NSC_11hip_rocprim7__merge17predicate_wrapperIjjNSC_4lessIjEEEEEE10hipError_tPvRmT0_T1_T2_T3_T4_T5_mmT6_P12ihipStream_tbEUlT_E0_NS1_11comp_targetILNS1_3genE10ELNS1_11target_archE1201ELNS1_3gpuE5ELNS1_3repE0EEENS1_30default_config_static_selectorELNS0_4arch9wavefront6targetE0EEEvS11_.num_agpr, 0
	.set _ZN7rocprim17ROCPRIM_400000_NS6detail17trampoline_kernelINS0_14default_configENS1_21merge_config_selectorINS0_5tupleIJjjEEENS0_10empty_typeEEEZNS1_10merge_implIS3_NS0_12zip_iteratorINS5_IJN6thrust23THRUST_200600_302600_NS6detail15normal_iteratorINSC_10device_ptrIKjEEEESI_EEEEESK_NSA_INS5_IJNSC_16discard_iteratorINSC_11use_defaultEEESN_EEEEEPS7_SQ_SQ_NSC_11hip_rocprim7__merge17predicate_wrapperIjjNSC_4lessIjEEEEEE10hipError_tPvRmT0_T1_T2_T3_T4_T5_mmT6_P12ihipStream_tbEUlT_E0_NS1_11comp_targetILNS1_3genE10ELNS1_11target_archE1201ELNS1_3gpuE5ELNS1_3repE0EEENS1_30default_config_static_selectorELNS0_4arch9wavefront6targetE0EEEvS11_.numbered_sgpr, 0
	.set _ZN7rocprim17ROCPRIM_400000_NS6detail17trampoline_kernelINS0_14default_configENS1_21merge_config_selectorINS0_5tupleIJjjEEENS0_10empty_typeEEEZNS1_10merge_implIS3_NS0_12zip_iteratorINS5_IJN6thrust23THRUST_200600_302600_NS6detail15normal_iteratorINSC_10device_ptrIKjEEEESI_EEEEESK_NSA_INS5_IJNSC_16discard_iteratorINSC_11use_defaultEEESN_EEEEEPS7_SQ_SQ_NSC_11hip_rocprim7__merge17predicate_wrapperIjjNSC_4lessIjEEEEEE10hipError_tPvRmT0_T1_T2_T3_T4_T5_mmT6_P12ihipStream_tbEUlT_E0_NS1_11comp_targetILNS1_3genE10ELNS1_11target_archE1201ELNS1_3gpuE5ELNS1_3repE0EEENS1_30default_config_static_selectorELNS0_4arch9wavefront6targetE0EEEvS11_.num_named_barrier, 0
	.set _ZN7rocprim17ROCPRIM_400000_NS6detail17trampoline_kernelINS0_14default_configENS1_21merge_config_selectorINS0_5tupleIJjjEEENS0_10empty_typeEEEZNS1_10merge_implIS3_NS0_12zip_iteratorINS5_IJN6thrust23THRUST_200600_302600_NS6detail15normal_iteratorINSC_10device_ptrIKjEEEESI_EEEEESK_NSA_INS5_IJNSC_16discard_iteratorINSC_11use_defaultEEESN_EEEEEPS7_SQ_SQ_NSC_11hip_rocprim7__merge17predicate_wrapperIjjNSC_4lessIjEEEEEE10hipError_tPvRmT0_T1_T2_T3_T4_T5_mmT6_P12ihipStream_tbEUlT_E0_NS1_11comp_targetILNS1_3genE10ELNS1_11target_archE1201ELNS1_3gpuE5ELNS1_3repE0EEENS1_30default_config_static_selectorELNS0_4arch9wavefront6targetE0EEEvS11_.private_seg_size, 0
	.set _ZN7rocprim17ROCPRIM_400000_NS6detail17trampoline_kernelINS0_14default_configENS1_21merge_config_selectorINS0_5tupleIJjjEEENS0_10empty_typeEEEZNS1_10merge_implIS3_NS0_12zip_iteratorINS5_IJN6thrust23THRUST_200600_302600_NS6detail15normal_iteratorINSC_10device_ptrIKjEEEESI_EEEEESK_NSA_INS5_IJNSC_16discard_iteratorINSC_11use_defaultEEESN_EEEEEPS7_SQ_SQ_NSC_11hip_rocprim7__merge17predicate_wrapperIjjNSC_4lessIjEEEEEE10hipError_tPvRmT0_T1_T2_T3_T4_T5_mmT6_P12ihipStream_tbEUlT_E0_NS1_11comp_targetILNS1_3genE10ELNS1_11target_archE1201ELNS1_3gpuE5ELNS1_3repE0EEENS1_30default_config_static_selectorELNS0_4arch9wavefront6targetE0EEEvS11_.uses_vcc, 0
	.set _ZN7rocprim17ROCPRIM_400000_NS6detail17trampoline_kernelINS0_14default_configENS1_21merge_config_selectorINS0_5tupleIJjjEEENS0_10empty_typeEEEZNS1_10merge_implIS3_NS0_12zip_iteratorINS5_IJN6thrust23THRUST_200600_302600_NS6detail15normal_iteratorINSC_10device_ptrIKjEEEESI_EEEEESK_NSA_INS5_IJNSC_16discard_iteratorINSC_11use_defaultEEESN_EEEEEPS7_SQ_SQ_NSC_11hip_rocprim7__merge17predicate_wrapperIjjNSC_4lessIjEEEEEE10hipError_tPvRmT0_T1_T2_T3_T4_T5_mmT6_P12ihipStream_tbEUlT_E0_NS1_11comp_targetILNS1_3genE10ELNS1_11target_archE1201ELNS1_3gpuE5ELNS1_3repE0EEENS1_30default_config_static_selectorELNS0_4arch9wavefront6targetE0EEEvS11_.uses_flat_scratch, 0
	.set _ZN7rocprim17ROCPRIM_400000_NS6detail17trampoline_kernelINS0_14default_configENS1_21merge_config_selectorINS0_5tupleIJjjEEENS0_10empty_typeEEEZNS1_10merge_implIS3_NS0_12zip_iteratorINS5_IJN6thrust23THRUST_200600_302600_NS6detail15normal_iteratorINSC_10device_ptrIKjEEEESI_EEEEESK_NSA_INS5_IJNSC_16discard_iteratorINSC_11use_defaultEEESN_EEEEEPS7_SQ_SQ_NSC_11hip_rocprim7__merge17predicate_wrapperIjjNSC_4lessIjEEEEEE10hipError_tPvRmT0_T1_T2_T3_T4_T5_mmT6_P12ihipStream_tbEUlT_E0_NS1_11comp_targetILNS1_3genE10ELNS1_11target_archE1201ELNS1_3gpuE5ELNS1_3repE0EEENS1_30default_config_static_selectorELNS0_4arch9wavefront6targetE0EEEvS11_.has_dyn_sized_stack, 0
	.set _ZN7rocprim17ROCPRIM_400000_NS6detail17trampoline_kernelINS0_14default_configENS1_21merge_config_selectorINS0_5tupleIJjjEEENS0_10empty_typeEEEZNS1_10merge_implIS3_NS0_12zip_iteratorINS5_IJN6thrust23THRUST_200600_302600_NS6detail15normal_iteratorINSC_10device_ptrIKjEEEESI_EEEEESK_NSA_INS5_IJNSC_16discard_iteratorINSC_11use_defaultEEESN_EEEEEPS7_SQ_SQ_NSC_11hip_rocprim7__merge17predicate_wrapperIjjNSC_4lessIjEEEEEE10hipError_tPvRmT0_T1_T2_T3_T4_T5_mmT6_P12ihipStream_tbEUlT_E0_NS1_11comp_targetILNS1_3genE10ELNS1_11target_archE1201ELNS1_3gpuE5ELNS1_3repE0EEENS1_30default_config_static_selectorELNS0_4arch9wavefront6targetE0EEEvS11_.has_recursion, 0
	.set _ZN7rocprim17ROCPRIM_400000_NS6detail17trampoline_kernelINS0_14default_configENS1_21merge_config_selectorINS0_5tupleIJjjEEENS0_10empty_typeEEEZNS1_10merge_implIS3_NS0_12zip_iteratorINS5_IJN6thrust23THRUST_200600_302600_NS6detail15normal_iteratorINSC_10device_ptrIKjEEEESI_EEEEESK_NSA_INS5_IJNSC_16discard_iteratorINSC_11use_defaultEEESN_EEEEEPS7_SQ_SQ_NSC_11hip_rocprim7__merge17predicate_wrapperIjjNSC_4lessIjEEEEEE10hipError_tPvRmT0_T1_T2_T3_T4_T5_mmT6_P12ihipStream_tbEUlT_E0_NS1_11comp_targetILNS1_3genE10ELNS1_11target_archE1201ELNS1_3gpuE5ELNS1_3repE0EEENS1_30default_config_static_selectorELNS0_4arch9wavefront6targetE0EEEvS11_.has_indirect_call, 0
	.section	.AMDGPU.csdata,"",@progbits
; Kernel info:
; codeLenInByte = 0
; TotalNumSgprs: 0
; NumVgprs: 0
; ScratchSize: 0
; MemoryBound: 0
; FloatMode: 240
; IeeeMode: 1
; LDSByteSize: 0 bytes/workgroup (compile time only)
; SGPRBlocks: 0
; VGPRBlocks: 0
; NumSGPRsForWavesPerEU: 1
; NumVGPRsForWavesPerEU: 1
; Occupancy: 16
; WaveLimiterHint : 0
; COMPUTE_PGM_RSRC2:SCRATCH_EN: 0
; COMPUTE_PGM_RSRC2:USER_SGPR: 6
; COMPUTE_PGM_RSRC2:TRAP_HANDLER: 0
; COMPUTE_PGM_RSRC2:TGID_X_EN: 1
; COMPUTE_PGM_RSRC2:TGID_Y_EN: 0
; COMPUTE_PGM_RSRC2:TGID_Z_EN: 0
; COMPUTE_PGM_RSRC2:TIDIG_COMP_CNT: 0
	.section	.text._ZN7rocprim17ROCPRIM_400000_NS6detail17trampoline_kernelINS0_14default_configENS1_21merge_config_selectorINS0_5tupleIJjjEEENS0_10empty_typeEEEZNS1_10merge_implIS3_NS0_12zip_iteratorINS5_IJN6thrust23THRUST_200600_302600_NS6detail15normal_iteratorINSC_10device_ptrIKjEEEESI_EEEEESK_NSA_INS5_IJNSC_16discard_iteratorINSC_11use_defaultEEESN_EEEEEPS7_SQ_SQ_NSC_11hip_rocprim7__merge17predicate_wrapperIjjNSC_4lessIjEEEEEE10hipError_tPvRmT0_T1_T2_T3_T4_T5_mmT6_P12ihipStream_tbEUlT_E0_NS1_11comp_targetILNS1_3genE10ELNS1_11target_archE1200ELNS1_3gpuE4ELNS1_3repE0EEENS1_30default_config_static_selectorELNS0_4arch9wavefront6targetE0EEEvS11_,"axG",@progbits,_ZN7rocprim17ROCPRIM_400000_NS6detail17trampoline_kernelINS0_14default_configENS1_21merge_config_selectorINS0_5tupleIJjjEEENS0_10empty_typeEEEZNS1_10merge_implIS3_NS0_12zip_iteratorINS5_IJN6thrust23THRUST_200600_302600_NS6detail15normal_iteratorINSC_10device_ptrIKjEEEESI_EEEEESK_NSA_INS5_IJNSC_16discard_iteratorINSC_11use_defaultEEESN_EEEEEPS7_SQ_SQ_NSC_11hip_rocprim7__merge17predicate_wrapperIjjNSC_4lessIjEEEEEE10hipError_tPvRmT0_T1_T2_T3_T4_T5_mmT6_P12ihipStream_tbEUlT_E0_NS1_11comp_targetILNS1_3genE10ELNS1_11target_archE1200ELNS1_3gpuE4ELNS1_3repE0EEENS1_30default_config_static_selectorELNS0_4arch9wavefront6targetE0EEEvS11_,comdat
	.protected	_ZN7rocprim17ROCPRIM_400000_NS6detail17trampoline_kernelINS0_14default_configENS1_21merge_config_selectorINS0_5tupleIJjjEEENS0_10empty_typeEEEZNS1_10merge_implIS3_NS0_12zip_iteratorINS5_IJN6thrust23THRUST_200600_302600_NS6detail15normal_iteratorINSC_10device_ptrIKjEEEESI_EEEEESK_NSA_INS5_IJNSC_16discard_iteratorINSC_11use_defaultEEESN_EEEEEPS7_SQ_SQ_NSC_11hip_rocprim7__merge17predicate_wrapperIjjNSC_4lessIjEEEEEE10hipError_tPvRmT0_T1_T2_T3_T4_T5_mmT6_P12ihipStream_tbEUlT_E0_NS1_11comp_targetILNS1_3genE10ELNS1_11target_archE1200ELNS1_3gpuE4ELNS1_3repE0EEENS1_30default_config_static_selectorELNS0_4arch9wavefront6targetE0EEEvS11_ ; -- Begin function _ZN7rocprim17ROCPRIM_400000_NS6detail17trampoline_kernelINS0_14default_configENS1_21merge_config_selectorINS0_5tupleIJjjEEENS0_10empty_typeEEEZNS1_10merge_implIS3_NS0_12zip_iteratorINS5_IJN6thrust23THRUST_200600_302600_NS6detail15normal_iteratorINSC_10device_ptrIKjEEEESI_EEEEESK_NSA_INS5_IJNSC_16discard_iteratorINSC_11use_defaultEEESN_EEEEEPS7_SQ_SQ_NSC_11hip_rocprim7__merge17predicate_wrapperIjjNSC_4lessIjEEEEEE10hipError_tPvRmT0_T1_T2_T3_T4_T5_mmT6_P12ihipStream_tbEUlT_E0_NS1_11comp_targetILNS1_3genE10ELNS1_11target_archE1200ELNS1_3gpuE4ELNS1_3repE0EEENS1_30default_config_static_selectorELNS0_4arch9wavefront6targetE0EEEvS11_
	.globl	_ZN7rocprim17ROCPRIM_400000_NS6detail17trampoline_kernelINS0_14default_configENS1_21merge_config_selectorINS0_5tupleIJjjEEENS0_10empty_typeEEEZNS1_10merge_implIS3_NS0_12zip_iteratorINS5_IJN6thrust23THRUST_200600_302600_NS6detail15normal_iteratorINSC_10device_ptrIKjEEEESI_EEEEESK_NSA_INS5_IJNSC_16discard_iteratorINSC_11use_defaultEEESN_EEEEEPS7_SQ_SQ_NSC_11hip_rocprim7__merge17predicate_wrapperIjjNSC_4lessIjEEEEEE10hipError_tPvRmT0_T1_T2_T3_T4_T5_mmT6_P12ihipStream_tbEUlT_E0_NS1_11comp_targetILNS1_3genE10ELNS1_11target_archE1200ELNS1_3gpuE4ELNS1_3repE0EEENS1_30default_config_static_selectorELNS0_4arch9wavefront6targetE0EEEvS11_
	.p2align	8
	.type	_ZN7rocprim17ROCPRIM_400000_NS6detail17trampoline_kernelINS0_14default_configENS1_21merge_config_selectorINS0_5tupleIJjjEEENS0_10empty_typeEEEZNS1_10merge_implIS3_NS0_12zip_iteratorINS5_IJN6thrust23THRUST_200600_302600_NS6detail15normal_iteratorINSC_10device_ptrIKjEEEESI_EEEEESK_NSA_INS5_IJNSC_16discard_iteratorINSC_11use_defaultEEESN_EEEEEPS7_SQ_SQ_NSC_11hip_rocprim7__merge17predicate_wrapperIjjNSC_4lessIjEEEEEE10hipError_tPvRmT0_T1_T2_T3_T4_T5_mmT6_P12ihipStream_tbEUlT_E0_NS1_11comp_targetILNS1_3genE10ELNS1_11target_archE1200ELNS1_3gpuE4ELNS1_3repE0EEENS1_30default_config_static_selectorELNS0_4arch9wavefront6targetE0EEEvS11_,@function
_ZN7rocprim17ROCPRIM_400000_NS6detail17trampoline_kernelINS0_14default_configENS1_21merge_config_selectorINS0_5tupleIJjjEEENS0_10empty_typeEEEZNS1_10merge_implIS3_NS0_12zip_iteratorINS5_IJN6thrust23THRUST_200600_302600_NS6detail15normal_iteratorINSC_10device_ptrIKjEEEESI_EEEEESK_NSA_INS5_IJNSC_16discard_iteratorINSC_11use_defaultEEESN_EEEEEPS7_SQ_SQ_NSC_11hip_rocprim7__merge17predicate_wrapperIjjNSC_4lessIjEEEEEE10hipError_tPvRmT0_T1_T2_T3_T4_T5_mmT6_P12ihipStream_tbEUlT_E0_NS1_11comp_targetILNS1_3genE10ELNS1_11target_archE1200ELNS1_3gpuE4ELNS1_3repE0EEENS1_30default_config_static_selectorELNS0_4arch9wavefront6targetE0EEEvS11_: ; @_ZN7rocprim17ROCPRIM_400000_NS6detail17trampoline_kernelINS0_14default_configENS1_21merge_config_selectorINS0_5tupleIJjjEEENS0_10empty_typeEEEZNS1_10merge_implIS3_NS0_12zip_iteratorINS5_IJN6thrust23THRUST_200600_302600_NS6detail15normal_iteratorINSC_10device_ptrIKjEEEESI_EEEEESK_NSA_INS5_IJNSC_16discard_iteratorINSC_11use_defaultEEESN_EEEEEPS7_SQ_SQ_NSC_11hip_rocprim7__merge17predicate_wrapperIjjNSC_4lessIjEEEEEE10hipError_tPvRmT0_T1_T2_T3_T4_T5_mmT6_P12ihipStream_tbEUlT_E0_NS1_11comp_targetILNS1_3genE10ELNS1_11target_archE1200ELNS1_3gpuE4ELNS1_3repE0EEENS1_30default_config_static_selectorELNS0_4arch9wavefront6targetE0EEEvS11_
; %bb.0:
	.section	.rodata,"a",@progbits
	.p2align	6, 0x0
	.amdhsa_kernel _ZN7rocprim17ROCPRIM_400000_NS6detail17trampoline_kernelINS0_14default_configENS1_21merge_config_selectorINS0_5tupleIJjjEEENS0_10empty_typeEEEZNS1_10merge_implIS3_NS0_12zip_iteratorINS5_IJN6thrust23THRUST_200600_302600_NS6detail15normal_iteratorINSC_10device_ptrIKjEEEESI_EEEEESK_NSA_INS5_IJNSC_16discard_iteratorINSC_11use_defaultEEESN_EEEEEPS7_SQ_SQ_NSC_11hip_rocprim7__merge17predicate_wrapperIjjNSC_4lessIjEEEEEE10hipError_tPvRmT0_T1_T2_T3_T4_T5_mmT6_P12ihipStream_tbEUlT_E0_NS1_11comp_targetILNS1_3genE10ELNS1_11target_archE1200ELNS1_3gpuE4ELNS1_3repE0EEENS1_30default_config_static_selectorELNS0_4arch9wavefront6targetE0EEEvS11_
		.amdhsa_group_segment_fixed_size 0
		.amdhsa_private_segment_fixed_size 0
		.amdhsa_kernarg_size 128
		.amdhsa_user_sgpr_count 6
		.amdhsa_user_sgpr_private_segment_buffer 1
		.amdhsa_user_sgpr_dispatch_ptr 0
		.amdhsa_user_sgpr_queue_ptr 0
		.amdhsa_user_sgpr_kernarg_segment_ptr 1
		.amdhsa_user_sgpr_dispatch_id 0
		.amdhsa_user_sgpr_flat_scratch_init 0
		.amdhsa_user_sgpr_private_segment_size 0
		.amdhsa_wavefront_size32 1
		.amdhsa_uses_dynamic_stack 0
		.amdhsa_system_sgpr_private_segment_wavefront_offset 0
		.amdhsa_system_sgpr_workgroup_id_x 1
		.amdhsa_system_sgpr_workgroup_id_y 0
		.amdhsa_system_sgpr_workgroup_id_z 0
		.amdhsa_system_sgpr_workgroup_info 0
		.amdhsa_system_vgpr_workitem_id 0
		.amdhsa_next_free_vgpr 1
		.amdhsa_next_free_sgpr 1
		.amdhsa_reserve_vcc 0
		.amdhsa_reserve_flat_scratch 0
		.amdhsa_float_round_mode_32 0
		.amdhsa_float_round_mode_16_64 0
		.amdhsa_float_denorm_mode_32 3
		.amdhsa_float_denorm_mode_16_64 3
		.amdhsa_dx10_clamp 1
		.amdhsa_ieee_mode 1
		.amdhsa_fp16_overflow 0
		.amdhsa_workgroup_processor_mode 1
		.amdhsa_memory_ordered 1
		.amdhsa_forward_progress 1
		.amdhsa_shared_vgpr_count 0
		.amdhsa_exception_fp_ieee_invalid_op 0
		.amdhsa_exception_fp_denorm_src 0
		.amdhsa_exception_fp_ieee_div_zero 0
		.amdhsa_exception_fp_ieee_overflow 0
		.amdhsa_exception_fp_ieee_underflow 0
		.amdhsa_exception_fp_ieee_inexact 0
		.amdhsa_exception_int_div_zero 0
	.end_amdhsa_kernel
	.section	.text._ZN7rocprim17ROCPRIM_400000_NS6detail17trampoline_kernelINS0_14default_configENS1_21merge_config_selectorINS0_5tupleIJjjEEENS0_10empty_typeEEEZNS1_10merge_implIS3_NS0_12zip_iteratorINS5_IJN6thrust23THRUST_200600_302600_NS6detail15normal_iteratorINSC_10device_ptrIKjEEEESI_EEEEESK_NSA_INS5_IJNSC_16discard_iteratorINSC_11use_defaultEEESN_EEEEEPS7_SQ_SQ_NSC_11hip_rocprim7__merge17predicate_wrapperIjjNSC_4lessIjEEEEEE10hipError_tPvRmT0_T1_T2_T3_T4_T5_mmT6_P12ihipStream_tbEUlT_E0_NS1_11comp_targetILNS1_3genE10ELNS1_11target_archE1200ELNS1_3gpuE4ELNS1_3repE0EEENS1_30default_config_static_selectorELNS0_4arch9wavefront6targetE0EEEvS11_,"axG",@progbits,_ZN7rocprim17ROCPRIM_400000_NS6detail17trampoline_kernelINS0_14default_configENS1_21merge_config_selectorINS0_5tupleIJjjEEENS0_10empty_typeEEEZNS1_10merge_implIS3_NS0_12zip_iteratorINS5_IJN6thrust23THRUST_200600_302600_NS6detail15normal_iteratorINSC_10device_ptrIKjEEEESI_EEEEESK_NSA_INS5_IJNSC_16discard_iteratorINSC_11use_defaultEEESN_EEEEEPS7_SQ_SQ_NSC_11hip_rocprim7__merge17predicate_wrapperIjjNSC_4lessIjEEEEEE10hipError_tPvRmT0_T1_T2_T3_T4_T5_mmT6_P12ihipStream_tbEUlT_E0_NS1_11comp_targetILNS1_3genE10ELNS1_11target_archE1200ELNS1_3gpuE4ELNS1_3repE0EEENS1_30default_config_static_selectorELNS0_4arch9wavefront6targetE0EEEvS11_,comdat
.Lfunc_end548:
	.size	_ZN7rocprim17ROCPRIM_400000_NS6detail17trampoline_kernelINS0_14default_configENS1_21merge_config_selectorINS0_5tupleIJjjEEENS0_10empty_typeEEEZNS1_10merge_implIS3_NS0_12zip_iteratorINS5_IJN6thrust23THRUST_200600_302600_NS6detail15normal_iteratorINSC_10device_ptrIKjEEEESI_EEEEESK_NSA_INS5_IJNSC_16discard_iteratorINSC_11use_defaultEEESN_EEEEEPS7_SQ_SQ_NSC_11hip_rocprim7__merge17predicate_wrapperIjjNSC_4lessIjEEEEEE10hipError_tPvRmT0_T1_T2_T3_T4_T5_mmT6_P12ihipStream_tbEUlT_E0_NS1_11comp_targetILNS1_3genE10ELNS1_11target_archE1200ELNS1_3gpuE4ELNS1_3repE0EEENS1_30default_config_static_selectorELNS0_4arch9wavefront6targetE0EEEvS11_, .Lfunc_end548-_ZN7rocprim17ROCPRIM_400000_NS6detail17trampoline_kernelINS0_14default_configENS1_21merge_config_selectorINS0_5tupleIJjjEEENS0_10empty_typeEEEZNS1_10merge_implIS3_NS0_12zip_iteratorINS5_IJN6thrust23THRUST_200600_302600_NS6detail15normal_iteratorINSC_10device_ptrIKjEEEESI_EEEEESK_NSA_INS5_IJNSC_16discard_iteratorINSC_11use_defaultEEESN_EEEEEPS7_SQ_SQ_NSC_11hip_rocprim7__merge17predicate_wrapperIjjNSC_4lessIjEEEEEE10hipError_tPvRmT0_T1_T2_T3_T4_T5_mmT6_P12ihipStream_tbEUlT_E0_NS1_11comp_targetILNS1_3genE10ELNS1_11target_archE1200ELNS1_3gpuE4ELNS1_3repE0EEENS1_30default_config_static_selectorELNS0_4arch9wavefront6targetE0EEEvS11_
                                        ; -- End function
	.set _ZN7rocprim17ROCPRIM_400000_NS6detail17trampoline_kernelINS0_14default_configENS1_21merge_config_selectorINS0_5tupleIJjjEEENS0_10empty_typeEEEZNS1_10merge_implIS3_NS0_12zip_iteratorINS5_IJN6thrust23THRUST_200600_302600_NS6detail15normal_iteratorINSC_10device_ptrIKjEEEESI_EEEEESK_NSA_INS5_IJNSC_16discard_iteratorINSC_11use_defaultEEESN_EEEEEPS7_SQ_SQ_NSC_11hip_rocprim7__merge17predicate_wrapperIjjNSC_4lessIjEEEEEE10hipError_tPvRmT0_T1_T2_T3_T4_T5_mmT6_P12ihipStream_tbEUlT_E0_NS1_11comp_targetILNS1_3genE10ELNS1_11target_archE1200ELNS1_3gpuE4ELNS1_3repE0EEENS1_30default_config_static_selectorELNS0_4arch9wavefront6targetE0EEEvS11_.num_vgpr, 0
	.set _ZN7rocprim17ROCPRIM_400000_NS6detail17trampoline_kernelINS0_14default_configENS1_21merge_config_selectorINS0_5tupleIJjjEEENS0_10empty_typeEEEZNS1_10merge_implIS3_NS0_12zip_iteratorINS5_IJN6thrust23THRUST_200600_302600_NS6detail15normal_iteratorINSC_10device_ptrIKjEEEESI_EEEEESK_NSA_INS5_IJNSC_16discard_iteratorINSC_11use_defaultEEESN_EEEEEPS7_SQ_SQ_NSC_11hip_rocprim7__merge17predicate_wrapperIjjNSC_4lessIjEEEEEE10hipError_tPvRmT0_T1_T2_T3_T4_T5_mmT6_P12ihipStream_tbEUlT_E0_NS1_11comp_targetILNS1_3genE10ELNS1_11target_archE1200ELNS1_3gpuE4ELNS1_3repE0EEENS1_30default_config_static_selectorELNS0_4arch9wavefront6targetE0EEEvS11_.num_agpr, 0
	.set _ZN7rocprim17ROCPRIM_400000_NS6detail17trampoline_kernelINS0_14default_configENS1_21merge_config_selectorINS0_5tupleIJjjEEENS0_10empty_typeEEEZNS1_10merge_implIS3_NS0_12zip_iteratorINS5_IJN6thrust23THRUST_200600_302600_NS6detail15normal_iteratorINSC_10device_ptrIKjEEEESI_EEEEESK_NSA_INS5_IJNSC_16discard_iteratorINSC_11use_defaultEEESN_EEEEEPS7_SQ_SQ_NSC_11hip_rocprim7__merge17predicate_wrapperIjjNSC_4lessIjEEEEEE10hipError_tPvRmT0_T1_T2_T3_T4_T5_mmT6_P12ihipStream_tbEUlT_E0_NS1_11comp_targetILNS1_3genE10ELNS1_11target_archE1200ELNS1_3gpuE4ELNS1_3repE0EEENS1_30default_config_static_selectorELNS0_4arch9wavefront6targetE0EEEvS11_.numbered_sgpr, 0
	.set _ZN7rocprim17ROCPRIM_400000_NS6detail17trampoline_kernelINS0_14default_configENS1_21merge_config_selectorINS0_5tupleIJjjEEENS0_10empty_typeEEEZNS1_10merge_implIS3_NS0_12zip_iteratorINS5_IJN6thrust23THRUST_200600_302600_NS6detail15normal_iteratorINSC_10device_ptrIKjEEEESI_EEEEESK_NSA_INS5_IJNSC_16discard_iteratorINSC_11use_defaultEEESN_EEEEEPS7_SQ_SQ_NSC_11hip_rocprim7__merge17predicate_wrapperIjjNSC_4lessIjEEEEEE10hipError_tPvRmT0_T1_T2_T3_T4_T5_mmT6_P12ihipStream_tbEUlT_E0_NS1_11comp_targetILNS1_3genE10ELNS1_11target_archE1200ELNS1_3gpuE4ELNS1_3repE0EEENS1_30default_config_static_selectorELNS0_4arch9wavefront6targetE0EEEvS11_.num_named_barrier, 0
	.set _ZN7rocprim17ROCPRIM_400000_NS6detail17trampoline_kernelINS0_14default_configENS1_21merge_config_selectorINS0_5tupleIJjjEEENS0_10empty_typeEEEZNS1_10merge_implIS3_NS0_12zip_iteratorINS5_IJN6thrust23THRUST_200600_302600_NS6detail15normal_iteratorINSC_10device_ptrIKjEEEESI_EEEEESK_NSA_INS5_IJNSC_16discard_iteratorINSC_11use_defaultEEESN_EEEEEPS7_SQ_SQ_NSC_11hip_rocprim7__merge17predicate_wrapperIjjNSC_4lessIjEEEEEE10hipError_tPvRmT0_T1_T2_T3_T4_T5_mmT6_P12ihipStream_tbEUlT_E0_NS1_11comp_targetILNS1_3genE10ELNS1_11target_archE1200ELNS1_3gpuE4ELNS1_3repE0EEENS1_30default_config_static_selectorELNS0_4arch9wavefront6targetE0EEEvS11_.private_seg_size, 0
	.set _ZN7rocprim17ROCPRIM_400000_NS6detail17trampoline_kernelINS0_14default_configENS1_21merge_config_selectorINS0_5tupleIJjjEEENS0_10empty_typeEEEZNS1_10merge_implIS3_NS0_12zip_iteratorINS5_IJN6thrust23THRUST_200600_302600_NS6detail15normal_iteratorINSC_10device_ptrIKjEEEESI_EEEEESK_NSA_INS5_IJNSC_16discard_iteratorINSC_11use_defaultEEESN_EEEEEPS7_SQ_SQ_NSC_11hip_rocprim7__merge17predicate_wrapperIjjNSC_4lessIjEEEEEE10hipError_tPvRmT0_T1_T2_T3_T4_T5_mmT6_P12ihipStream_tbEUlT_E0_NS1_11comp_targetILNS1_3genE10ELNS1_11target_archE1200ELNS1_3gpuE4ELNS1_3repE0EEENS1_30default_config_static_selectorELNS0_4arch9wavefront6targetE0EEEvS11_.uses_vcc, 0
	.set _ZN7rocprim17ROCPRIM_400000_NS6detail17trampoline_kernelINS0_14default_configENS1_21merge_config_selectorINS0_5tupleIJjjEEENS0_10empty_typeEEEZNS1_10merge_implIS3_NS0_12zip_iteratorINS5_IJN6thrust23THRUST_200600_302600_NS6detail15normal_iteratorINSC_10device_ptrIKjEEEESI_EEEEESK_NSA_INS5_IJNSC_16discard_iteratorINSC_11use_defaultEEESN_EEEEEPS7_SQ_SQ_NSC_11hip_rocprim7__merge17predicate_wrapperIjjNSC_4lessIjEEEEEE10hipError_tPvRmT0_T1_T2_T3_T4_T5_mmT6_P12ihipStream_tbEUlT_E0_NS1_11comp_targetILNS1_3genE10ELNS1_11target_archE1200ELNS1_3gpuE4ELNS1_3repE0EEENS1_30default_config_static_selectorELNS0_4arch9wavefront6targetE0EEEvS11_.uses_flat_scratch, 0
	.set _ZN7rocprim17ROCPRIM_400000_NS6detail17trampoline_kernelINS0_14default_configENS1_21merge_config_selectorINS0_5tupleIJjjEEENS0_10empty_typeEEEZNS1_10merge_implIS3_NS0_12zip_iteratorINS5_IJN6thrust23THRUST_200600_302600_NS6detail15normal_iteratorINSC_10device_ptrIKjEEEESI_EEEEESK_NSA_INS5_IJNSC_16discard_iteratorINSC_11use_defaultEEESN_EEEEEPS7_SQ_SQ_NSC_11hip_rocprim7__merge17predicate_wrapperIjjNSC_4lessIjEEEEEE10hipError_tPvRmT0_T1_T2_T3_T4_T5_mmT6_P12ihipStream_tbEUlT_E0_NS1_11comp_targetILNS1_3genE10ELNS1_11target_archE1200ELNS1_3gpuE4ELNS1_3repE0EEENS1_30default_config_static_selectorELNS0_4arch9wavefront6targetE0EEEvS11_.has_dyn_sized_stack, 0
	.set _ZN7rocprim17ROCPRIM_400000_NS6detail17trampoline_kernelINS0_14default_configENS1_21merge_config_selectorINS0_5tupleIJjjEEENS0_10empty_typeEEEZNS1_10merge_implIS3_NS0_12zip_iteratorINS5_IJN6thrust23THRUST_200600_302600_NS6detail15normal_iteratorINSC_10device_ptrIKjEEEESI_EEEEESK_NSA_INS5_IJNSC_16discard_iteratorINSC_11use_defaultEEESN_EEEEEPS7_SQ_SQ_NSC_11hip_rocprim7__merge17predicate_wrapperIjjNSC_4lessIjEEEEEE10hipError_tPvRmT0_T1_T2_T3_T4_T5_mmT6_P12ihipStream_tbEUlT_E0_NS1_11comp_targetILNS1_3genE10ELNS1_11target_archE1200ELNS1_3gpuE4ELNS1_3repE0EEENS1_30default_config_static_selectorELNS0_4arch9wavefront6targetE0EEEvS11_.has_recursion, 0
	.set _ZN7rocprim17ROCPRIM_400000_NS6detail17trampoline_kernelINS0_14default_configENS1_21merge_config_selectorINS0_5tupleIJjjEEENS0_10empty_typeEEEZNS1_10merge_implIS3_NS0_12zip_iteratorINS5_IJN6thrust23THRUST_200600_302600_NS6detail15normal_iteratorINSC_10device_ptrIKjEEEESI_EEEEESK_NSA_INS5_IJNSC_16discard_iteratorINSC_11use_defaultEEESN_EEEEEPS7_SQ_SQ_NSC_11hip_rocprim7__merge17predicate_wrapperIjjNSC_4lessIjEEEEEE10hipError_tPvRmT0_T1_T2_T3_T4_T5_mmT6_P12ihipStream_tbEUlT_E0_NS1_11comp_targetILNS1_3genE10ELNS1_11target_archE1200ELNS1_3gpuE4ELNS1_3repE0EEENS1_30default_config_static_selectorELNS0_4arch9wavefront6targetE0EEEvS11_.has_indirect_call, 0
	.section	.AMDGPU.csdata,"",@progbits
; Kernel info:
; codeLenInByte = 0
; TotalNumSgprs: 0
; NumVgprs: 0
; ScratchSize: 0
; MemoryBound: 0
; FloatMode: 240
; IeeeMode: 1
; LDSByteSize: 0 bytes/workgroup (compile time only)
; SGPRBlocks: 0
; VGPRBlocks: 0
; NumSGPRsForWavesPerEU: 1
; NumVGPRsForWavesPerEU: 1
; Occupancy: 16
; WaveLimiterHint : 0
; COMPUTE_PGM_RSRC2:SCRATCH_EN: 0
; COMPUTE_PGM_RSRC2:USER_SGPR: 6
; COMPUTE_PGM_RSRC2:TRAP_HANDLER: 0
; COMPUTE_PGM_RSRC2:TGID_X_EN: 1
; COMPUTE_PGM_RSRC2:TGID_Y_EN: 0
; COMPUTE_PGM_RSRC2:TGID_Z_EN: 0
; COMPUTE_PGM_RSRC2:TIDIG_COMP_CNT: 0
	.section	.text._ZN7rocprim17ROCPRIM_400000_NS6detail17trampoline_kernelINS0_14default_configENS1_21merge_config_selectorINS0_5tupleIJjjEEENS0_10empty_typeEEEZNS1_10merge_implIS3_NS0_12zip_iteratorINS5_IJN6thrust23THRUST_200600_302600_NS6detail15normal_iteratorINSC_10device_ptrIKjEEEESI_EEEEESK_NSA_INS5_IJNSC_16discard_iteratorINSC_11use_defaultEEESN_EEEEEPS7_SQ_SQ_NSC_11hip_rocprim7__merge17predicate_wrapperIjjNSC_4lessIjEEEEEE10hipError_tPvRmT0_T1_T2_T3_T4_T5_mmT6_P12ihipStream_tbEUlT_E0_NS1_11comp_targetILNS1_3genE9ELNS1_11target_archE1100ELNS1_3gpuE3ELNS1_3repE0EEENS1_30default_config_static_selectorELNS0_4arch9wavefront6targetE0EEEvS11_,"axG",@progbits,_ZN7rocprim17ROCPRIM_400000_NS6detail17trampoline_kernelINS0_14default_configENS1_21merge_config_selectorINS0_5tupleIJjjEEENS0_10empty_typeEEEZNS1_10merge_implIS3_NS0_12zip_iteratorINS5_IJN6thrust23THRUST_200600_302600_NS6detail15normal_iteratorINSC_10device_ptrIKjEEEESI_EEEEESK_NSA_INS5_IJNSC_16discard_iteratorINSC_11use_defaultEEESN_EEEEEPS7_SQ_SQ_NSC_11hip_rocprim7__merge17predicate_wrapperIjjNSC_4lessIjEEEEEE10hipError_tPvRmT0_T1_T2_T3_T4_T5_mmT6_P12ihipStream_tbEUlT_E0_NS1_11comp_targetILNS1_3genE9ELNS1_11target_archE1100ELNS1_3gpuE3ELNS1_3repE0EEENS1_30default_config_static_selectorELNS0_4arch9wavefront6targetE0EEEvS11_,comdat
	.protected	_ZN7rocprim17ROCPRIM_400000_NS6detail17trampoline_kernelINS0_14default_configENS1_21merge_config_selectorINS0_5tupleIJjjEEENS0_10empty_typeEEEZNS1_10merge_implIS3_NS0_12zip_iteratorINS5_IJN6thrust23THRUST_200600_302600_NS6detail15normal_iteratorINSC_10device_ptrIKjEEEESI_EEEEESK_NSA_INS5_IJNSC_16discard_iteratorINSC_11use_defaultEEESN_EEEEEPS7_SQ_SQ_NSC_11hip_rocprim7__merge17predicate_wrapperIjjNSC_4lessIjEEEEEE10hipError_tPvRmT0_T1_T2_T3_T4_T5_mmT6_P12ihipStream_tbEUlT_E0_NS1_11comp_targetILNS1_3genE9ELNS1_11target_archE1100ELNS1_3gpuE3ELNS1_3repE0EEENS1_30default_config_static_selectorELNS0_4arch9wavefront6targetE0EEEvS11_ ; -- Begin function _ZN7rocprim17ROCPRIM_400000_NS6detail17trampoline_kernelINS0_14default_configENS1_21merge_config_selectorINS0_5tupleIJjjEEENS0_10empty_typeEEEZNS1_10merge_implIS3_NS0_12zip_iteratorINS5_IJN6thrust23THRUST_200600_302600_NS6detail15normal_iteratorINSC_10device_ptrIKjEEEESI_EEEEESK_NSA_INS5_IJNSC_16discard_iteratorINSC_11use_defaultEEESN_EEEEEPS7_SQ_SQ_NSC_11hip_rocprim7__merge17predicate_wrapperIjjNSC_4lessIjEEEEEE10hipError_tPvRmT0_T1_T2_T3_T4_T5_mmT6_P12ihipStream_tbEUlT_E0_NS1_11comp_targetILNS1_3genE9ELNS1_11target_archE1100ELNS1_3gpuE3ELNS1_3repE0EEENS1_30default_config_static_selectorELNS0_4arch9wavefront6targetE0EEEvS11_
	.globl	_ZN7rocprim17ROCPRIM_400000_NS6detail17trampoline_kernelINS0_14default_configENS1_21merge_config_selectorINS0_5tupleIJjjEEENS0_10empty_typeEEEZNS1_10merge_implIS3_NS0_12zip_iteratorINS5_IJN6thrust23THRUST_200600_302600_NS6detail15normal_iteratorINSC_10device_ptrIKjEEEESI_EEEEESK_NSA_INS5_IJNSC_16discard_iteratorINSC_11use_defaultEEESN_EEEEEPS7_SQ_SQ_NSC_11hip_rocprim7__merge17predicate_wrapperIjjNSC_4lessIjEEEEEE10hipError_tPvRmT0_T1_T2_T3_T4_T5_mmT6_P12ihipStream_tbEUlT_E0_NS1_11comp_targetILNS1_3genE9ELNS1_11target_archE1100ELNS1_3gpuE3ELNS1_3repE0EEENS1_30default_config_static_selectorELNS0_4arch9wavefront6targetE0EEEvS11_
	.p2align	8
	.type	_ZN7rocprim17ROCPRIM_400000_NS6detail17trampoline_kernelINS0_14default_configENS1_21merge_config_selectorINS0_5tupleIJjjEEENS0_10empty_typeEEEZNS1_10merge_implIS3_NS0_12zip_iteratorINS5_IJN6thrust23THRUST_200600_302600_NS6detail15normal_iteratorINSC_10device_ptrIKjEEEESI_EEEEESK_NSA_INS5_IJNSC_16discard_iteratorINSC_11use_defaultEEESN_EEEEEPS7_SQ_SQ_NSC_11hip_rocprim7__merge17predicate_wrapperIjjNSC_4lessIjEEEEEE10hipError_tPvRmT0_T1_T2_T3_T4_T5_mmT6_P12ihipStream_tbEUlT_E0_NS1_11comp_targetILNS1_3genE9ELNS1_11target_archE1100ELNS1_3gpuE3ELNS1_3repE0EEENS1_30default_config_static_selectorELNS0_4arch9wavefront6targetE0EEEvS11_,@function
_ZN7rocprim17ROCPRIM_400000_NS6detail17trampoline_kernelINS0_14default_configENS1_21merge_config_selectorINS0_5tupleIJjjEEENS0_10empty_typeEEEZNS1_10merge_implIS3_NS0_12zip_iteratorINS5_IJN6thrust23THRUST_200600_302600_NS6detail15normal_iteratorINSC_10device_ptrIKjEEEESI_EEEEESK_NSA_INS5_IJNSC_16discard_iteratorINSC_11use_defaultEEESN_EEEEEPS7_SQ_SQ_NSC_11hip_rocprim7__merge17predicate_wrapperIjjNSC_4lessIjEEEEEE10hipError_tPvRmT0_T1_T2_T3_T4_T5_mmT6_P12ihipStream_tbEUlT_E0_NS1_11comp_targetILNS1_3genE9ELNS1_11target_archE1100ELNS1_3gpuE3ELNS1_3repE0EEENS1_30default_config_static_selectorELNS0_4arch9wavefront6targetE0EEEvS11_: ; @_ZN7rocprim17ROCPRIM_400000_NS6detail17trampoline_kernelINS0_14default_configENS1_21merge_config_selectorINS0_5tupleIJjjEEENS0_10empty_typeEEEZNS1_10merge_implIS3_NS0_12zip_iteratorINS5_IJN6thrust23THRUST_200600_302600_NS6detail15normal_iteratorINSC_10device_ptrIKjEEEESI_EEEEESK_NSA_INS5_IJNSC_16discard_iteratorINSC_11use_defaultEEESN_EEEEEPS7_SQ_SQ_NSC_11hip_rocprim7__merge17predicate_wrapperIjjNSC_4lessIjEEEEEE10hipError_tPvRmT0_T1_T2_T3_T4_T5_mmT6_P12ihipStream_tbEUlT_E0_NS1_11comp_targetILNS1_3genE9ELNS1_11target_archE1100ELNS1_3gpuE3ELNS1_3repE0EEENS1_30default_config_static_selectorELNS0_4arch9wavefront6targetE0EEEvS11_
; %bb.0:
	.section	.rodata,"a",@progbits
	.p2align	6, 0x0
	.amdhsa_kernel _ZN7rocprim17ROCPRIM_400000_NS6detail17trampoline_kernelINS0_14default_configENS1_21merge_config_selectorINS0_5tupleIJjjEEENS0_10empty_typeEEEZNS1_10merge_implIS3_NS0_12zip_iteratorINS5_IJN6thrust23THRUST_200600_302600_NS6detail15normal_iteratorINSC_10device_ptrIKjEEEESI_EEEEESK_NSA_INS5_IJNSC_16discard_iteratorINSC_11use_defaultEEESN_EEEEEPS7_SQ_SQ_NSC_11hip_rocprim7__merge17predicate_wrapperIjjNSC_4lessIjEEEEEE10hipError_tPvRmT0_T1_T2_T3_T4_T5_mmT6_P12ihipStream_tbEUlT_E0_NS1_11comp_targetILNS1_3genE9ELNS1_11target_archE1100ELNS1_3gpuE3ELNS1_3repE0EEENS1_30default_config_static_selectorELNS0_4arch9wavefront6targetE0EEEvS11_
		.amdhsa_group_segment_fixed_size 0
		.amdhsa_private_segment_fixed_size 0
		.amdhsa_kernarg_size 128
		.amdhsa_user_sgpr_count 6
		.amdhsa_user_sgpr_private_segment_buffer 1
		.amdhsa_user_sgpr_dispatch_ptr 0
		.amdhsa_user_sgpr_queue_ptr 0
		.amdhsa_user_sgpr_kernarg_segment_ptr 1
		.amdhsa_user_sgpr_dispatch_id 0
		.amdhsa_user_sgpr_flat_scratch_init 0
		.amdhsa_user_sgpr_private_segment_size 0
		.amdhsa_wavefront_size32 1
		.amdhsa_uses_dynamic_stack 0
		.amdhsa_system_sgpr_private_segment_wavefront_offset 0
		.amdhsa_system_sgpr_workgroup_id_x 1
		.amdhsa_system_sgpr_workgroup_id_y 0
		.amdhsa_system_sgpr_workgroup_id_z 0
		.amdhsa_system_sgpr_workgroup_info 0
		.amdhsa_system_vgpr_workitem_id 0
		.amdhsa_next_free_vgpr 1
		.amdhsa_next_free_sgpr 1
		.amdhsa_reserve_vcc 0
		.amdhsa_reserve_flat_scratch 0
		.amdhsa_float_round_mode_32 0
		.amdhsa_float_round_mode_16_64 0
		.amdhsa_float_denorm_mode_32 3
		.amdhsa_float_denorm_mode_16_64 3
		.amdhsa_dx10_clamp 1
		.amdhsa_ieee_mode 1
		.amdhsa_fp16_overflow 0
		.amdhsa_workgroup_processor_mode 1
		.amdhsa_memory_ordered 1
		.amdhsa_forward_progress 1
		.amdhsa_shared_vgpr_count 0
		.amdhsa_exception_fp_ieee_invalid_op 0
		.amdhsa_exception_fp_denorm_src 0
		.amdhsa_exception_fp_ieee_div_zero 0
		.amdhsa_exception_fp_ieee_overflow 0
		.amdhsa_exception_fp_ieee_underflow 0
		.amdhsa_exception_fp_ieee_inexact 0
		.amdhsa_exception_int_div_zero 0
	.end_amdhsa_kernel
	.section	.text._ZN7rocprim17ROCPRIM_400000_NS6detail17trampoline_kernelINS0_14default_configENS1_21merge_config_selectorINS0_5tupleIJjjEEENS0_10empty_typeEEEZNS1_10merge_implIS3_NS0_12zip_iteratorINS5_IJN6thrust23THRUST_200600_302600_NS6detail15normal_iteratorINSC_10device_ptrIKjEEEESI_EEEEESK_NSA_INS5_IJNSC_16discard_iteratorINSC_11use_defaultEEESN_EEEEEPS7_SQ_SQ_NSC_11hip_rocprim7__merge17predicate_wrapperIjjNSC_4lessIjEEEEEE10hipError_tPvRmT0_T1_T2_T3_T4_T5_mmT6_P12ihipStream_tbEUlT_E0_NS1_11comp_targetILNS1_3genE9ELNS1_11target_archE1100ELNS1_3gpuE3ELNS1_3repE0EEENS1_30default_config_static_selectorELNS0_4arch9wavefront6targetE0EEEvS11_,"axG",@progbits,_ZN7rocprim17ROCPRIM_400000_NS6detail17trampoline_kernelINS0_14default_configENS1_21merge_config_selectorINS0_5tupleIJjjEEENS0_10empty_typeEEEZNS1_10merge_implIS3_NS0_12zip_iteratorINS5_IJN6thrust23THRUST_200600_302600_NS6detail15normal_iteratorINSC_10device_ptrIKjEEEESI_EEEEESK_NSA_INS5_IJNSC_16discard_iteratorINSC_11use_defaultEEESN_EEEEEPS7_SQ_SQ_NSC_11hip_rocprim7__merge17predicate_wrapperIjjNSC_4lessIjEEEEEE10hipError_tPvRmT0_T1_T2_T3_T4_T5_mmT6_P12ihipStream_tbEUlT_E0_NS1_11comp_targetILNS1_3genE9ELNS1_11target_archE1100ELNS1_3gpuE3ELNS1_3repE0EEENS1_30default_config_static_selectorELNS0_4arch9wavefront6targetE0EEEvS11_,comdat
.Lfunc_end549:
	.size	_ZN7rocprim17ROCPRIM_400000_NS6detail17trampoline_kernelINS0_14default_configENS1_21merge_config_selectorINS0_5tupleIJjjEEENS0_10empty_typeEEEZNS1_10merge_implIS3_NS0_12zip_iteratorINS5_IJN6thrust23THRUST_200600_302600_NS6detail15normal_iteratorINSC_10device_ptrIKjEEEESI_EEEEESK_NSA_INS5_IJNSC_16discard_iteratorINSC_11use_defaultEEESN_EEEEEPS7_SQ_SQ_NSC_11hip_rocprim7__merge17predicate_wrapperIjjNSC_4lessIjEEEEEE10hipError_tPvRmT0_T1_T2_T3_T4_T5_mmT6_P12ihipStream_tbEUlT_E0_NS1_11comp_targetILNS1_3genE9ELNS1_11target_archE1100ELNS1_3gpuE3ELNS1_3repE0EEENS1_30default_config_static_selectorELNS0_4arch9wavefront6targetE0EEEvS11_, .Lfunc_end549-_ZN7rocprim17ROCPRIM_400000_NS6detail17trampoline_kernelINS0_14default_configENS1_21merge_config_selectorINS0_5tupleIJjjEEENS0_10empty_typeEEEZNS1_10merge_implIS3_NS0_12zip_iteratorINS5_IJN6thrust23THRUST_200600_302600_NS6detail15normal_iteratorINSC_10device_ptrIKjEEEESI_EEEEESK_NSA_INS5_IJNSC_16discard_iteratorINSC_11use_defaultEEESN_EEEEEPS7_SQ_SQ_NSC_11hip_rocprim7__merge17predicate_wrapperIjjNSC_4lessIjEEEEEE10hipError_tPvRmT0_T1_T2_T3_T4_T5_mmT6_P12ihipStream_tbEUlT_E0_NS1_11comp_targetILNS1_3genE9ELNS1_11target_archE1100ELNS1_3gpuE3ELNS1_3repE0EEENS1_30default_config_static_selectorELNS0_4arch9wavefront6targetE0EEEvS11_
                                        ; -- End function
	.set _ZN7rocprim17ROCPRIM_400000_NS6detail17trampoline_kernelINS0_14default_configENS1_21merge_config_selectorINS0_5tupleIJjjEEENS0_10empty_typeEEEZNS1_10merge_implIS3_NS0_12zip_iteratorINS5_IJN6thrust23THRUST_200600_302600_NS6detail15normal_iteratorINSC_10device_ptrIKjEEEESI_EEEEESK_NSA_INS5_IJNSC_16discard_iteratorINSC_11use_defaultEEESN_EEEEEPS7_SQ_SQ_NSC_11hip_rocprim7__merge17predicate_wrapperIjjNSC_4lessIjEEEEEE10hipError_tPvRmT0_T1_T2_T3_T4_T5_mmT6_P12ihipStream_tbEUlT_E0_NS1_11comp_targetILNS1_3genE9ELNS1_11target_archE1100ELNS1_3gpuE3ELNS1_3repE0EEENS1_30default_config_static_selectorELNS0_4arch9wavefront6targetE0EEEvS11_.num_vgpr, 0
	.set _ZN7rocprim17ROCPRIM_400000_NS6detail17trampoline_kernelINS0_14default_configENS1_21merge_config_selectorINS0_5tupleIJjjEEENS0_10empty_typeEEEZNS1_10merge_implIS3_NS0_12zip_iteratorINS5_IJN6thrust23THRUST_200600_302600_NS6detail15normal_iteratorINSC_10device_ptrIKjEEEESI_EEEEESK_NSA_INS5_IJNSC_16discard_iteratorINSC_11use_defaultEEESN_EEEEEPS7_SQ_SQ_NSC_11hip_rocprim7__merge17predicate_wrapperIjjNSC_4lessIjEEEEEE10hipError_tPvRmT0_T1_T2_T3_T4_T5_mmT6_P12ihipStream_tbEUlT_E0_NS1_11comp_targetILNS1_3genE9ELNS1_11target_archE1100ELNS1_3gpuE3ELNS1_3repE0EEENS1_30default_config_static_selectorELNS0_4arch9wavefront6targetE0EEEvS11_.num_agpr, 0
	.set _ZN7rocprim17ROCPRIM_400000_NS6detail17trampoline_kernelINS0_14default_configENS1_21merge_config_selectorINS0_5tupleIJjjEEENS0_10empty_typeEEEZNS1_10merge_implIS3_NS0_12zip_iteratorINS5_IJN6thrust23THRUST_200600_302600_NS6detail15normal_iteratorINSC_10device_ptrIKjEEEESI_EEEEESK_NSA_INS5_IJNSC_16discard_iteratorINSC_11use_defaultEEESN_EEEEEPS7_SQ_SQ_NSC_11hip_rocprim7__merge17predicate_wrapperIjjNSC_4lessIjEEEEEE10hipError_tPvRmT0_T1_T2_T3_T4_T5_mmT6_P12ihipStream_tbEUlT_E0_NS1_11comp_targetILNS1_3genE9ELNS1_11target_archE1100ELNS1_3gpuE3ELNS1_3repE0EEENS1_30default_config_static_selectorELNS0_4arch9wavefront6targetE0EEEvS11_.numbered_sgpr, 0
	.set _ZN7rocprim17ROCPRIM_400000_NS6detail17trampoline_kernelINS0_14default_configENS1_21merge_config_selectorINS0_5tupleIJjjEEENS0_10empty_typeEEEZNS1_10merge_implIS3_NS0_12zip_iteratorINS5_IJN6thrust23THRUST_200600_302600_NS6detail15normal_iteratorINSC_10device_ptrIKjEEEESI_EEEEESK_NSA_INS5_IJNSC_16discard_iteratorINSC_11use_defaultEEESN_EEEEEPS7_SQ_SQ_NSC_11hip_rocprim7__merge17predicate_wrapperIjjNSC_4lessIjEEEEEE10hipError_tPvRmT0_T1_T2_T3_T4_T5_mmT6_P12ihipStream_tbEUlT_E0_NS1_11comp_targetILNS1_3genE9ELNS1_11target_archE1100ELNS1_3gpuE3ELNS1_3repE0EEENS1_30default_config_static_selectorELNS0_4arch9wavefront6targetE0EEEvS11_.num_named_barrier, 0
	.set _ZN7rocprim17ROCPRIM_400000_NS6detail17trampoline_kernelINS0_14default_configENS1_21merge_config_selectorINS0_5tupleIJjjEEENS0_10empty_typeEEEZNS1_10merge_implIS3_NS0_12zip_iteratorINS5_IJN6thrust23THRUST_200600_302600_NS6detail15normal_iteratorINSC_10device_ptrIKjEEEESI_EEEEESK_NSA_INS5_IJNSC_16discard_iteratorINSC_11use_defaultEEESN_EEEEEPS7_SQ_SQ_NSC_11hip_rocprim7__merge17predicate_wrapperIjjNSC_4lessIjEEEEEE10hipError_tPvRmT0_T1_T2_T3_T4_T5_mmT6_P12ihipStream_tbEUlT_E0_NS1_11comp_targetILNS1_3genE9ELNS1_11target_archE1100ELNS1_3gpuE3ELNS1_3repE0EEENS1_30default_config_static_selectorELNS0_4arch9wavefront6targetE0EEEvS11_.private_seg_size, 0
	.set _ZN7rocprim17ROCPRIM_400000_NS6detail17trampoline_kernelINS0_14default_configENS1_21merge_config_selectorINS0_5tupleIJjjEEENS0_10empty_typeEEEZNS1_10merge_implIS3_NS0_12zip_iteratorINS5_IJN6thrust23THRUST_200600_302600_NS6detail15normal_iteratorINSC_10device_ptrIKjEEEESI_EEEEESK_NSA_INS5_IJNSC_16discard_iteratorINSC_11use_defaultEEESN_EEEEEPS7_SQ_SQ_NSC_11hip_rocprim7__merge17predicate_wrapperIjjNSC_4lessIjEEEEEE10hipError_tPvRmT0_T1_T2_T3_T4_T5_mmT6_P12ihipStream_tbEUlT_E0_NS1_11comp_targetILNS1_3genE9ELNS1_11target_archE1100ELNS1_3gpuE3ELNS1_3repE0EEENS1_30default_config_static_selectorELNS0_4arch9wavefront6targetE0EEEvS11_.uses_vcc, 0
	.set _ZN7rocprim17ROCPRIM_400000_NS6detail17trampoline_kernelINS0_14default_configENS1_21merge_config_selectorINS0_5tupleIJjjEEENS0_10empty_typeEEEZNS1_10merge_implIS3_NS0_12zip_iteratorINS5_IJN6thrust23THRUST_200600_302600_NS6detail15normal_iteratorINSC_10device_ptrIKjEEEESI_EEEEESK_NSA_INS5_IJNSC_16discard_iteratorINSC_11use_defaultEEESN_EEEEEPS7_SQ_SQ_NSC_11hip_rocprim7__merge17predicate_wrapperIjjNSC_4lessIjEEEEEE10hipError_tPvRmT0_T1_T2_T3_T4_T5_mmT6_P12ihipStream_tbEUlT_E0_NS1_11comp_targetILNS1_3genE9ELNS1_11target_archE1100ELNS1_3gpuE3ELNS1_3repE0EEENS1_30default_config_static_selectorELNS0_4arch9wavefront6targetE0EEEvS11_.uses_flat_scratch, 0
	.set _ZN7rocprim17ROCPRIM_400000_NS6detail17trampoline_kernelINS0_14default_configENS1_21merge_config_selectorINS0_5tupleIJjjEEENS0_10empty_typeEEEZNS1_10merge_implIS3_NS0_12zip_iteratorINS5_IJN6thrust23THRUST_200600_302600_NS6detail15normal_iteratorINSC_10device_ptrIKjEEEESI_EEEEESK_NSA_INS5_IJNSC_16discard_iteratorINSC_11use_defaultEEESN_EEEEEPS7_SQ_SQ_NSC_11hip_rocprim7__merge17predicate_wrapperIjjNSC_4lessIjEEEEEE10hipError_tPvRmT0_T1_T2_T3_T4_T5_mmT6_P12ihipStream_tbEUlT_E0_NS1_11comp_targetILNS1_3genE9ELNS1_11target_archE1100ELNS1_3gpuE3ELNS1_3repE0EEENS1_30default_config_static_selectorELNS0_4arch9wavefront6targetE0EEEvS11_.has_dyn_sized_stack, 0
	.set _ZN7rocprim17ROCPRIM_400000_NS6detail17trampoline_kernelINS0_14default_configENS1_21merge_config_selectorINS0_5tupleIJjjEEENS0_10empty_typeEEEZNS1_10merge_implIS3_NS0_12zip_iteratorINS5_IJN6thrust23THRUST_200600_302600_NS6detail15normal_iteratorINSC_10device_ptrIKjEEEESI_EEEEESK_NSA_INS5_IJNSC_16discard_iteratorINSC_11use_defaultEEESN_EEEEEPS7_SQ_SQ_NSC_11hip_rocprim7__merge17predicate_wrapperIjjNSC_4lessIjEEEEEE10hipError_tPvRmT0_T1_T2_T3_T4_T5_mmT6_P12ihipStream_tbEUlT_E0_NS1_11comp_targetILNS1_3genE9ELNS1_11target_archE1100ELNS1_3gpuE3ELNS1_3repE0EEENS1_30default_config_static_selectorELNS0_4arch9wavefront6targetE0EEEvS11_.has_recursion, 0
	.set _ZN7rocprim17ROCPRIM_400000_NS6detail17trampoline_kernelINS0_14default_configENS1_21merge_config_selectorINS0_5tupleIJjjEEENS0_10empty_typeEEEZNS1_10merge_implIS3_NS0_12zip_iteratorINS5_IJN6thrust23THRUST_200600_302600_NS6detail15normal_iteratorINSC_10device_ptrIKjEEEESI_EEEEESK_NSA_INS5_IJNSC_16discard_iteratorINSC_11use_defaultEEESN_EEEEEPS7_SQ_SQ_NSC_11hip_rocprim7__merge17predicate_wrapperIjjNSC_4lessIjEEEEEE10hipError_tPvRmT0_T1_T2_T3_T4_T5_mmT6_P12ihipStream_tbEUlT_E0_NS1_11comp_targetILNS1_3genE9ELNS1_11target_archE1100ELNS1_3gpuE3ELNS1_3repE0EEENS1_30default_config_static_selectorELNS0_4arch9wavefront6targetE0EEEvS11_.has_indirect_call, 0
	.section	.AMDGPU.csdata,"",@progbits
; Kernel info:
; codeLenInByte = 0
; TotalNumSgprs: 0
; NumVgprs: 0
; ScratchSize: 0
; MemoryBound: 0
; FloatMode: 240
; IeeeMode: 1
; LDSByteSize: 0 bytes/workgroup (compile time only)
; SGPRBlocks: 0
; VGPRBlocks: 0
; NumSGPRsForWavesPerEU: 1
; NumVGPRsForWavesPerEU: 1
; Occupancy: 16
; WaveLimiterHint : 0
; COMPUTE_PGM_RSRC2:SCRATCH_EN: 0
; COMPUTE_PGM_RSRC2:USER_SGPR: 6
; COMPUTE_PGM_RSRC2:TRAP_HANDLER: 0
; COMPUTE_PGM_RSRC2:TGID_X_EN: 1
; COMPUTE_PGM_RSRC2:TGID_Y_EN: 0
; COMPUTE_PGM_RSRC2:TGID_Z_EN: 0
; COMPUTE_PGM_RSRC2:TIDIG_COMP_CNT: 0
	.section	.text._ZN7rocprim17ROCPRIM_400000_NS6detail17trampoline_kernelINS0_14default_configENS1_21merge_config_selectorINS0_5tupleIJjjEEENS0_10empty_typeEEEZNS1_10merge_implIS3_NS0_12zip_iteratorINS5_IJN6thrust23THRUST_200600_302600_NS6detail15normal_iteratorINSC_10device_ptrIKjEEEESI_EEEEESK_NSA_INS5_IJNSC_16discard_iteratorINSC_11use_defaultEEESN_EEEEEPS7_SQ_SQ_NSC_11hip_rocprim7__merge17predicate_wrapperIjjNSC_4lessIjEEEEEE10hipError_tPvRmT0_T1_T2_T3_T4_T5_mmT6_P12ihipStream_tbEUlT_E0_NS1_11comp_targetILNS1_3genE8ELNS1_11target_archE1030ELNS1_3gpuE2ELNS1_3repE0EEENS1_30default_config_static_selectorELNS0_4arch9wavefront6targetE0EEEvS11_,"axG",@progbits,_ZN7rocprim17ROCPRIM_400000_NS6detail17trampoline_kernelINS0_14default_configENS1_21merge_config_selectorINS0_5tupleIJjjEEENS0_10empty_typeEEEZNS1_10merge_implIS3_NS0_12zip_iteratorINS5_IJN6thrust23THRUST_200600_302600_NS6detail15normal_iteratorINSC_10device_ptrIKjEEEESI_EEEEESK_NSA_INS5_IJNSC_16discard_iteratorINSC_11use_defaultEEESN_EEEEEPS7_SQ_SQ_NSC_11hip_rocprim7__merge17predicate_wrapperIjjNSC_4lessIjEEEEEE10hipError_tPvRmT0_T1_T2_T3_T4_T5_mmT6_P12ihipStream_tbEUlT_E0_NS1_11comp_targetILNS1_3genE8ELNS1_11target_archE1030ELNS1_3gpuE2ELNS1_3repE0EEENS1_30default_config_static_selectorELNS0_4arch9wavefront6targetE0EEEvS11_,comdat
	.protected	_ZN7rocprim17ROCPRIM_400000_NS6detail17trampoline_kernelINS0_14default_configENS1_21merge_config_selectorINS0_5tupleIJjjEEENS0_10empty_typeEEEZNS1_10merge_implIS3_NS0_12zip_iteratorINS5_IJN6thrust23THRUST_200600_302600_NS6detail15normal_iteratorINSC_10device_ptrIKjEEEESI_EEEEESK_NSA_INS5_IJNSC_16discard_iteratorINSC_11use_defaultEEESN_EEEEEPS7_SQ_SQ_NSC_11hip_rocprim7__merge17predicate_wrapperIjjNSC_4lessIjEEEEEE10hipError_tPvRmT0_T1_T2_T3_T4_T5_mmT6_P12ihipStream_tbEUlT_E0_NS1_11comp_targetILNS1_3genE8ELNS1_11target_archE1030ELNS1_3gpuE2ELNS1_3repE0EEENS1_30default_config_static_selectorELNS0_4arch9wavefront6targetE0EEEvS11_ ; -- Begin function _ZN7rocprim17ROCPRIM_400000_NS6detail17trampoline_kernelINS0_14default_configENS1_21merge_config_selectorINS0_5tupleIJjjEEENS0_10empty_typeEEEZNS1_10merge_implIS3_NS0_12zip_iteratorINS5_IJN6thrust23THRUST_200600_302600_NS6detail15normal_iteratorINSC_10device_ptrIKjEEEESI_EEEEESK_NSA_INS5_IJNSC_16discard_iteratorINSC_11use_defaultEEESN_EEEEEPS7_SQ_SQ_NSC_11hip_rocprim7__merge17predicate_wrapperIjjNSC_4lessIjEEEEEE10hipError_tPvRmT0_T1_T2_T3_T4_T5_mmT6_P12ihipStream_tbEUlT_E0_NS1_11comp_targetILNS1_3genE8ELNS1_11target_archE1030ELNS1_3gpuE2ELNS1_3repE0EEENS1_30default_config_static_selectorELNS0_4arch9wavefront6targetE0EEEvS11_
	.globl	_ZN7rocprim17ROCPRIM_400000_NS6detail17trampoline_kernelINS0_14default_configENS1_21merge_config_selectorINS0_5tupleIJjjEEENS0_10empty_typeEEEZNS1_10merge_implIS3_NS0_12zip_iteratorINS5_IJN6thrust23THRUST_200600_302600_NS6detail15normal_iteratorINSC_10device_ptrIKjEEEESI_EEEEESK_NSA_INS5_IJNSC_16discard_iteratorINSC_11use_defaultEEESN_EEEEEPS7_SQ_SQ_NSC_11hip_rocprim7__merge17predicate_wrapperIjjNSC_4lessIjEEEEEE10hipError_tPvRmT0_T1_T2_T3_T4_T5_mmT6_P12ihipStream_tbEUlT_E0_NS1_11comp_targetILNS1_3genE8ELNS1_11target_archE1030ELNS1_3gpuE2ELNS1_3repE0EEENS1_30default_config_static_selectorELNS0_4arch9wavefront6targetE0EEEvS11_
	.p2align	8
	.type	_ZN7rocprim17ROCPRIM_400000_NS6detail17trampoline_kernelINS0_14default_configENS1_21merge_config_selectorINS0_5tupleIJjjEEENS0_10empty_typeEEEZNS1_10merge_implIS3_NS0_12zip_iteratorINS5_IJN6thrust23THRUST_200600_302600_NS6detail15normal_iteratorINSC_10device_ptrIKjEEEESI_EEEEESK_NSA_INS5_IJNSC_16discard_iteratorINSC_11use_defaultEEESN_EEEEEPS7_SQ_SQ_NSC_11hip_rocprim7__merge17predicate_wrapperIjjNSC_4lessIjEEEEEE10hipError_tPvRmT0_T1_T2_T3_T4_T5_mmT6_P12ihipStream_tbEUlT_E0_NS1_11comp_targetILNS1_3genE8ELNS1_11target_archE1030ELNS1_3gpuE2ELNS1_3repE0EEENS1_30default_config_static_selectorELNS0_4arch9wavefront6targetE0EEEvS11_,@function
_ZN7rocprim17ROCPRIM_400000_NS6detail17trampoline_kernelINS0_14default_configENS1_21merge_config_selectorINS0_5tupleIJjjEEENS0_10empty_typeEEEZNS1_10merge_implIS3_NS0_12zip_iteratorINS5_IJN6thrust23THRUST_200600_302600_NS6detail15normal_iteratorINSC_10device_ptrIKjEEEESI_EEEEESK_NSA_INS5_IJNSC_16discard_iteratorINSC_11use_defaultEEESN_EEEEEPS7_SQ_SQ_NSC_11hip_rocprim7__merge17predicate_wrapperIjjNSC_4lessIjEEEEEE10hipError_tPvRmT0_T1_T2_T3_T4_T5_mmT6_P12ihipStream_tbEUlT_E0_NS1_11comp_targetILNS1_3genE8ELNS1_11target_archE1030ELNS1_3gpuE2ELNS1_3repE0EEENS1_30default_config_static_selectorELNS0_4arch9wavefront6targetE0EEEvS11_: ; @_ZN7rocprim17ROCPRIM_400000_NS6detail17trampoline_kernelINS0_14default_configENS1_21merge_config_selectorINS0_5tupleIJjjEEENS0_10empty_typeEEEZNS1_10merge_implIS3_NS0_12zip_iteratorINS5_IJN6thrust23THRUST_200600_302600_NS6detail15normal_iteratorINSC_10device_ptrIKjEEEESI_EEEEESK_NSA_INS5_IJNSC_16discard_iteratorINSC_11use_defaultEEESN_EEEEEPS7_SQ_SQ_NSC_11hip_rocprim7__merge17predicate_wrapperIjjNSC_4lessIjEEEEEE10hipError_tPvRmT0_T1_T2_T3_T4_T5_mmT6_P12ihipStream_tbEUlT_E0_NS1_11comp_targetILNS1_3genE8ELNS1_11target_archE1030ELNS1_3gpuE2ELNS1_3repE0EEENS1_30default_config_static_selectorELNS0_4arch9wavefront6targetE0EEEvS11_
; %bb.0:
	s_clause 0x2
	s_load_dwordx4 s[0:3], s[4:5], 0x68
	s_load_dwordx8 s[8:15], s[4:5], 0x8
	s_load_dwordx2 s[20:21], s[4:5], 0x28
	s_lshl_b32 s17, s6, 12
	s_mov_b32 s19, 0
	v_mov_b32_e32 v1, 0
	s_waitcnt lgkmcnt(0)
	s_add_i32 s16, s2, s0
	s_add_i32 s0, s16, 0xfff
	s_lshr_b32 s0, s0, 12
	s_min_u32 s1, s6, s0
	s_lshl_b32 s1, s1, 2
	s_load_dword s18, s[8:9], s1 offset:0x0
	s_add_i32 s1, s6, 1
	s_min_u32 s0, s1, s0
	s_lshl_b32 s0, s0, 2
	s_load_dword s22, s[8:9], s0 offset:0x0
	s_add_i32 s0, s17, 0x1000
	s_mov_b32 s9, s19
	s_min_u32 s23, s16, s0
	s_waitcnt lgkmcnt(0)
	s_lshl_b64 s[2:3], s[18:19], 2
	s_sub_i32 s8, s17, s18
	s_add_u32 s0, s10, s2
	s_addc_u32 s1, s11, s3
	s_add_u32 s2, s12, s2
	s_addc_u32 s3, s13, s3
	s_lshl_b64 s[6:7], s[8:9], 2
	s_mov_b32 s11, exec_lo
	s_add_u32 s4, s14, s6
	s_addc_u32 s5, s15, s7
	s_add_u32 s6, s20, s6
	s_addc_u32 s7, s21, s7
	s_add_i32 s8, s8, s22
	s_sub_i32 s15, s22, s18
	s_sub_i32 s10, s23, s8
	s_add_u32 s8, s10, s15
	s_addc_u32 s9, 0, 0
	v_cmpx_le_u32_e64 s15, v0
	s_xor_b32 s11, exec_lo, s11
	s_cbranch_execz .LBB550_4
; %bb.1:
	s_mov_b32 s12, exec_lo
	v_cmpx_gt_u64_e64 s[8:9], v[0:1]
	s_cbranch_execz .LBB550_3
; %bb.2:
	v_subrev_nc_u32_e32 v1, s15, v0
	v_lshlrev_b32_e32 v3, 3, v0
	v_lshlrev_b32_e32 v2, 2, v1
	s_clause 0x1
	global_load_dword v1, v2, s[4:5]
	global_load_dword v2, v2, s[6:7]
	s_waitcnt vmcnt(0)
	ds_write_b64 v3, v[1:2]
.LBB550_3:
	s_or_b32 exec_lo, exec_lo, s12
.LBB550_4:
	s_or_saveexec_b32 s11, s11
	v_lshlrev_b32_e32 v32, 2, v0
	v_lshlrev_b32_e32 v3, 3, v0
	s_xor_b32 exec_lo, exec_lo, s11
	s_cbranch_execz .LBB550_6
; %bb.5:
	s_clause 0x1
	global_load_dword v1, v32, s[0:1]
	global_load_dword v2, v32, s[2:3]
	s_waitcnt vmcnt(0)
	ds_write_b64 v3, v[1:2]
.LBB550_6:
	s_or_b32 exec_lo, exec_lo, s11
	v_or_b32_e32 v1, 0x100, v0
	s_mov_b32 s11, exec_lo
	v_cmpx_le_u32_e64 s15, v1
	s_xor_b32 s11, exec_lo, s11
	s_cbranch_execz .LBB550_10
; %bb.7:
	v_mov_b32_e32 v2, 0
	s_mov_b32 s12, exec_lo
	v_cmpx_gt_u64_e64 s[8:9], v[1:2]
	s_cbranch_execz .LBB550_9
; %bb.8:
	v_sub_co_u32 v1, s13, v0, s15
	v_sub_co_ci_u32_e64 v2, null, 0, 0, s13
	v_lshlrev_b64 v[1:2], 2, v[1:2]
	v_add_co_u32 v4, vcc_lo, s4, v1
	v_add_co_ci_u32_e64 v5, null, s5, v2, vcc_lo
	v_add_co_u32 v1, vcc_lo, s6, v1
	v_add_co_ci_u32_e64 v2, null, s7, v2, vcc_lo
	global_load_dword v4, v[4:5], off offset:1024
	global_load_dword v5, v[1:2], off offset:1024
	s_waitcnt vmcnt(0)
	ds_write_b64 v3, v[4:5] offset:2048
.LBB550_9:
	s_or_b32 exec_lo, exec_lo, s12
.LBB550_10:
	s_andn2_saveexec_b32 s11, s11
	s_cbranch_execz .LBB550_12
; %bb.11:
	s_clause 0x1
	global_load_dword v1, v32, s[0:1] offset:1024
	global_load_dword v2, v32, s[2:3] offset:1024
	s_waitcnt vmcnt(0)
	ds_write_b64 v3, v[1:2] offset:2048
.LBB550_12:
	s_or_b32 exec_lo, exec_lo, s11
	v_or_b32_e32 v1, 0x200, v0
	v_mov_b32_e32 v2, 0
	s_mov_b32 s11, exec_lo
	v_cmpx_le_u32_e64 s15, v1
	s_xor_b32 s11, exec_lo, s11
	s_cbranch_execz .LBB550_16
; %bb.13:
	s_mov_b32 s12, exec_lo
	v_cmpx_gt_u64_e64 s[8:9], v[1:2]
	s_cbranch_execz .LBB550_15
; %bb.14:
	v_subrev_nc_u32_e32 v1, s15, v1
	v_lshlrev_b32_e32 v2, 2, v1
	s_clause 0x1
	global_load_dword v1, v2, s[4:5]
	global_load_dword v2, v2, s[6:7]
	s_waitcnt vmcnt(0)
	ds_write_b64 v3, v[1:2] offset:4096
.LBB550_15:
	s_or_b32 exec_lo, exec_lo, s12
                                        ; implicit-def: $vgpr1_vgpr2
.LBB550_16:
	s_andn2_saveexec_b32 s11, s11
	s_cbranch_execz .LBB550_18
; %bb.17:
	v_lshlrev_b32_e32 v2, 2, v1
	s_clause 0x1
	global_load_dword v1, v2, s[0:1]
	global_load_dword v2, v2, s[2:3]
	s_waitcnt vmcnt(0)
	ds_write_b64 v3, v[1:2] offset:4096
.LBB550_18:
	s_or_b32 exec_lo, exec_lo, s11
	v_or_b32_e32 v1, 0x300, v0
	v_mov_b32_e32 v2, 0
	s_mov_b32 s11, exec_lo
	v_cmpx_le_u32_e64 s15, v1
	s_xor_b32 s11, exec_lo, s11
	s_cbranch_execz .LBB550_22
; %bb.19:
	s_mov_b32 s12, exec_lo
	v_cmpx_gt_u64_e64 s[8:9], v[1:2]
	s_cbranch_execz .LBB550_21
; %bb.20:
	v_subrev_nc_u32_e32 v1, s15, v1
	v_lshlrev_b32_e32 v2, 2, v1
	s_clause 0x1
	global_load_dword v1, v2, s[4:5]
	global_load_dword v2, v2, s[6:7]
	s_waitcnt vmcnt(0)
	ds_write_b64 v3, v[1:2] offset:6144
.LBB550_21:
	s_or_b32 exec_lo, exec_lo, s12
                                        ; implicit-def: $vgpr1_vgpr2
.LBB550_22:
	s_andn2_saveexec_b32 s11, s11
	s_cbranch_execz .LBB550_24
; %bb.23:
	v_lshlrev_b32_e32 v2, 2, v1
	s_clause 0x1
	global_load_dword v1, v2, s[0:1]
	global_load_dword v2, v2, s[2:3]
	s_waitcnt vmcnt(0)
	ds_write_b64 v3, v[1:2] offset:6144
.LBB550_24:
	;; [unrolled: 33-line block ×13, first 2 shown]
	s_or_b32 exec_lo, exec_lo, s11
	v_or_b32_e32 v1, 0xf00, v0
	v_mov_b32_e32 v2, 0
	s_mov_b32 s11, exec_lo
	v_cmpx_le_u32_e64 s15, v1
	s_xor_b32 s11, exec_lo, s11
	s_cbranch_execz .LBB550_94
; %bb.91:
	v_cmp_gt_u64_e32 vcc_lo, s[8:9], v[1:2]
	s_and_saveexec_b32 s8, vcc_lo
	s_cbranch_execz .LBB550_93
; %bb.92:
	v_subrev_nc_u32_e32 v1, s15, v1
	v_lshlrev_b32_e32 v2, 2, v1
	s_clause 0x1
	global_load_dword v1, v2, s[4:5]
	global_load_dword v2, v2, s[6:7]
	s_waitcnt vmcnt(0)
	ds_write_b64 v3, v[1:2] offset:30720
.LBB550_93:
	s_or_b32 exec_lo, exec_lo, s8
                                        ; implicit-def: $vgpr1_vgpr2
                                        ; implicit-def: $vgpr3
.LBB550_94:
	s_andn2_saveexec_b32 s4, s11
	s_cbranch_execz .LBB550_96
; %bb.95:
	v_lshlrev_b32_e32 v2, 2, v1
	s_clause 0x1
	global_load_dword v1, v2, s[0:1]
	global_load_dword v2, v2, s[2:3]
	s_waitcnt vmcnt(0)
	ds_write_b64 v3, v[1:2] offset:30720
.LBB550_96:
	s_or_b32 exec_lo, exec_lo, s4
	v_lshlrev_b32_e32 v33, 4, v0
	s_mov_b32 s0, exec_lo
	s_waitcnt lgkmcnt(0)
	s_barrier
	buffer_gl0_inv
	v_sub_nc_u32_e64 v34, v33, s10 clamp
	v_min_u32_e32 v0, s15, v33
	v_cmpx_lt_u32_e64 v34, v0
	s_cbranch_execz .LBB550_100
; %bb.97:
	v_lshlrev_b32_e32 v1, 3, v33
	s_mov_b32 s1, 0
	v_lshl_add_u32 v1, s15, 3, v1
	.p2align	6
.LBB550_98:                             ; =>This Inner Loop Header: Depth=1
	v_add_nc_u32_e32 v2, v0, v34
	v_lshrrev_b32_e32 v2, 1, v2
	v_not_b32_e32 v3, v2
	v_lshlrev_b32_e32 v4, 3, v2
	v_add_nc_u32_e32 v5, 1, v2
	v_lshl_add_u32 v3, v3, 3, v1
	ds_read_b32 v4, v4
	ds_read_b32 v3, v3
	s_waitcnt lgkmcnt(0)
	v_cmp_lt_u32_e32 vcc_lo, v3, v4
	v_cndmask_b32_e32 v0, v0, v2, vcc_lo
	v_cndmask_b32_e32 v34, v5, v34, vcc_lo
	v_cmp_ge_u32_e32 vcc_lo, v34, v0
	s_or_b32 s1, vcc_lo, s1
	s_andn2_b32 exec_lo, exec_lo, s1
	s_cbranch_execnz .LBB550_98
; %bb.99:
	s_or_b32 exec_lo, exec_lo, s1
.LBB550_100:
	s_or_b32 exec_lo, exec_lo, s0
	v_add_nc_u32_e32 v2, s15, v33
	s_add_i32 s19, s10, s15
	v_cmp_ge_u32_e32 vcc_lo, s15, v34
	v_mov_b32_e32 v0, 0
	v_mov_b32_e32 v4, 0
	v_sub_nc_u32_e32 v35, v2, v34
	v_mov_b32_e32 v2, 0
	v_mov_b32_e32 v6, 0
	;; [unrolled: 1-line block ×4, first 2 shown]
	v_cmp_ge_u32_e64 s0, s19, v35
	v_mov_b32_e32 v12, 0
	v_mov_b32_e32 v14, 0
	;; [unrolled: 1-line block ×26, first 2 shown]
	s_or_b32 s0, vcc_lo, s0
	s_and_saveexec_b32 s18, s0
	s_cbranch_execz .LBB550_106
; %bb.101:
	v_cmp_gt_u32_e32 vcc_lo, s15, v34
	v_mov_b32_e32 v0, 0
	v_mov_b32_e32 v2, 0
	;; [unrolled: 1-line block ×3, first 2 shown]
	s_and_saveexec_b32 s0, vcc_lo
; %bb.102:
	v_lshlrev_b32_e32 v1, 3, v34
	ds_read_b64 v[2:3], v1
; %bb.103:
	s_or_b32 exec_lo, exec_lo, s0
	v_cmp_le_u32_e64 s0, s19, v35
	v_mov_b32_e32 v1, 0
	s_mov_b32 s2, exec_lo
	v_cmpx_gt_u32_e64 s19, v35
; %bb.104:
	v_lshlrev_b32_e32 v0, 3, v35
	ds_read_b64 v[0:1], v0
; %bb.105:
	s_or_b32 exec_lo, exec_lo, s2
	s_waitcnt lgkmcnt(0)
	v_cmp_ge_u32_e64 s1, v0, v2
	v_mov_b32_e32 v36, s15
	s_and_b32 s1, vcc_lo, s1
	s_or_b32 vcc_lo, s0, s1
	v_cndmask_b32_e32 v4, v35, v34, vcc_lo
	v_cndmask_b32_e32 v5, s19, v36, vcc_lo
	v_add_nc_u32_e32 v6, 1, v4
	v_add_nc_u32_e32 v4, -1, v5
	v_cndmask_b32_e32 v8, v34, v6, vcc_lo
	v_min_u32_e32 v4, v6, v4
	v_cndmask_b32_e32 v9, v6, v35, vcc_lo
	v_cmp_gt_u32_e64 s0, s15, v8
	v_lshlrev_b32_e32 v4, 3, v4
	v_cmp_le_u32_e64 s2, s19, v9
	ds_read_b64 v[4:5], v4
	s_waitcnt lgkmcnt(0)
	v_cndmask_b32_e32 v34, v4, v0, vcc_lo
	v_cndmask_b32_e32 v4, v2, v4, vcc_lo
	;; [unrolled: 1-line block ×6, first 2 shown]
	v_cmp_ge_u32_e64 s1, v34, v4
	s_and_b32 s0, s0, s1
	s_or_b32 s0, s2, s0
	v_cndmask_b32_e64 v6, v9, v8, s0
	v_cndmask_b32_e64 v7, s19, v36, s0
	v_add_nc_u32_e32 v10, 1, v6
	v_add_nc_u32_e32 v6, -1, v7
	v_cndmask_b32_e64 v11, v8, v10, s0
	v_min_u32_e32 v6, v10, v6
	v_cndmask_b32_e64 v10, v10, v9, s0
	v_cmp_gt_u32_e64 s1, s15, v11
	v_lshlrev_b32_e32 v6, 3, v6
	v_cmp_le_u32_e64 s3, s19, v10
	ds_read_b64 v[6:7], v6
	s_waitcnt lgkmcnt(0)
	v_cndmask_b32_e64 v35, v6, v34, s0
	v_cndmask_b32_e64 v6, v4, v6, s0
	;; [unrolled: 1-line block ×6, first 2 shown]
	v_cmp_ge_u32_e64 s2, v35, v6
	s_and_b32 s1, s1, s2
	s_or_b32 s1, s3, s1
	v_cndmask_b32_e64 v8, v10, v11, s1
	v_cndmask_b32_e64 v9, s19, v36, s1
	;; [unrolled: 1-line block ×4, first 2 shown]
	v_add_nc_u32_e32 v12, 1, v8
	v_add_nc_u32_e32 v8, -1, v9
	v_cndmask_b32_e64 v13, v11, v12, s1
	v_min_u32_e32 v8, v12, v8
	v_cndmask_b32_e64 v12, v12, v10, s1
	v_cmp_gt_u32_e64 s2, s15, v13
	v_lshlrev_b32_e32 v8, 3, v8
	v_cmp_le_u32_e64 s4, s19, v12
	ds_read_b64 v[8:9], v8
	s_waitcnt lgkmcnt(0)
	v_cndmask_b32_e64 v37, v8, v35, s1
	v_cndmask_b32_e64 v8, v6, v8, s1
	;; [unrolled: 1-line block ×4, first 2 shown]
	v_cmp_ge_u32_e64 s3, v37, v8
	s_and_b32 s2, s2, s3
	s_or_b32 s2, s4, s2
	v_cndmask_b32_e64 v10, v12, v13, s2
	v_cndmask_b32_e64 v11, s19, v36, s2
	;; [unrolled: 1-line block ×4, first 2 shown]
	v_add_nc_u32_e32 v14, 1, v10
	v_add_nc_u32_e32 v10, -1, v11
	v_cndmask_b32_e64 v15, v13, v14, s2
	v_min_u32_e32 v10, v14, v10
	v_cndmask_b32_e64 v14, v14, v12, s2
	v_cmp_gt_u32_e64 s3, s15, v15
	v_lshlrev_b32_e32 v10, 3, v10
	v_cmp_le_u32_e64 s5, s19, v14
	ds_read_b64 v[10:11], v10
	s_waitcnt lgkmcnt(0)
	v_cndmask_b32_e64 v38, v10, v37, s2
	v_cndmask_b32_e64 v10, v8, v10, s2
	;; [unrolled: 1-line block ×4, first 2 shown]
	v_cmp_ge_u32_e64 s4, v38, v10
	s_and_b32 s3, s3, s4
	s_or_b32 s3, s5, s3
	v_cndmask_b32_e64 v12, v14, v15, s3
	v_cndmask_b32_e64 v13, s19, v36, s3
	v_add_nc_u32_e32 v16, 1, v12
	v_add_nc_u32_e32 v12, -1, v13
	v_cndmask_b32_e64 v17, v15, v16, s3
	v_min_u32_e32 v12, v16, v12
	v_cndmask_b32_e64 v16, v16, v14, s3
	v_cmp_gt_u32_e64 s4, s15, v17
	v_lshlrev_b32_e32 v12, 3, v12
	v_cmp_le_u32_e64 s6, s19, v16
	ds_read_b64 v[12:13], v12
	s_waitcnt lgkmcnt(0)
	v_cndmask_b32_e64 v39, v12, v38, s3
	v_cndmask_b32_e64 v12, v10, v12, s3
	;; [unrolled: 1-line block ×6, first 2 shown]
	v_cmp_ge_u32_e64 s5, v39, v12
	s_and_b32 s4, s4, s5
	s_or_b32 s4, s6, s4
	v_cndmask_b32_e64 v14, v16, v17, s4
	v_cndmask_b32_e64 v15, s19, v36, s4
	;; [unrolled: 1-line block ×3, first 2 shown]
	v_add_nc_u32_e32 v18, 1, v14
	v_add_nc_u32_e32 v14, -1, v15
	v_cndmask_b32_e64 v19, v17, v18, s4
	v_min_u32_e32 v14, v18, v14
	v_cndmask_b32_e64 v18, v18, v16, s4
	v_cmp_gt_u32_e64 s5, s15, v19
	v_lshlrev_b32_e32 v14, 3, v14
	v_cmp_le_u32_e64 s7, s19, v18
	ds_read_b64 v[14:15], v14
	s_waitcnt lgkmcnt(0)
	v_cndmask_b32_e64 v40, v14, v39, s4
	v_cndmask_b32_e64 v14, v12, v14, s4
	;; [unrolled: 1-line block ×5, first 2 shown]
	v_cmp_ge_u32_e64 s6, v40, v14
	s_and_b32 s5, s5, s6
	s_or_b32 s5, s7, s5
	v_cndmask_b32_e64 v16, v18, v19, s5
	v_cndmask_b32_e64 v17, s19, v36, s5
	;; [unrolled: 1-line block ×4, first 2 shown]
	v_add_nc_u32_e32 v20, 1, v16
	v_add_nc_u32_e32 v16, -1, v17
	v_cndmask_b32_e64 v21, v19, v20, s5
	v_min_u32_e32 v16, v20, v16
	v_cndmask_b32_e64 v20, v20, v18, s5
	v_cmp_gt_u32_e64 s6, s15, v21
	v_lshlrev_b32_e32 v16, 3, v16
	v_cmp_le_u32_e64 s8, s19, v20
	ds_read_b64 v[16:17], v16
	s_waitcnt lgkmcnt(0)
	v_cndmask_b32_e64 v41, v16, v40, s5
	v_cndmask_b32_e64 v16, v14, v16, s5
	v_cmp_ge_u32_e64 s7, v41, v16
	s_and_b32 s6, s6, s7
	s_or_b32 s6, s8, s6
	v_cndmask_b32_e64 v18, v20, v21, s6
	v_cndmask_b32_e64 v19, s19, v36, s6
	;; [unrolled: 1-line block ×3, first 2 shown]
	v_add_nc_u32_e32 v22, 1, v18
	v_add_nc_u32_e32 v18, -1, v19
	v_cndmask_b32_e64 v23, v21, v22, s6
	v_min_u32_e32 v18, v22, v18
	v_cndmask_b32_e64 v22, v22, v20, s6
	v_cmp_gt_u32_e64 s7, s15, v23
	v_lshlrev_b32_e32 v18, 3, v18
	v_cmp_le_u32_e64 s9, s19, v22
	ds_read_b64 v[18:19], v18
	s_waitcnt lgkmcnt(0)
	v_cndmask_b32_e64 v42, v18, v41, s6
	v_cndmask_b32_e64 v18, v16, v18, s6
	v_cmp_ge_u32_e64 s8, v42, v18
	s_and_b32 s7, s7, s8
	s_or_b32 s7, s9, s7
	v_cndmask_b32_e64 v20, v22, v23, s7
	v_cndmask_b32_e64 v21, s19, v36, s7
	v_cndmask_b32_e64 v16, v42, v18, s7
	v_add_nc_u32_e32 v24, 1, v20
	v_add_nc_u32_e32 v20, -1, v21
	v_cndmask_b32_e64 v25, v23, v24, s7
	v_min_u32_e32 v20, v24, v20
	v_cndmask_b32_e64 v24, v24, v22, s7
	v_cmp_gt_u32_e64 s8, s15, v25
	v_lshlrev_b32_e32 v20, 3, v20
	v_cmp_le_u32_e64 s10, s19, v24
	ds_read_b64 v[20:21], v20
	s_waitcnt lgkmcnt(0)
	v_cndmask_b32_e64 v43, v20, v42, s7
	v_cndmask_b32_e64 v20, v18, v20, s7
	v_cmp_ge_u32_e64 s9, v43, v20
	s_and_b32 s8, s8, s9
	s_or_b32 s8, s10, s8
	v_cndmask_b32_e64 v22, v24, v25, s8
	v_cndmask_b32_e64 v23, s19, v36, s8
	v_add_nc_u32_e32 v26, 1, v22
	v_add_nc_u32_e32 v22, -1, v23
	v_cndmask_b32_e64 v27, v25, v26, s8
	v_min_u32_e32 v22, v26, v22
	v_cndmask_b32_e64 v26, v26, v24, s8
	v_cmp_gt_u32_e64 s9, s15, v27
	v_lshlrev_b32_e32 v22, 3, v22
	v_cmp_le_u32_e64 s11, s19, v26
	ds_read_b64 v[22:23], v22
	s_waitcnt lgkmcnt(0)
	v_cndmask_b32_e64 v44, v22, v43, s8
	v_cndmask_b32_e64 v22, v20, v22, s8
	;; [unrolled: 1-line block ×3, first 2 shown]
	v_cmp_ge_u32_e64 s10, v44, v22
	s_and_b32 s9, s9, s10
	s_or_b32 s9, s11, s9
	v_cndmask_b32_e64 v24, v26, v27, s9
	v_cndmask_b32_e64 v25, s19, v36, s9
	;; [unrolled: 1-line block ×3, first 2 shown]
	v_add_nc_u32_e32 v28, 1, v24
	v_add_nc_u32_e32 v24, -1, v25
	v_cndmask_b32_e64 v29, v27, v28, s9
	v_min_u32_e32 v24, v28, v24
	v_cndmask_b32_e64 v28, v28, v26, s9
	v_cmp_gt_u32_e64 s10, s15, v29
	v_lshlrev_b32_e32 v24, 3, v24
	v_cmp_le_u32_e64 s12, s19, v28
	ds_read_b64 v[24:25], v24
	s_waitcnt lgkmcnt(0)
	v_cndmask_b32_e64 v45, v24, v44, s9
	v_cndmask_b32_e64 v24, v22, v24, s9
	v_cmp_ge_u32_e64 s11, v45, v24
	s_and_b32 s10, s10, s11
	s_or_b32 s10, s12, s10
	v_cndmask_b32_e64 v26, v28, v29, s10
	v_cndmask_b32_e64 v27, s19, v36, s10
	v_add_nc_u32_e32 v30, 1, v26
	v_add_nc_u32_e32 v26, -1, v27
	v_cndmask_b32_e64 v31, v29, v30, s10
	v_min_u32_e32 v26, v30, v26
	v_cndmask_b32_e64 v30, v30, v28, s10
	v_cmp_gt_u32_e64 s11, s15, v31
	v_lshlrev_b32_e32 v26, 3, v26
	v_cmp_le_u32_e64 s13, s19, v30
	ds_read_b64 v[26:27], v26
	s_waitcnt lgkmcnt(0)
	v_cndmask_b32_e64 v46, v26, v45, s10
	v_cndmask_b32_e64 v26, v24, v26, s10
	;; [unrolled: 1-line block ×3, first 2 shown]
	v_cmp_ge_u32_e64 s12, v46, v26
	s_and_b32 s11, s11, s12
	s_or_b32 s11, s13, s11
	v_cndmask_b32_e64 v28, v30, v31, s11
	v_cndmask_b32_e64 v29, s19, v36, s11
	;; [unrolled: 1-line block ×3, first 2 shown]
	v_add_nc_u32_e32 v47, 1, v28
	v_add_nc_u32_e32 v28, -1, v29
	v_cndmask_b32_e64 v48, v31, v47, s11
	v_min_u32_e32 v28, v47, v28
	v_cndmask_b32_e64 v47, v47, v30, s11
	v_cmp_gt_u32_e64 s12, s15, v48
	v_lshlrev_b32_e32 v28, 3, v28
	v_cmp_le_u32_e64 s14, s19, v47
	ds_read_b64 v[28:29], v28
	s_waitcnt lgkmcnt(0)
	v_cndmask_b32_e64 v49, v28, v46, s11
	v_cndmask_b32_e64 v28, v26, v28, s11
	v_cmp_ge_u32_e64 s13, v49, v28
	s_and_b32 s12, s12, s13
	s_or_b32 s12, s14, s12
	v_cndmask_b32_e64 v30, v47, v48, s12
	v_cndmask_b32_e64 v31, s19, v36, s12
	;; [unrolled: 1-line block ×3, first 2 shown]
	v_add_nc_u32_e32 v50, 1, v30
	v_add_nc_u32_e32 v30, -1, v31
	v_cndmask_b32_e64 v37, v48, v50, s12
	v_min_u32_e32 v30, v50, v30
	v_cndmask_b32_e64 v47, v50, v47, s12
	v_cndmask_b32_e64 v50, v17, v34, s5
	;; [unrolled: 1-line block ×3, first 2 shown]
	v_cmp_gt_u32_e32 vcc_lo, s15, v37
	v_lshlrev_b32_e32 v30, 3, v30
	v_cmp_le_u32_e64 s1, s19, v47
	v_cndmask_b32_e64 v15, v50, v17, s6
	ds_read_b64 v[30:31], v30
	s_waitcnt lgkmcnt(0)
	v_cndmask_b32_e64 v48, v30, v49, s12
	v_cndmask_b32_e64 v30, v28, v30, s12
	v_cmp_ge_u32_e64 s0, v48, v30
	s_and_b32 s0, vcc_lo, s0
	s_or_b32 vcc_lo, s1, s0
	v_cndmask_b32_e32 v35, v47, v37, vcc_lo
	v_cndmask_b32_e32 v36, s19, v36, vcc_lo
	v_add_nc_u32_e32 v38, 1, v35
	v_add_nc_u32_e32 v35, -1, v36
	v_cndmask_b32_e64 v36, v19, v50, s6
	v_cndmask_b32_e64 v19, v17, v19, s6
	v_cndmask_b32_e32 v28, v37, v38, vcc_lo
	v_min_u32_e32 v35, v38, v35
	v_cndmask_b32_e64 v39, v21, v36, s7
	v_cndmask_b32_e64 v21, v19, v21, s7
	;; [unrolled: 1-line block ×3, first 2 shown]
	v_cndmask_b32_e32 v38, v38, v47, vcc_lo
	v_lshlrev_b32_e32 v34, 3, v35
	v_cndmask_b32_e64 v40, v23, v39, s8
	v_cndmask_b32_e64 v23, v21, v23, s8
	v_cndmask_b32_e64 v21, v39, v21, s8
	v_cmp_gt_u32_e64 s0, s15, v28
	ds_read_b64 v[34:35], v34
	v_cndmask_b32_e64 v41, v25, v40, s9
	v_cndmask_b32_e64 v25, v23, v25, s9
	;; [unrolled: 1-line block ×3, first 2 shown]
	v_cmp_le_u32_e64 s2, s19, v38
	v_cndmask_b32_e32 v28, v48, v30, vcc_lo
	v_cndmask_b32_e64 v36, v27, v41, s10
	v_cndmask_b32_e64 v27, v25, v27, s10
	;; [unrolled: 1-line block ×9, first 2 shown]
	s_waitcnt lgkmcnt(0)
	v_cndmask_b32_e32 v36, v34, v48, vcc_lo
	v_cndmask_b32_e32 v34, v30, v34, vcc_lo
	;; [unrolled: 1-line block ×5, first 2 shown]
	v_cmp_ge_u32_e64 s1, v36, v34
	s_and_b32 s0, s0, s1
	s_or_b32 vcc_lo, s2, s0
	v_cndmask_b32_e32 v31, v31, v35, vcc_lo
	v_cndmask_b32_e32 v30, v36, v34, vcc_lo
.LBB550_106:
	s_or_b32 exec_lo, exec_lo, s18
	v_and_b32_e32 v32, 0x3f8, v32
	s_sub_i32 s0, s16, s17
	s_cmpk_gt_u32 s0, 0xfff
	s_mov_b32 s0, -1
	v_lshl_add_u32 v32, v33, 3, v32
	s_barrier
	buffer_gl0_inv
	ds_write2_b64 v32, v[0:1], v[4:5] offset1:1
	ds_write2_b64 v32, v[2:3], v[6:7] offset0:2 offset1:3
	ds_write2_b64 v32, v[8:9], v[10:11] offset0:4 offset1:5
	;; [unrolled: 1-line block ×7, first 2 shown]
	s_waitcnt lgkmcnt(0)
	s_cbranch_scc1 .LBB550_109
; %bb.107:
	s_andn2_b32 vcc_lo, exec_lo, s0
	s_cbranch_vccz .LBB550_110
.LBB550_108:
	buffer_gl0_inv
	s_endpgm
.LBB550_109:
	s_barrier
	s_cbranch_execnz .LBB550_108
.LBB550_110:
	s_barrier
	buffer_gl0_inv
	s_endpgm
	.section	.rodata,"a",@progbits
	.p2align	6, 0x0
	.amdhsa_kernel _ZN7rocprim17ROCPRIM_400000_NS6detail17trampoline_kernelINS0_14default_configENS1_21merge_config_selectorINS0_5tupleIJjjEEENS0_10empty_typeEEEZNS1_10merge_implIS3_NS0_12zip_iteratorINS5_IJN6thrust23THRUST_200600_302600_NS6detail15normal_iteratorINSC_10device_ptrIKjEEEESI_EEEEESK_NSA_INS5_IJNSC_16discard_iteratorINSC_11use_defaultEEESN_EEEEEPS7_SQ_SQ_NSC_11hip_rocprim7__merge17predicate_wrapperIjjNSC_4lessIjEEEEEE10hipError_tPvRmT0_T1_T2_T3_T4_T5_mmT6_P12ihipStream_tbEUlT_E0_NS1_11comp_targetILNS1_3genE8ELNS1_11target_archE1030ELNS1_3gpuE2ELNS1_3repE0EEENS1_30default_config_static_selectorELNS0_4arch9wavefront6targetE0EEEvS11_
		.amdhsa_group_segment_fixed_size 33792
		.amdhsa_private_segment_fixed_size 0
		.amdhsa_kernarg_size 128
		.amdhsa_user_sgpr_count 6
		.amdhsa_user_sgpr_private_segment_buffer 1
		.amdhsa_user_sgpr_dispatch_ptr 0
		.amdhsa_user_sgpr_queue_ptr 0
		.amdhsa_user_sgpr_kernarg_segment_ptr 1
		.amdhsa_user_sgpr_dispatch_id 0
		.amdhsa_user_sgpr_flat_scratch_init 0
		.amdhsa_user_sgpr_private_segment_size 0
		.amdhsa_wavefront_size32 1
		.amdhsa_uses_dynamic_stack 0
		.amdhsa_system_sgpr_private_segment_wavefront_offset 0
		.amdhsa_system_sgpr_workgroup_id_x 1
		.amdhsa_system_sgpr_workgroup_id_y 0
		.amdhsa_system_sgpr_workgroup_id_z 0
		.amdhsa_system_sgpr_workgroup_info 0
		.amdhsa_system_vgpr_workitem_id 0
		.amdhsa_next_free_vgpr 145
		.amdhsa_next_free_sgpr 24
		.amdhsa_reserve_vcc 1
		.amdhsa_reserve_flat_scratch 0
		.amdhsa_float_round_mode_32 0
		.amdhsa_float_round_mode_16_64 0
		.amdhsa_float_denorm_mode_32 3
		.amdhsa_float_denorm_mode_16_64 3
		.amdhsa_dx10_clamp 1
		.amdhsa_ieee_mode 1
		.amdhsa_fp16_overflow 0
		.amdhsa_workgroup_processor_mode 1
		.amdhsa_memory_ordered 1
		.amdhsa_forward_progress 1
		.amdhsa_shared_vgpr_count 0
		.amdhsa_exception_fp_ieee_invalid_op 0
		.amdhsa_exception_fp_denorm_src 0
		.amdhsa_exception_fp_ieee_div_zero 0
		.amdhsa_exception_fp_ieee_overflow 0
		.amdhsa_exception_fp_ieee_underflow 0
		.amdhsa_exception_fp_ieee_inexact 0
		.amdhsa_exception_int_div_zero 0
	.end_amdhsa_kernel
	.section	.text._ZN7rocprim17ROCPRIM_400000_NS6detail17trampoline_kernelINS0_14default_configENS1_21merge_config_selectorINS0_5tupleIJjjEEENS0_10empty_typeEEEZNS1_10merge_implIS3_NS0_12zip_iteratorINS5_IJN6thrust23THRUST_200600_302600_NS6detail15normal_iteratorINSC_10device_ptrIKjEEEESI_EEEEESK_NSA_INS5_IJNSC_16discard_iteratorINSC_11use_defaultEEESN_EEEEEPS7_SQ_SQ_NSC_11hip_rocprim7__merge17predicate_wrapperIjjNSC_4lessIjEEEEEE10hipError_tPvRmT0_T1_T2_T3_T4_T5_mmT6_P12ihipStream_tbEUlT_E0_NS1_11comp_targetILNS1_3genE8ELNS1_11target_archE1030ELNS1_3gpuE2ELNS1_3repE0EEENS1_30default_config_static_selectorELNS0_4arch9wavefront6targetE0EEEvS11_,"axG",@progbits,_ZN7rocprim17ROCPRIM_400000_NS6detail17trampoline_kernelINS0_14default_configENS1_21merge_config_selectorINS0_5tupleIJjjEEENS0_10empty_typeEEEZNS1_10merge_implIS3_NS0_12zip_iteratorINS5_IJN6thrust23THRUST_200600_302600_NS6detail15normal_iteratorINSC_10device_ptrIKjEEEESI_EEEEESK_NSA_INS5_IJNSC_16discard_iteratorINSC_11use_defaultEEESN_EEEEEPS7_SQ_SQ_NSC_11hip_rocprim7__merge17predicate_wrapperIjjNSC_4lessIjEEEEEE10hipError_tPvRmT0_T1_T2_T3_T4_T5_mmT6_P12ihipStream_tbEUlT_E0_NS1_11comp_targetILNS1_3genE8ELNS1_11target_archE1030ELNS1_3gpuE2ELNS1_3repE0EEENS1_30default_config_static_selectorELNS0_4arch9wavefront6targetE0EEEvS11_,comdat
.Lfunc_end550:
	.size	_ZN7rocprim17ROCPRIM_400000_NS6detail17trampoline_kernelINS0_14default_configENS1_21merge_config_selectorINS0_5tupleIJjjEEENS0_10empty_typeEEEZNS1_10merge_implIS3_NS0_12zip_iteratorINS5_IJN6thrust23THRUST_200600_302600_NS6detail15normal_iteratorINSC_10device_ptrIKjEEEESI_EEEEESK_NSA_INS5_IJNSC_16discard_iteratorINSC_11use_defaultEEESN_EEEEEPS7_SQ_SQ_NSC_11hip_rocprim7__merge17predicate_wrapperIjjNSC_4lessIjEEEEEE10hipError_tPvRmT0_T1_T2_T3_T4_T5_mmT6_P12ihipStream_tbEUlT_E0_NS1_11comp_targetILNS1_3genE8ELNS1_11target_archE1030ELNS1_3gpuE2ELNS1_3repE0EEENS1_30default_config_static_selectorELNS0_4arch9wavefront6targetE0EEEvS11_, .Lfunc_end550-_ZN7rocprim17ROCPRIM_400000_NS6detail17trampoline_kernelINS0_14default_configENS1_21merge_config_selectorINS0_5tupleIJjjEEENS0_10empty_typeEEEZNS1_10merge_implIS3_NS0_12zip_iteratorINS5_IJN6thrust23THRUST_200600_302600_NS6detail15normal_iteratorINSC_10device_ptrIKjEEEESI_EEEEESK_NSA_INS5_IJNSC_16discard_iteratorINSC_11use_defaultEEESN_EEEEEPS7_SQ_SQ_NSC_11hip_rocprim7__merge17predicate_wrapperIjjNSC_4lessIjEEEEEE10hipError_tPvRmT0_T1_T2_T3_T4_T5_mmT6_P12ihipStream_tbEUlT_E0_NS1_11comp_targetILNS1_3genE8ELNS1_11target_archE1030ELNS1_3gpuE2ELNS1_3repE0EEENS1_30default_config_static_selectorELNS0_4arch9wavefront6targetE0EEEvS11_
                                        ; -- End function
	.set _ZN7rocprim17ROCPRIM_400000_NS6detail17trampoline_kernelINS0_14default_configENS1_21merge_config_selectorINS0_5tupleIJjjEEENS0_10empty_typeEEEZNS1_10merge_implIS3_NS0_12zip_iteratorINS5_IJN6thrust23THRUST_200600_302600_NS6detail15normal_iteratorINSC_10device_ptrIKjEEEESI_EEEEESK_NSA_INS5_IJNSC_16discard_iteratorINSC_11use_defaultEEESN_EEEEEPS7_SQ_SQ_NSC_11hip_rocprim7__merge17predicate_wrapperIjjNSC_4lessIjEEEEEE10hipError_tPvRmT0_T1_T2_T3_T4_T5_mmT6_P12ihipStream_tbEUlT_E0_NS1_11comp_targetILNS1_3genE8ELNS1_11target_archE1030ELNS1_3gpuE2ELNS1_3repE0EEENS1_30default_config_static_selectorELNS0_4arch9wavefront6targetE0EEEvS11_.num_vgpr, 54
	.set _ZN7rocprim17ROCPRIM_400000_NS6detail17trampoline_kernelINS0_14default_configENS1_21merge_config_selectorINS0_5tupleIJjjEEENS0_10empty_typeEEEZNS1_10merge_implIS3_NS0_12zip_iteratorINS5_IJN6thrust23THRUST_200600_302600_NS6detail15normal_iteratorINSC_10device_ptrIKjEEEESI_EEEEESK_NSA_INS5_IJNSC_16discard_iteratorINSC_11use_defaultEEESN_EEEEEPS7_SQ_SQ_NSC_11hip_rocprim7__merge17predicate_wrapperIjjNSC_4lessIjEEEEEE10hipError_tPvRmT0_T1_T2_T3_T4_T5_mmT6_P12ihipStream_tbEUlT_E0_NS1_11comp_targetILNS1_3genE8ELNS1_11target_archE1030ELNS1_3gpuE2ELNS1_3repE0EEENS1_30default_config_static_selectorELNS0_4arch9wavefront6targetE0EEEvS11_.num_agpr, 0
	.set _ZN7rocprim17ROCPRIM_400000_NS6detail17trampoline_kernelINS0_14default_configENS1_21merge_config_selectorINS0_5tupleIJjjEEENS0_10empty_typeEEEZNS1_10merge_implIS3_NS0_12zip_iteratorINS5_IJN6thrust23THRUST_200600_302600_NS6detail15normal_iteratorINSC_10device_ptrIKjEEEESI_EEEEESK_NSA_INS5_IJNSC_16discard_iteratorINSC_11use_defaultEEESN_EEEEEPS7_SQ_SQ_NSC_11hip_rocprim7__merge17predicate_wrapperIjjNSC_4lessIjEEEEEE10hipError_tPvRmT0_T1_T2_T3_T4_T5_mmT6_P12ihipStream_tbEUlT_E0_NS1_11comp_targetILNS1_3genE8ELNS1_11target_archE1030ELNS1_3gpuE2ELNS1_3repE0EEENS1_30default_config_static_selectorELNS0_4arch9wavefront6targetE0EEEvS11_.numbered_sgpr, 24
	.set _ZN7rocprim17ROCPRIM_400000_NS6detail17trampoline_kernelINS0_14default_configENS1_21merge_config_selectorINS0_5tupleIJjjEEENS0_10empty_typeEEEZNS1_10merge_implIS3_NS0_12zip_iteratorINS5_IJN6thrust23THRUST_200600_302600_NS6detail15normal_iteratorINSC_10device_ptrIKjEEEESI_EEEEESK_NSA_INS5_IJNSC_16discard_iteratorINSC_11use_defaultEEESN_EEEEEPS7_SQ_SQ_NSC_11hip_rocprim7__merge17predicate_wrapperIjjNSC_4lessIjEEEEEE10hipError_tPvRmT0_T1_T2_T3_T4_T5_mmT6_P12ihipStream_tbEUlT_E0_NS1_11comp_targetILNS1_3genE8ELNS1_11target_archE1030ELNS1_3gpuE2ELNS1_3repE0EEENS1_30default_config_static_selectorELNS0_4arch9wavefront6targetE0EEEvS11_.num_named_barrier, 0
	.set _ZN7rocprim17ROCPRIM_400000_NS6detail17trampoline_kernelINS0_14default_configENS1_21merge_config_selectorINS0_5tupleIJjjEEENS0_10empty_typeEEEZNS1_10merge_implIS3_NS0_12zip_iteratorINS5_IJN6thrust23THRUST_200600_302600_NS6detail15normal_iteratorINSC_10device_ptrIKjEEEESI_EEEEESK_NSA_INS5_IJNSC_16discard_iteratorINSC_11use_defaultEEESN_EEEEEPS7_SQ_SQ_NSC_11hip_rocprim7__merge17predicate_wrapperIjjNSC_4lessIjEEEEEE10hipError_tPvRmT0_T1_T2_T3_T4_T5_mmT6_P12ihipStream_tbEUlT_E0_NS1_11comp_targetILNS1_3genE8ELNS1_11target_archE1030ELNS1_3gpuE2ELNS1_3repE0EEENS1_30default_config_static_selectorELNS0_4arch9wavefront6targetE0EEEvS11_.private_seg_size, 0
	.set _ZN7rocprim17ROCPRIM_400000_NS6detail17trampoline_kernelINS0_14default_configENS1_21merge_config_selectorINS0_5tupleIJjjEEENS0_10empty_typeEEEZNS1_10merge_implIS3_NS0_12zip_iteratorINS5_IJN6thrust23THRUST_200600_302600_NS6detail15normal_iteratorINSC_10device_ptrIKjEEEESI_EEEEESK_NSA_INS5_IJNSC_16discard_iteratorINSC_11use_defaultEEESN_EEEEEPS7_SQ_SQ_NSC_11hip_rocprim7__merge17predicate_wrapperIjjNSC_4lessIjEEEEEE10hipError_tPvRmT0_T1_T2_T3_T4_T5_mmT6_P12ihipStream_tbEUlT_E0_NS1_11comp_targetILNS1_3genE8ELNS1_11target_archE1030ELNS1_3gpuE2ELNS1_3repE0EEENS1_30default_config_static_selectorELNS0_4arch9wavefront6targetE0EEEvS11_.uses_vcc, 1
	.set _ZN7rocprim17ROCPRIM_400000_NS6detail17trampoline_kernelINS0_14default_configENS1_21merge_config_selectorINS0_5tupleIJjjEEENS0_10empty_typeEEEZNS1_10merge_implIS3_NS0_12zip_iteratorINS5_IJN6thrust23THRUST_200600_302600_NS6detail15normal_iteratorINSC_10device_ptrIKjEEEESI_EEEEESK_NSA_INS5_IJNSC_16discard_iteratorINSC_11use_defaultEEESN_EEEEEPS7_SQ_SQ_NSC_11hip_rocprim7__merge17predicate_wrapperIjjNSC_4lessIjEEEEEE10hipError_tPvRmT0_T1_T2_T3_T4_T5_mmT6_P12ihipStream_tbEUlT_E0_NS1_11comp_targetILNS1_3genE8ELNS1_11target_archE1030ELNS1_3gpuE2ELNS1_3repE0EEENS1_30default_config_static_selectorELNS0_4arch9wavefront6targetE0EEEvS11_.uses_flat_scratch, 0
	.set _ZN7rocprim17ROCPRIM_400000_NS6detail17trampoline_kernelINS0_14default_configENS1_21merge_config_selectorINS0_5tupleIJjjEEENS0_10empty_typeEEEZNS1_10merge_implIS3_NS0_12zip_iteratorINS5_IJN6thrust23THRUST_200600_302600_NS6detail15normal_iteratorINSC_10device_ptrIKjEEEESI_EEEEESK_NSA_INS5_IJNSC_16discard_iteratorINSC_11use_defaultEEESN_EEEEEPS7_SQ_SQ_NSC_11hip_rocprim7__merge17predicate_wrapperIjjNSC_4lessIjEEEEEE10hipError_tPvRmT0_T1_T2_T3_T4_T5_mmT6_P12ihipStream_tbEUlT_E0_NS1_11comp_targetILNS1_3genE8ELNS1_11target_archE1030ELNS1_3gpuE2ELNS1_3repE0EEENS1_30default_config_static_selectorELNS0_4arch9wavefront6targetE0EEEvS11_.has_dyn_sized_stack, 0
	.set _ZN7rocprim17ROCPRIM_400000_NS6detail17trampoline_kernelINS0_14default_configENS1_21merge_config_selectorINS0_5tupleIJjjEEENS0_10empty_typeEEEZNS1_10merge_implIS3_NS0_12zip_iteratorINS5_IJN6thrust23THRUST_200600_302600_NS6detail15normal_iteratorINSC_10device_ptrIKjEEEESI_EEEEESK_NSA_INS5_IJNSC_16discard_iteratorINSC_11use_defaultEEESN_EEEEEPS7_SQ_SQ_NSC_11hip_rocprim7__merge17predicate_wrapperIjjNSC_4lessIjEEEEEE10hipError_tPvRmT0_T1_T2_T3_T4_T5_mmT6_P12ihipStream_tbEUlT_E0_NS1_11comp_targetILNS1_3genE8ELNS1_11target_archE1030ELNS1_3gpuE2ELNS1_3repE0EEENS1_30default_config_static_selectorELNS0_4arch9wavefront6targetE0EEEvS11_.has_recursion, 0
	.set _ZN7rocprim17ROCPRIM_400000_NS6detail17trampoline_kernelINS0_14default_configENS1_21merge_config_selectorINS0_5tupleIJjjEEENS0_10empty_typeEEEZNS1_10merge_implIS3_NS0_12zip_iteratorINS5_IJN6thrust23THRUST_200600_302600_NS6detail15normal_iteratorINSC_10device_ptrIKjEEEESI_EEEEESK_NSA_INS5_IJNSC_16discard_iteratorINSC_11use_defaultEEESN_EEEEEPS7_SQ_SQ_NSC_11hip_rocprim7__merge17predicate_wrapperIjjNSC_4lessIjEEEEEE10hipError_tPvRmT0_T1_T2_T3_T4_T5_mmT6_P12ihipStream_tbEUlT_E0_NS1_11comp_targetILNS1_3genE8ELNS1_11target_archE1030ELNS1_3gpuE2ELNS1_3repE0EEENS1_30default_config_static_selectorELNS0_4arch9wavefront6targetE0EEEvS11_.has_indirect_call, 0
	.section	.AMDGPU.csdata,"",@progbits
; Kernel info:
; codeLenInByte = 5092
; TotalNumSgprs: 26
; NumVgprs: 54
; ScratchSize: 0
; MemoryBound: 0
; FloatMode: 240
; IeeeMode: 1
; LDSByteSize: 33792 bytes/workgroup (compile time only)
; SGPRBlocks: 0
; VGPRBlocks: 18
; NumSGPRsForWavesPerEU: 26
; NumVGPRsForWavesPerEU: 145
; Occupancy: 6
; WaveLimiterHint : 1
; COMPUTE_PGM_RSRC2:SCRATCH_EN: 0
; COMPUTE_PGM_RSRC2:USER_SGPR: 6
; COMPUTE_PGM_RSRC2:TRAP_HANDLER: 0
; COMPUTE_PGM_RSRC2:TGID_X_EN: 1
; COMPUTE_PGM_RSRC2:TGID_Y_EN: 0
; COMPUTE_PGM_RSRC2:TGID_Z_EN: 0
; COMPUTE_PGM_RSRC2:TIDIG_COMP_CNT: 0
	.section	.text._ZN7rocprim17ROCPRIM_400000_NS6detail17trampoline_kernelINS0_14default_configENS1_21merge_config_selectorINS0_5tupleIJttEEENS0_10empty_typeEEEZNS1_10merge_implIS3_NS0_12zip_iteratorINS5_IJN6thrust23THRUST_200600_302600_NS6detail15normal_iteratorINSC_10device_ptrIKtEEEESI_EEEEESK_NSA_INS5_IJNSC_16discard_iteratorINSC_11use_defaultEEESN_EEEEEPS7_SQ_SQ_NSC_11hip_rocprim7__merge17predicate_wrapperIttNSC_4lessItEEEEEE10hipError_tPvRmT0_T1_T2_T3_T4_T5_mmT6_P12ihipStream_tbEUlT_E_NS1_11comp_targetILNS1_3genE0ELNS1_11target_archE4294967295ELNS1_3gpuE0ELNS1_3repE0EEENS1_30default_config_static_selectorELNS0_4arch9wavefront6targetE0EEEvS11_,"axG",@progbits,_ZN7rocprim17ROCPRIM_400000_NS6detail17trampoline_kernelINS0_14default_configENS1_21merge_config_selectorINS0_5tupleIJttEEENS0_10empty_typeEEEZNS1_10merge_implIS3_NS0_12zip_iteratorINS5_IJN6thrust23THRUST_200600_302600_NS6detail15normal_iteratorINSC_10device_ptrIKtEEEESI_EEEEESK_NSA_INS5_IJNSC_16discard_iteratorINSC_11use_defaultEEESN_EEEEEPS7_SQ_SQ_NSC_11hip_rocprim7__merge17predicate_wrapperIttNSC_4lessItEEEEEE10hipError_tPvRmT0_T1_T2_T3_T4_T5_mmT6_P12ihipStream_tbEUlT_E_NS1_11comp_targetILNS1_3genE0ELNS1_11target_archE4294967295ELNS1_3gpuE0ELNS1_3repE0EEENS1_30default_config_static_selectorELNS0_4arch9wavefront6targetE0EEEvS11_,comdat
	.protected	_ZN7rocprim17ROCPRIM_400000_NS6detail17trampoline_kernelINS0_14default_configENS1_21merge_config_selectorINS0_5tupleIJttEEENS0_10empty_typeEEEZNS1_10merge_implIS3_NS0_12zip_iteratorINS5_IJN6thrust23THRUST_200600_302600_NS6detail15normal_iteratorINSC_10device_ptrIKtEEEESI_EEEEESK_NSA_INS5_IJNSC_16discard_iteratorINSC_11use_defaultEEESN_EEEEEPS7_SQ_SQ_NSC_11hip_rocprim7__merge17predicate_wrapperIttNSC_4lessItEEEEEE10hipError_tPvRmT0_T1_T2_T3_T4_T5_mmT6_P12ihipStream_tbEUlT_E_NS1_11comp_targetILNS1_3genE0ELNS1_11target_archE4294967295ELNS1_3gpuE0ELNS1_3repE0EEENS1_30default_config_static_selectorELNS0_4arch9wavefront6targetE0EEEvS11_ ; -- Begin function _ZN7rocprim17ROCPRIM_400000_NS6detail17trampoline_kernelINS0_14default_configENS1_21merge_config_selectorINS0_5tupleIJttEEENS0_10empty_typeEEEZNS1_10merge_implIS3_NS0_12zip_iteratorINS5_IJN6thrust23THRUST_200600_302600_NS6detail15normal_iteratorINSC_10device_ptrIKtEEEESI_EEEEESK_NSA_INS5_IJNSC_16discard_iteratorINSC_11use_defaultEEESN_EEEEEPS7_SQ_SQ_NSC_11hip_rocprim7__merge17predicate_wrapperIttNSC_4lessItEEEEEE10hipError_tPvRmT0_T1_T2_T3_T4_T5_mmT6_P12ihipStream_tbEUlT_E_NS1_11comp_targetILNS1_3genE0ELNS1_11target_archE4294967295ELNS1_3gpuE0ELNS1_3repE0EEENS1_30default_config_static_selectorELNS0_4arch9wavefront6targetE0EEEvS11_
	.globl	_ZN7rocprim17ROCPRIM_400000_NS6detail17trampoline_kernelINS0_14default_configENS1_21merge_config_selectorINS0_5tupleIJttEEENS0_10empty_typeEEEZNS1_10merge_implIS3_NS0_12zip_iteratorINS5_IJN6thrust23THRUST_200600_302600_NS6detail15normal_iteratorINSC_10device_ptrIKtEEEESI_EEEEESK_NSA_INS5_IJNSC_16discard_iteratorINSC_11use_defaultEEESN_EEEEEPS7_SQ_SQ_NSC_11hip_rocprim7__merge17predicate_wrapperIttNSC_4lessItEEEEEE10hipError_tPvRmT0_T1_T2_T3_T4_T5_mmT6_P12ihipStream_tbEUlT_E_NS1_11comp_targetILNS1_3genE0ELNS1_11target_archE4294967295ELNS1_3gpuE0ELNS1_3repE0EEENS1_30default_config_static_selectorELNS0_4arch9wavefront6targetE0EEEvS11_
	.p2align	8
	.type	_ZN7rocprim17ROCPRIM_400000_NS6detail17trampoline_kernelINS0_14default_configENS1_21merge_config_selectorINS0_5tupleIJttEEENS0_10empty_typeEEEZNS1_10merge_implIS3_NS0_12zip_iteratorINS5_IJN6thrust23THRUST_200600_302600_NS6detail15normal_iteratorINSC_10device_ptrIKtEEEESI_EEEEESK_NSA_INS5_IJNSC_16discard_iteratorINSC_11use_defaultEEESN_EEEEEPS7_SQ_SQ_NSC_11hip_rocprim7__merge17predicate_wrapperIttNSC_4lessItEEEEEE10hipError_tPvRmT0_T1_T2_T3_T4_T5_mmT6_P12ihipStream_tbEUlT_E_NS1_11comp_targetILNS1_3genE0ELNS1_11target_archE4294967295ELNS1_3gpuE0ELNS1_3repE0EEENS1_30default_config_static_selectorELNS0_4arch9wavefront6targetE0EEEvS11_,@function
_ZN7rocprim17ROCPRIM_400000_NS6detail17trampoline_kernelINS0_14default_configENS1_21merge_config_selectorINS0_5tupleIJttEEENS0_10empty_typeEEEZNS1_10merge_implIS3_NS0_12zip_iteratorINS5_IJN6thrust23THRUST_200600_302600_NS6detail15normal_iteratorINSC_10device_ptrIKtEEEESI_EEEEESK_NSA_INS5_IJNSC_16discard_iteratorINSC_11use_defaultEEESN_EEEEEPS7_SQ_SQ_NSC_11hip_rocprim7__merge17predicate_wrapperIttNSC_4lessItEEEEEE10hipError_tPvRmT0_T1_T2_T3_T4_T5_mmT6_P12ihipStream_tbEUlT_E_NS1_11comp_targetILNS1_3genE0ELNS1_11target_archE4294967295ELNS1_3gpuE0ELNS1_3repE0EEENS1_30default_config_static_selectorELNS0_4arch9wavefront6targetE0EEEvS11_: ; @_ZN7rocprim17ROCPRIM_400000_NS6detail17trampoline_kernelINS0_14default_configENS1_21merge_config_selectorINS0_5tupleIJttEEENS0_10empty_typeEEEZNS1_10merge_implIS3_NS0_12zip_iteratorINS5_IJN6thrust23THRUST_200600_302600_NS6detail15normal_iteratorINSC_10device_ptrIKtEEEESI_EEEEESK_NSA_INS5_IJNSC_16discard_iteratorINSC_11use_defaultEEESN_EEEEEPS7_SQ_SQ_NSC_11hip_rocprim7__merge17predicate_wrapperIttNSC_4lessItEEEEEE10hipError_tPvRmT0_T1_T2_T3_T4_T5_mmT6_P12ihipStream_tbEUlT_E_NS1_11comp_targetILNS1_3genE0ELNS1_11target_archE4294967295ELNS1_3gpuE0ELNS1_3repE0EEENS1_30default_config_static_selectorELNS0_4arch9wavefront6targetE0EEEvS11_
; %bb.0:
	.section	.rodata,"a",@progbits
	.p2align	6, 0x0
	.amdhsa_kernel _ZN7rocprim17ROCPRIM_400000_NS6detail17trampoline_kernelINS0_14default_configENS1_21merge_config_selectorINS0_5tupleIJttEEENS0_10empty_typeEEEZNS1_10merge_implIS3_NS0_12zip_iteratorINS5_IJN6thrust23THRUST_200600_302600_NS6detail15normal_iteratorINSC_10device_ptrIKtEEEESI_EEEEESK_NSA_INS5_IJNSC_16discard_iteratorINSC_11use_defaultEEESN_EEEEEPS7_SQ_SQ_NSC_11hip_rocprim7__merge17predicate_wrapperIttNSC_4lessItEEEEEE10hipError_tPvRmT0_T1_T2_T3_T4_T5_mmT6_P12ihipStream_tbEUlT_E_NS1_11comp_targetILNS1_3genE0ELNS1_11target_archE4294967295ELNS1_3gpuE0ELNS1_3repE0EEENS1_30default_config_static_selectorELNS0_4arch9wavefront6targetE0EEEvS11_
		.amdhsa_group_segment_fixed_size 0
		.amdhsa_private_segment_fixed_size 0
		.amdhsa_kernarg_size 64
		.amdhsa_user_sgpr_count 6
		.amdhsa_user_sgpr_private_segment_buffer 1
		.amdhsa_user_sgpr_dispatch_ptr 0
		.amdhsa_user_sgpr_queue_ptr 0
		.amdhsa_user_sgpr_kernarg_segment_ptr 1
		.amdhsa_user_sgpr_dispatch_id 0
		.amdhsa_user_sgpr_flat_scratch_init 0
		.amdhsa_user_sgpr_private_segment_size 0
		.amdhsa_wavefront_size32 1
		.amdhsa_uses_dynamic_stack 0
		.amdhsa_system_sgpr_private_segment_wavefront_offset 0
		.amdhsa_system_sgpr_workgroup_id_x 1
		.amdhsa_system_sgpr_workgroup_id_y 0
		.amdhsa_system_sgpr_workgroup_id_z 0
		.amdhsa_system_sgpr_workgroup_info 0
		.amdhsa_system_vgpr_workitem_id 0
		.amdhsa_next_free_vgpr 1
		.amdhsa_next_free_sgpr 1
		.amdhsa_reserve_vcc 0
		.amdhsa_reserve_flat_scratch 0
		.amdhsa_float_round_mode_32 0
		.amdhsa_float_round_mode_16_64 0
		.amdhsa_float_denorm_mode_32 3
		.amdhsa_float_denorm_mode_16_64 3
		.amdhsa_dx10_clamp 1
		.amdhsa_ieee_mode 1
		.amdhsa_fp16_overflow 0
		.amdhsa_workgroup_processor_mode 1
		.amdhsa_memory_ordered 1
		.amdhsa_forward_progress 1
		.amdhsa_shared_vgpr_count 0
		.amdhsa_exception_fp_ieee_invalid_op 0
		.amdhsa_exception_fp_denorm_src 0
		.amdhsa_exception_fp_ieee_div_zero 0
		.amdhsa_exception_fp_ieee_overflow 0
		.amdhsa_exception_fp_ieee_underflow 0
		.amdhsa_exception_fp_ieee_inexact 0
		.amdhsa_exception_int_div_zero 0
	.end_amdhsa_kernel
	.section	.text._ZN7rocprim17ROCPRIM_400000_NS6detail17trampoline_kernelINS0_14default_configENS1_21merge_config_selectorINS0_5tupleIJttEEENS0_10empty_typeEEEZNS1_10merge_implIS3_NS0_12zip_iteratorINS5_IJN6thrust23THRUST_200600_302600_NS6detail15normal_iteratorINSC_10device_ptrIKtEEEESI_EEEEESK_NSA_INS5_IJNSC_16discard_iteratorINSC_11use_defaultEEESN_EEEEEPS7_SQ_SQ_NSC_11hip_rocprim7__merge17predicate_wrapperIttNSC_4lessItEEEEEE10hipError_tPvRmT0_T1_T2_T3_T4_T5_mmT6_P12ihipStream_tbEUlT_E_NS1_11comp_targetILNS1_3genE0ELNS1_11target_archE4294967295ELNS1_3gpuE0ELNS1_3repE0EEENS1_30default_config_static_selectorELNS0_4arch9wavefront6targetE0EEEvS11_,"axG",@progbits,_ZN7rocprim17ROCPRIM_400000_NS6detail17trampoline_kernelINS0_14default_configENS1_21merge_config_selectorINS0_5tupleIJttEEENS0_10empty_typeEEEZNS1_10merge_implIS3_NS0_12zip_iteratorINS5_IJN6thrust23THRUST_200600_302600_NS6detail15normal_iteratorINSC_10device_ptrIKtEEEESI_EEEEESK_NSA_INS5_IJNSC_16discard_iteratorINSC_11use_defaultEEESN_EEEEEPS7_SQ_SQ_NSC_11hip_rocprim7__merge17predicate_wrapperIttNSC_4lessItEEEEEE10hipError_tPvRmT0_T1_T2_T3_T4_T5_mmT6_P12ihipStream_tbEUlT_E_NS1_11comp_targetILNS1_3genE0ELNS1_11target_archE4294967295ELNS1_3gpuE0ELNS1_3repE0EEENS1_30default_config_static_selectorELNS0_4arch9wavefront6targetE0EEEvS11_,comdat
.Lfunc_end551:
	.size	_ZN7rocprim17ROCPRIM_400000_NS6detail17trampoline_kernelINS0_14default_configENS1_21merge_config_selectorINS0_5tupleIJttEEENS0_10empty_typeEEEZNS1_10merge_implIS3_NS0_12zip_iteratorINS5_IJN6thrust23THRUST_200600_302600_NS6detail15normal_iteratorINSC_10device_ptrIKtEEEESI_EEEEESK_NSA_INS5_IJNSC_16discard_iteratorINSC_11use_defaultEEESN_EEEEEPS7_SQ_SQ_NSC_11hip_rocprim7__merge17predicate_wrapperIttNSC_4lessItEEEEEE10hipError_tPvRmT0_T1_T2_T3_T4_T5_mmT6_P12ihipStream_tbEUlT_E_NS1_11comp_targetILNS1_3genE0ELNS1_11target_archE4294967295ELNS1_3gpuE0ELNS1_3repE0EEENS1_30default_config_static_selectorELNS0_4arch9wavefront6targetE0EEEvS11_, .Lfunc_end551-_ZN7rocprim17ROCPRIM_400000_NS6detail17trampoline_kernelINS0_14default_configENS1_21merge_config_selectorINS0_5tupleIJttEEENS0_10empty_typeEEEZNS1_10merge_implIS3_NS0_12zip_iteratorINS5_IJN6thrust23THRUST_200600_302600_NS6detail15normal_iteratorINSC_10device_ptrIKtEEEESI_EEEEESK_NSA_INS5_IJNSC_16discard_iteratorINSC_11use_defaultEEESN_EEEEEPS7_SQ_SQ_NSC_11hip_rocprim7__merge17predicate_wrapperIttNSC_4lessItEEEEEE10hipError_tPvRmT0_T1_T2_T3_T4_T5_mmT6_P12ihipStream_tbEUlT_E_NS1_11comp_targetILNS1_3genE0ELNS1_11target_archE4294967295ELNS1_3gpuE0ELNS1_3repE0EEENS1_30default_config_static_selectorELNS0_4arch9wavefront6targetE0EEEvS11_
                                        ; -- End function
	.set _ZN7rocprim17ROCPRIM_400000_NS6detail17trampoline_kernelINS0_14default_configENS1_21merge_config_selectorINS0_5tupleIJttEEENS0_10empty_typeEEEZNS1_10merge_implIS3_NS0_12zip_iteratorINS5_IJN6thrust23THRUST_200600_302600_NS6detail15normal_iteratorINSC_10device_ptrIKtEEEESI_EEEEESK_NSA_INS5_IJNSC_16discard_iteratorINSC_11use_defaultEEESN_EEEEEPS7_SQ_SQ_NSC_11hip_rocprim7__merge17predicate_wrapperIttNSC_4lessItEEEEEE10hipError_tPvRmT0_T1_T2_T3_T4_T5_mmT6_P12ihipStream_tbEUlT_E_NS1_11comp_targetILNS1_3genE0ELNS1_11target_archE4294967295ELNS1_3gpuE0ELNS1_3repE0EEENS1_30default_config_static_selectorELNS0_4arch9wavefront6targetE0EEEvS11_.num_vgpr, 0
	.set _ZN7rocprim17ROCPRIM_400000_NS6detail17trampoline_kernelINS0_14default_configENS1_21merge_config_selectorINS0_5tupleIJttEEENS0_10empty_typeEEEZNS1_10merge_implIS3_NS0_12zip_iteratorINS5_IJN6thrust23THRUST_200600_302600_NS6detail15normal_iteratorINSC_10device_ptrIKtEEEESI_EEEEESK_NSA_INS5_IJNSC_16discard_iteratorINSC_11use_defaultEEESN_EEEEEPS7_SQ_SQ_NSC_11hip_rocprim7__merge17predicate_wrapperIttNSC_4lessItEEEEEE10hipError_tPvRmT0_T1_T2_T3_T4_T5_mmT6_P12ihipStream_tbEUlT_E_NS1_11comp_targetILNS1_3genE0ELNS1_11target_archE4294967295ELNS1_3gpuE0ELNS1_3repE0EEENS1_30default_config_static_selectorELNS0_4arch9wavefront6targetE0EEEvS11_.num_agpr, 0
	.set _ZN7rocprim17ROCPRIM_400000_NS6detail17trampoline_kernelINS0_14default_configENS1_21merge_config_selectorINS0_5tupleIJttEEENS0_10empty_typeEEEZNS1_10merge_implIS3_NS0_12zip_iteratorINS5_IJN6thrust23THRUST_200600_302600_NS6detail15normal_iteratorINSC_10device_ptrIKtEEEESI_EEEEESK_NSA_INS5_IJNSC_16discard_iteratorINSC_11use_defaultEEESN_EEEEEPS7_SQ_SQ_NSC_11hip_rocprim7__merge17predicate_wrapperIttNSC_4lessItEEEEEE10hipError_tPvRmT0_T1_T2_T3_T4_T5_mmT6_P12ihipStream_tbEUlT_E_NS1_11comp_targetILNS1_3genE0ELNS1_11target_archE4294967295ELNS1_3gpuE0ELNS1_3repE0EEENS1_30default_config_static_selectorELNS0_4arch9wavefront6targetE0EEEvS11_.numbered_sgpr, 0
	.set _ZN7rocprim17ROCPRIM_400000_NS6detail17trampoline_kernelINS0_14default_configENS1_21merge_config_selectorINS0_5tupleIJttEEENS0_10empty_typeEEEZNS1_10merge_implIS3_NS0_12zip_iteratorINS5_IJN6thrust23THRUST_200600_302600_NS6detail15normal_iteratorINSC_10device_ptrIKtEEEESI_EEEEESK_NSA_INS5_IJNSC_16discard_iteratorINSC_11use_defaultEEESN_EEEEEPS7_SQ_SQ_NSC_11hip_rocprim7__merge17predicate_wrapperIttNSC_4lessItEEEEEE10hipError_tPvRmT0_T1_T2_T3_T4_T5_mmT6_P12ihipStream_tbEUlT_E_NS1_11comp_targetILNS1_3genE0ELNS1_11target_archE4294967295ELNS1_3gpuE0ELNS1_3repE0EEENS1_30default_config_static_selectorELNS0_4arch9wavefront6targetE0EEEvS11_.num_named_barrier, 0
	.set _ZN7rocprim17ROCPRIM_400000_NS6detail17trampoline_kernelINS0_14default_configENS1_21merge_config_selectorINS0_5tupleIJttEEENS0_10empty_typeEEEZNS1_10merge_implIS3_NS0_12zip_iteratorINS5_IJN6thrust23THRUST_200600_302600_NS6detail15normal_iteratorINSC_10device_ptrIKtEEEESI_EEEEESK_NSA_INS5_IJNSC_16discard_iteratorINSC_11use_defaultEEESN_EEEEEPS7_SQ_SQ_NSC_11hip_rocprim7__merge17predicate_wrapperIttNSC_4lessItEEEEEE10hipError_tPvRmT0_T1_T2_T3_T4_T5_mmT6_P12ihipStream_tbEUlT_E_NS1_11comp_targetILNS1_3genE0ELNS1_11target_archE4294967295ELNS1_3gpuE0ELNS1_3repE0EEENS1_30default_config_static_selectorELNS0_4arch9wavefront6targetE0EEEvS11_.private_seg_size, 0
	.set _ZN7rocprim17ROCPRIM_400000_NS6detail17trampoline_kernelINS0_14default_configENS1_21merge_config_selectorINS0_5tupleIJttEEENS0_10empty_typeEEEZNS1_10merge_implIS3_NS0_12zip_iteratorINS5_IJN6thrust23THRUST_200600_302600_NS6detail15normal_iteratorINSC_10device_ptrIKtEEEESI_EEEEESK_NSA_INS5_IJNSC_16discard_iteratorINSC_11use_defaultEEESN_EEEEEPS7_SQ_SQ_NSC_11hip_rocprim7__merge17predicate_wrapperIttNSC_4lessItEEEEEE10hipError_tPvRmT0_T1_T2_T3_T4_T5_mmT6_P12ihipStream_tbEUlT_E_NS1_11comp_targetILNS1_3genE0ELNS1_11target_archE4294967295ELNS1_3gpuE0ELNS1_3repE0EEENS1_30default_config_static_selectorELNS0_4arch9wavefront6targetE0EEEvS11_.uses_vcc, 0
	.set _ZN7rocprim17ROCPRIM_400000_NS6detail17trampoline_kernelINS0_14default_configENS1_21merge_config_selectorINS0_5tupleIJttEEENS0_10empty_typeEEEZNS1_10merge_implIS3_NS0_12zip_iteratorINS5_IJN6thrust23THRUST_200600_302600_NS6detail15normal_iteratorINSC_10device_ptrIKtEEEESI_EEEEESK_NSA_INS5_IJNSC_16discard_iteratorINSC_11use_defaultEEESN_EEEEEPS7_SQ_SQ_NSC_11hip_rocprim7__merge17predicate_wrapperIttNSC_4lessItEEEEEE10hipError_tPvRmT0_T1_T2_T3_T4_T5_mmT6_P12ihipStream_tbEUlT_E_NS1_11comp_targetILNS1_3genE0ELNS1_11target_archE4294967295ELNS1_3gpuE0ELNS1_3repE0EEENS1_30default_config_static_selectorELNS0_4arch9wavefront6targetE0EEEvS11_.uses_flat_scratch, 0
	.set _ZN7rocprim17ROCPRIM_400000_NS6detail17trampoline_kernelINS0_14default_configENS1_21merge_config_selectorINS0_5tupleIJttEEENS0_10empty_typeEEEZNS1_10merge_implIS3_NS0_12zip_iteratorINS5_IJN6thrust23THRUST_200600_302600_NS6detail15normal_iteratorINSC_10device_ptrIKtEEEESI_EEEEESK_NSA_INS5_IJNSC_16discard_iteratorINSC_11use_defaultEEESN_EEEEEPS7_SQ_SQ_NSC_11hip_rocprim7__merge17predicate_wrapperIttNSC_4lessItEEEEEE10hipError_tPvRmT0_T1_T2_T3_T4_T5_mmT6_P12ihipStream_tbEUlT_E_NS1_11comp_targetILNS1_3genE0ELNS1_11target_archE4294967295ELNS1_3gpuE0ELNS1_3repE0EEENS1_30default_config_static_selectorELNS0_4arch9wavefront6targetE0EEEvS11_.has_dyn_sized_stack, 0
	.set _ZN7rocprim17ROCPRIM_400000_NS6detail17trampoline_kernelINS0_14default_configENS1_21merge_config_selectorINS0_5tupleIJttEEENS0_10empty_typeEEEZNS1_10merge_implIS3_NS0_12zip_iteratorINS5_IJN6thrust23THRUST_200600_302600_NS6detail15normal_iteratorINSC_10device_ptrIKtEEEESI_EEEEESK_NSA_INS5_IJNSC_16discard_iteratorINSC_11use_defaultEEESN_EEEEEPS7_SQ_SQ_NSC_11hip_rocprim7__merge17predicate_wrapperIttNSC_4lessItEEEEEE10hipError_tPvRmT0_T1_T2_T3_T4_T5_mmT6_P12ihipStream_tbEUlT_E_NS1_11comp_targetILNS1_3genE0ELNS1_11target_archE4294967295ELNS1_3gpuE0ELNS1_3repE0EEENS1_30default_config_static_selectorELNS0_4arch9wavefront6targetE0EEEvS11_.has_recursion, 0
	.set _ZN7rocprim17ROCPRIM_400000_NS6detail17trampoline_kernelINS0_14default_configENS1_21merge_config_selectorINS0_5tupleIJttEEENS0_10empty_typeEEEZNS1_10merge_implIS3_NS0_12zip_iteratorINS5_IJN6thrust23THRUST_200600_302600_NS6detail15normal_iteratorINSC_10device_ptrIKtEEEESI_EEEEESK_NSA_INS5_IJNSC_16discard_iteratorINSC_11use_defaultEEESN_EEEEEPS7_SQ_SQ_NSC_11hip_rocprim7__merge17predicate_wrapperIttNSC_4lessItEEEEEE10hipError_tPvRmT0_T1_T2_T3_T4_T5_mmT6_P12ihipStream_tbEUlT_E_NS1_11comp_targetILNS1_3genE0ELNS1_11target_archE4294967295ELNS1_3gpuE0ELNS1_3repE0EEENS1_30default_config_static_selectorELNS0_4arch9wavefront6targetE0EEEvS11_.has_indirect_call, 0
	.section	.AMDGPU.csdata,"",@progbits
; Kernel info:
; codeLenInByte = 0
; TotalNumSgprs: 0
; NumVgprs: 0
; ScratchSize: 0
; MemoryBound: 0
; FloatMode: 240
; IeeeMode: 1
; LDSByteSize: 0 bytes/workgroup (compile time only)
; SGPRBlocks: 0
; VGPRBlocks: 0
; NumSGPRsForWavesPerEU: 1
; NumVGPRsForWavesPerEU: 1
; Occupancy: 16
; WaveLimiterHint : 0
; COMPUTE_PGM_RSRC2:SCRATCH_EN: 0
; COMPUTE_PGM_RSRC2:USER_SGPR: 6
; COMPUTE_PGM_RSRC2:TRAP_HANDLER: 0
; COMPUTE_PGM_RSRC2:TGID_X_EN: 1
; COMPUTE_PGM_RSRC2:TGID_Y_EN: 0
; COMPUTE_PGM_RSRC2:TGID_Z_EN: 0
; COMPUTE_PGM_RSRC2:TIDIG_COMP_CNT: 0
	.section	.text._ZN7rocprim17ROCPRIM_400000_NS6detail17trampoline_kernelINS0_14default_configENS1_21merge_config_selectorINS0_5tupleIJttEEENS0_10empty_typeEEEZNS1_10merge_implIS3_NS0_12zip_iteratorINS5_IJN6thrust23THRUST_200600_302600_NS6detail15normal_iteratorINSC_10device_ptrIKtEEEESI_EEEEESK_NSA_INS5_IJNSC_16discard_iteratorINSC_11use_defaultEEESN_EEEEEPS7_SQ_SQ_NSC_11hip_rocprim7__merge17predicate_wrapperIttNSC_4lessItEEEEEE10hipError_tPvRmT0_T1_T2_T3_T4_T5_mmT6_P12ihipStream_tbEUlT_E_NS1_11comp_targetILNS1_3genE5ELNS1_11target_archE942ELNS1_3gpuE9ELNS1_3repE0EEENS1_30default_config_static_selectorELNS0_4arch9wavefront6targetE0EEEvS11_,"axG",@progbits,_ZN7rocprim17ROCPRIM_400000_NS6detail17trampoline_kernelINS0_14default_configENS1_21merge_config_selectorINS0_5tupleIJttEEENS0_10empty_typeEEEZNS1_10merge_implIS3_NS0_12zip_iteratorINS5_IJN6thrust23THRUST_200600_302600_NS6detail15normal_iteratorINSC_10device_ptrIKtEEEESI_EEEEESK_NSA_INS5_IJNSC_16discard_iteratorINSC_11use_defaultEEESN_EEEEEPS7_SQ_SQ_NSC_11hip_rocprim7__merge17predicate_wrapperIttNSC_4lessItEEEEEE10hipError_tPvRmT0_T1_T2_T3_T4_T5_mmT6_P12ihipStream_tbEUlT_E_NS1_11comp_targetILNS1_3genE5ELNS1_11target_archE942ELNS1_3gpuE9ELNS1_3repE0EEENS1_30default_config_static_selectorELNS0_4arch9wavefront6targetE0EEEvS11_,comdat
	.protected	_ZN7rocprim17ROCPRIM_400000_NS6detail17trampoline_kernelINS0_14default_configENS1_21merge_config_selectorINS0_5tupleIJttEEENS0_10empty_typeEEEZNS1_10merge_implIS3_NS0_12zip_iteratorINS5_IJN6thrust23THRUST_200600_302600_NS6detail15normal_iteratorINSC_10device_ptrIKtEEEESI_EEEEESK_NSA_INS5_IJNSC_16discard_iteratorINSC_11use_defaultEEESN_EEEEEPS7_SQ_SQ_NSC_11hip_rocprim7__merge17predicate_wrapperIttNSC_4lessItEEEEEE10hipError_tPvRmT0_T1_T2_T3_T4_T5_mmT6_P12ihipStream_tbEUlT_E_NS1_11comp_targetILNS1_3genE5ELNS1_11target_archE942ELNS1_3gpuE9ELNS1_3repE0EEENS1_30default_config_static_selectorELNS0_4arch9wavefront6targetE0EEEvS11_ ; -- Begin function _ZN7rocprim17ROCPRIM_400000_NS6detail17trampoline_kernelINS0_14default_configENS1_21merge_config_selectorINS0_5tupleIJttEEENS0_10empty_typeEEEZNS1_10merge_implIS3_NS0_12zip_iteratorINS5_IJN6thrust23THRUST_200600_302600_NS6detail15normal_iteratorINSC_10device_ptrIKtEEEESI_EEEEESK_NSA_INS5_IJNSC_16discard_iteratorINSC_11use_defaultEEESN_EEEEEPS7_SQ_SQ_NSC_11hip_rocprim7__merge17predicate_wrapperIttNSC_4lessItEEEEEE10hipError_tPvRmT0_T1_T2_T3_T4_T5_mmT6_P12ihipStream_tbEUlT_E_NS1_11comp_targetILNS1_3genE5ELNS1_11target_archE942ELNS1_3gpuE9ELNS1_3repE0EEENS1_30default_config_static_selectorELNS0_4arch9wavefront6targetE0EEEvS11_
	.globl	_ZN7rocprim17ROCPRIM_400000_NS6detail17trampoline_kernelINS0_14default_configENS1_21merge_config_selectorINS0_5tupleIJttEEENS0_10empty_typeEEEZNS1_10merge_implIS3_NS0_12zip_iteratorINS5_IJN6thrust23THRUST_200600_302600_NS6detail15normal_iteratorINSC_10device_ptrIKtEEEESI_EEEEESK_NSA_INS5_IJNSC_16discard_iteratorINSC_11use_defaultEEESN_EEEEEPS7_SQ_SQ_NSC_11hip_rocprim7__merge17predicate_wrapperIttNSC_4lessItEEEEEE10hipError_tPvRmT0_T1_T2_T3_T4_T5_mmT6_P12ihipStream_tbEUlT_E_NS1_11comp_targetILNS1_3genE5ELNS1_11target_archE942ELNS1_3gpuE9ELNS1_3repE0EEENS1_30default_config_static_selectorELNS0_4arch9wavefront6targetE0EEEvS11_
	.p2align	8
	.type	_ZN7rocprim17ROCPRIM_400000_NS6detail17trampoline_kernelINS0_14default_configENS1_21merge_config_selectorINS0_5tupleIJttEEENS0_10empty_typeEEEZNS1_10merge_implIS3_NS0_12zip_iteratorINS5_IJN6thrust23THRUST_200600_302600_NS6detail15normal_iteratorINSC_10device_ptrIKtEEEESI_EEEEESK_NSA_INS5_IJNSC_16discard_iteratorINSC_11use_defaultEEESN_EEEEEPS7_SQ_SQ_NSC_11hip_rocprim7__merge17predicate_wrapperIttNSC_4lessItEEEEEE10hipError_tPvRmT0_T1_T2_T3_T4_T5_mmT6_P12ihipStream_tbEUlT_E_NS1_11comp_targetILNS1_3genE5ELNS1_11target_archE942ELNS1_3gpuE9ELNS1_3repE0EEENS1_30default_config_static_selectorELNS0_4arch9wavefront6targetE0EEEvS11_,@function
_ZN7rocprim17ROCPRIM_400000_NS6detail17trampoline_kernelINS0_14default_configENS1_21merge_config_selectorINS0_5tupleIJttEEENS0_10empty_typeEEEZNS1_10merge_implIS3_NS0_12zip_iteratorINS5_IJN6thrust23THRUST_200600_302600_NS6detail15normal_iteratorINSC_10device_ptrIKtEEEESI_EEEEESK_NSA_INS5_IJNSC_16discard_iteratorINSC_11use_defaultEEESN_EEEEEPS7_SQ_SQ_NSC_11hip_rocprim7__merge17predicate_wrapperIttNSC_4lessItEEEEEE10hipError_tPvRmT0_T1_T2_T3_T4_T5_mmT6_P12ihipStream_tbEUlT_E_NS1_11comp_targetILNS1_3genE5ELNS1_11target_archE942ELNS1_3gpuE9ELNS1_3repE0EEENS1_30default_config_static_selectorELNS0_4arch9wavefront6targetE0EEEvS11_: ; @_ZN7rocprim17ROCPRIM_400000_NS6detail17trampoline_kernelINS0_14default_configENS1_21merge_config_selectorINS0_5tupleIJttEEENS0_10empty_typeEEEZNS1_10merge_implIS3_NS0_12zip_iteratorINS5_IJN6thrust23THRUST_200600_302600_NS6detail15normal_iteratorINSC_10device_ptrIKtEEEESI_EEEEESK_NSA_INS5_IJNSC_16discard_iteratorINSC_11use_defaultEEESN_EEEEEPS7_SQ_SQ_NSC_11hip_rocprim7__merge17predicate_wrapperIttNSC_4lessItEEEEEE10hipError_tPvRmT0_T1_T2_T3_T4_T5_mmT6_P12ihipStream_tbEUlT_E_NS1_11comp_targetILNS1_3genE5ELNS1_11target_archE942ELNS1_3gpuE9ELNS1_3repE0EEENS1_30default_config_static_selectorELNS0_4arch9wavefront6targetE0EEEvS11_
; %bb.0:
	.section	.rodata,"a",@progbits
	.p2align	6, 0x0
	.amdhsa_kernel _ZN7rocprim17ROCPRIM_400000_NS6detail17trampoline_kernelINS0_14default_configENS1_21merge_config_selectorINS0_5tupleIJttEEENS0_10empty_typeEEEZNS1_10merge_implIS3_NS0_12zip_iteratorINS5_IJN6thrust23THRUST_200600_302600_NS6detail15normal_iteratorINSC_10device_ptrIKtEEEESI_EEEEESK_NSA_INS5_IJNSC_16discard_iteratorINSC_11use_defaultEEESN_EEEEEPS7_SQ_SQ_NSC_11hip_rocprim7__merge17predicate_wrapperIttNSC_4lessItEEEEEE10hipError_tPvRmT0_T1_T2_T3_T4_T5_mmT6_P12ihipStream_tbEUlT_E_NS1_11comp_targetILNS1_3genE5ELNS1_11target_archE942ELNS1_3gpuE9ELNS1_3repE0EEENS1_30default_config_static_selectorELNS0_4arch9wavefront6targetE0EEEvS11_
		.amdhsa_group_segment_fixed_size 0
		.amdhsa_private_segment_fixed_size 0
		.amdhsa_kernarg_size 64
		.amdhsa_user_sgpr_count 6
		.amdhsa_user_sgpr_private_segment_buffer 1
		.amdhsa_user_sgpr_dispatch_ptr 0
		.amdhsa_user_sgpr_queue_ptr 0
		.amdhsa_user_sgpr_kernarg_segment_ptr 1
		.amdhsa_user_sgpr_dispatch_id 0
		.amdhsa_user_sgpr_flat_scratch_init 0
		.amdhsa_user_sgpr_private_segment_size 0
		.amdhsa_wavefront_size32 1
		.amdhsa_uses_dynamic_stack 0
		.amdhsa_system_sgpr_private_segment_wavefront_offset 0
		.amdhsa_system_sgpr_workgroup_id_x 1
		.amdhsa_system_sgpr_workgroup_id_y 0
		.amdhsa_system_sgpr_workgroup_id_z 0
		.amdhsa_system_sgpr_workgroup_info 0
		.amdhsa_system_vgpr_workitem_id 0
		.amdhsa_next_free_vgpr 1
		.amdhsa_next_free_sgpr 1
		.amdhsa_reserve_vcc 0
		.amdhsa_reserve_flat_scratch 0
		.amdhsa_float_round_mode_32 0
		.amdhsa_float_round_mode_16_64 0
		.amdhsa_float_denorm_mode_32 3
		.amdhsa_float_denorm_mode_16_64 3
		.amdhsa_dx10_clamp 1
		.amdhsa_ieee_mode 1
		.amdhsa_fp16_overflow 0
		.amdhsa_workgroup_processor_mode 1
		.amdhsa_memory_ordered 1
		.amdhsa_forward_progress 1
		.amdhsa_shared_vgpr_count 0
		.amdhsa_exception_fp_ieee_invalid_op 0
		.amdhsa_exception_fp_denorm_src 0
		.amdhsa_exception_fp_ieee_div_zero 0
		.amdhsa_exception_fp_ieee_overflow 0
		.amdhsa_exception_fp_ieee_underflow 0
		.amdhsa_exception_fp_ieee_inexact 0
		.amdhsa_exception_int_div_zero 0
	.end_amdhsa_kernel
	.section	.text._ZN7rocprim17ROCPRIM_400000_NS6detail17trampoline_kernelINS0_14default_configENS1_21merge_config_selectorINS0_5tupleIJttEEENS0_10empty_typeEEEZNS1_10merge_implIS3_NS0_12zip_iteratorINS5_IJN6thrust23THRUST_200600_302600_NS6detail15normal_iteratorINSC_10device_ptrIKtEEEESI_EEEEESK_NSA_INS5_IJNSC_16discard_iteratorINSC_11use_defaultEEESN_EEEEEPS7_SQ_SQ_NSC_11hip_rocprim7__merge17predicate_wrapperIttNSC_4lessItEEEEEE10hipError_tPvRmT0_T1_T2_T3_T4_T5_mmT6_P12ihipStream_tbEUlT_E_NS1_11comp_targetILNS1_3genE5ELNS1_11target_archE942ELNS1_3gpuE9ELNS1_3repE0EEENS1_30default_config_static_selectorELNS0_4arch9wavefront6targetE0EEEvS11_,"axG",@progbits,_ZN7rocprim17ROCPRIM_400000_NS6detail17trampoline_kernelINS0_14default_configENS1_21merge_config_selectorINS0_5tupleIJttEEENS0_10empty_typeEEEZNS1_10merge_implIS3_NS0_12zip_iteratorINS5_IJN6thrust23THRUST_200600_302600_NS6detail15normal_iteratorINSC_10device_ptrIKtEEEESI_EEEEESK_NSA_INS5_IJNSC_16discard_iteratorINSC_11use_defaultEEESN_EEEEEPS7_SQ_SQ_NSC_11hip_rocprim7__merge17predicate_wrapperIttNSC_4lessItEEEEEE10hipError_tPvRmT0_T1_T2_T3_T4_T5_mmT6_P12ihipStream_tbEUlT_E_NS1_11comp_targetILNS1_3genE5ELNS1_11target_archE942ELNS1_3gpuE9ELNS1_3repE0EEENS1_30default_config_static_selectorELNS0_4arch9wavefront6targetE0EEEvS11_,comdat
.Lfunc_end552:
	.size	_ZN7rocprim17ROCPRIM_400000_NS6detail17trampoline_kernelINS0_14default_configENS1_21merge_config_selectorINS0_5tupleIJttEEENS0_10empty_typeEEEZNS1_10merge_implIS3_NS0_12zip_iteratorINS5_IJN6thrust23THRUST_200600_302600_NS6detail15normal_iteratorINSC_10device_ptrIKtEEEESI_EEEEESK_NSA_INS5_IJNSC_16discard_iteratorINSC_11use_defaultEEESN_EEEEEPS7_SQ_SQ_NSC_11hip_rocprim7__merge17predicate_wrapperIttNSC_4lessItEEEEEE10hipError_tPvRmT0_T1_T2_T3_T4_T5_mmT6_P12ihipStream_tbEUlT_E_NS1_11comp_targetILNS1_3genE5ELNS1_11target_archE942ELNS1_3gpuE9ELNS1_3repE0EEENS1_30default_config_static_selectorELNS0_4arch9wavefront6targetE0EEEvS11_, .Lfunc_end552-_ZN7rocprim17ROCPRIM_400000_NS6detail17trampoline_kernelINS0_14default_configENS1_21merge_config_selectorINS0_5tupleIJttEEENS0_10empty_typeEEEZNS1_10merge_implIS3_NS0_12zip_iteratorINS5_IJN6thrust23THRUST_200600_302600_NS6detail15normal_iteratorINSC_10device_ptrIKtEEEESI_EEEEESK_NSA_INS5_IJNSC_16discard_iteratorINSC_11use_defaultEEESN_EEEEEPS7_SQ_SQ_NSC_11hip_rocprim7__merge17predicate_wrapperIttNSC_4lessItEEEEEE10hipError_tPvRmT0_T1_T2_T3_T4_T5_mmT6_P12ihipStream_tbEUlT_E_NS1_11comp_targetILNS1_3genE5ELNS1_11target_archE942ELNS1_3gpuE9ELNS1_3repE0EEENS1_30default_config_static_selectorELNS0_4arch9wavefront6targetE0EEEvS11_
                                        ; -- End function
	.set _ZN7rocprim17ROCPRIM_400000_NS6detail17trampoline_kernelINS0_14default_configENS1_21merge_config_selectorINS0_5tupleIJttEEENS0_10empty_typeEEEZNS1_10merge_implIS3_NS0_12zip_iteratorINS5_IJN6thrust23THRUST_200600_302600_NS6detail15normal_iteratorINSC_10device_ptrIKtEEEESI_EEEEESK_NSA_INS5_IJNSC_16discard_iteratorINSC_11use_defaultEEESN_EEEEEPS7_SQ_SQ_NSC_11hip_rocprim7__merge17predicate_wrapperIttNSC_4lessItEEEEEE10hipError_tPvRmT0_T1_T2_T3_T4_T5_mmT6_P12ihipStream_tbEUlT_E_NS1_11comp_targetILNS1_3genE5ELNS1_11target_archE942ELNS1_3gpuE9ELNS1_3repE0EEENS1_30default_config_static_selectorELNS0_4arch9wavefront6targetE0EEEvS11_.num_vgpr, 0
	.set _ZN7rocprim17ROCPRIM_400000_NS6detail17trampoline_kernelINS0_14default_configENS1_21merge_config_selectorINS0_5tupleIJttEEENS0_10empty_typeEEEZNS1_10merge_implIS3_NS0_12zip_iteratorINS5_IJN6thrust23THRUST_200600_302600_NS6detail15normal_iteratorINSC_10device_ptrIKtEEEESI_EEEEESK_NSA_INS5_IJNSC_16discard_iteratorINSC_11use_defaultEEESN_EEEEEPS7_SQ_SQ_NSC_11hip_rocprim7__merge17predicate_wrapperIttNSC_4lessItEEEEEE10hipError_tPvRmT0_T1_T2_T3_T4_T5_mmT6_P12ihipStream_tbEUlT_E_NS1_11comp_targetILNS1_3genE5ELNS1_11target_archE942ELNS1_3gpuE9ELNS1_3repE0EEENS1_30default_config_static_selectorELNS0_4arch9wavefront6targetE0EEEvS11_.num_agpr, 0
	.set _ZN7rocprim17ROCPRIM_400000_NS6detail17trampoline_kernelINS0_14default_configENS1_21merge_config_selectorINS0_5tupleIJttEEENS0_10empty_typeEEEZNS1_10merge_implIS3_NS0_12zip_iteratorINS5_IJN6thrust23THRUST_200600_302600_NS6detail15normal_iteratorINSC_10device_ptrIKtEEEESI_EEEEESK_NSA_INS5_IJNSC_16discard_iteratorINSC_11use_defaultEEESN_EEEEEPS7_SQ_SQ_NSC_11hip_rocprim7__merge17predicate_wrapperIttNSC_4lessItEEEEEE10hipError_tPvRmT0_T1_T2_T3_T4_T5_mmT6_P12ihipStream_tbEUlT_E_NS1_11comp_targetILNS1_3genE5ELNS1_11target_archE942ELNS1_3gpuE9ELNS1_3repE0EEENS1_30default_config_static_selectorELNS0_4arch9wavefront6targetE0EEEvS11_.numbered_sgpr, 0
	.set _ZN7rocprim17ROCPRIM_400000_NS6detail17trampoline_kernelINS0_14default_configENS1_21merge_config_selectorINS0_5tupleIJttEEENS0_10empty_typeEEEZNS1_10merge_implIS3_NS0_12zip_iteratorINS5_IJN6thrust23THRUST_200600_302600_NS6detail15normal_iteratorINSC_10device_ptrIKtEEEESI_EEEEESK_NSA_INS5_IJNSC_16discard_iteratorINSC_11use_defaultEEESN_EEEEEPS7_SQ_SQ_NSC_11hip_rocprim7__merge17predicate_wrapperIttNSC_4lessItEEEEEE10hipError_tPvRmT0_T1_T2_T3_T4_T5_mmT6_P12ihipStream_tbEUlT_E_NS1_11comp_targetILNS1_3genE5ELNS1_11target_archE942ELNS1_3gpuE9ELNS1_3repE0EEENS1_30default_config_static_selectorELNS0_4arch9wavefront6targetE0EEEvS11_.num_named_barrier, 0
	.set _ZN7rocprim17ROCPRIM_400000_NS6detail17trampoline_kernelINS0_14default_configENS1_21merge_config_selectorINS0_5tupleIJttEEENS0_10empty_typeEEEZNS1_10merge_implIS3_NS0_12zip_iteratorINS5_IJN6thrust23THRUST_200600_302600_NS6detail15normal_iteratorINSC_10device_ptrIKtEEEESI_EEEEESK_NSA_INS5_IJNSC_16discard_iteratorINSC_11use_defaultEEESN_EEEEEPS7_SQ_SQ_NSC_11hip_rocprim7__merge17predicate_wrapperIttNSC_4lessItEEEEEE10hipError_tPvRmT0_T1_T2_T3_T4_T5_mmT6_P12ihipStream_tbEUlT_E_NS1_11comp_targetILNS1_3genE5ELNS1_11target_archE942ELNS1_3gpuE9ELNS1_3repE0EEENS1_30default_config_static_selectorELNS0_4arch9wavefront6targetE0EEEvS11_.private_seg_size, 0
	.set _ZN7rocprim17ROCPRIM_400000_NS6detail17trampoline_kernelINS0_14default_configENS1_21merge_config_selectorINS0_5tupleIJttEEENS0_10empty_typeEEEZNS1_10merge_implIS3_NS0_12zip_iteratorINS5_IJN6thrust23THRUST_200600_302600_NS6detail15normal_iteratorINSC_10device_ptrIKtEEEESI_EEEEESK_NSA_INS5_IJNSC_16discard_iteratorINSC_11use_defaultEEESN_EEEEEPS7_SQ_SQ_NSC_11hip_rocprim7__merge17predicate_wrapperIttNSC_4lessItEEEEEE10hipError_tPvRmT0_T1_T2_T3_T4_T5_mmT6_P12ihipStream_tbEUlT_E_NS1_11comp_targetILNS1_3genE5ELNS1_11target_archE942ELNS1_3gpuE9ELNS1_3repE0EEENS1_30default_config_static_selectorELNS0_4arch9wavefront6targetE0EEEvS11_.uses_vcc, 0
	.set _ZN7rocprim17ROCPRIM_400000_NS6detail17trampoline_kernelINS0_14default_configENS1_21merge_config_selectorINS0_5tupleIJttEEENS0_10empty_typeEEEZNS1_10merge_implIS3_NS0_12zip_iteratorINS5_IJN6thrust23THRUST_200600_302600_NS6detail15normal_iteratorINSC_10device_ptrIKtEEEESI_EEEEESK_NSA_INS5_IJNSC_16discard_iteratorINSC_11use_defaultEEESN_EEEEEPS7_SQ_SQ_NSC_11hip_rocprim7__merge17predicate_wrapperIttNSC_4lessItEEEEEE10hipError_tPvRmT0_T1_T2_T3_T4_T5_mmT6_P12ihipStream_tbEUlT_E_NS1_11comp_targetILNS1_3genE5ELNS1_11target_archE942ELNS1_3gpuE9ELNS1_3repE0EEENS1_30default_config_static_selectorELNS0_4arch9wavefront6targetE0EEEvS11_.uses_flat_scratch, 0
	.set _ZN7rocprim17ROCPRIM_400000_NS6detail17trampoline_kernelINS0_14default_configENS1_21merge_config_selectorINS0_5tupleIJttEEENS0_10empty_typeEEEZNS1_10merge_implIS3_NS0_12zip_iteratorINS5_IJN6thrust23THRUST_200600_302600_NS6detail15normal_iteratorINSC_10device_ptrIKtEEEESI_EEEEESK_NSA_INS5_IJNSC_16discard_iteratorINSC_11use_defaultEEESN_EEEEEPS7_SQ_SQ_NSC_11hip_rocprim7__merge17predicate_wrapperIttNSC_4lessItEEEEEE10hipError_tPvRmT0_T1_T2_T3_T4_T5_mmT6_P12ihipStream_tbEUlT_E_NS1_11comp_targetILNS1_3genE5ELNS1_11target_archE942ELNS1_3gpuE9ELNS1_3repE0EEENS1_30default_config_static_selectorELNS0_4arch9wavefront6targetE0EEEvS11_.has_dyn_sized_stack, 0
	.set _ZN7rocprim17ROCPRIM_400000_NS6detail17trampoline_kernelINS0_14default_configENS1_21merge_config_selectorINS0_5tupleIJttEEENS0_10empty_typeEEEZNS1_10merge_implIS3_NS0_12zip_iteratorINS5_IJN6thrust23THRUST_200600_302600_NS6detail15normal_iteratorINSC_10device_ptrIKtEEEESI_EEEEESK_NSA_INS5_IJNSC_16discard_iteratorINSC_11use_defaultEEESN_EEEEEPS7_SQ_SQ_NSC_11hip_rocprim7__merge17predicate_wrapperIttNSC_4lessItEEEEEE10hipError_tPvRmT0_T1_T2_T3_T4_T5_mmT6_P12ihipStream_tbEUlT_E_NS1_11comp_targetILNS1_3genE5ELNS1_11target_archE942ELNS1_3gpuE9ELNS1_3repE0EEENS1_30default_config_static_selectorELNS0_4arch9wavefront6targetE0EEEvS11_.has_recursion, 0
	.set _ZN7rocprim17ROCPRIM_400000_NS6detail17trampoline_kernelINS0_14default_configENS1_21merge_config_selectorINS0_5tupleIJttEEENS0_10empty_typeEEEZNS1_10merge_implIS3_NS0_12zip_iteratorINS5_IJN6thrust23THRUST_200600_302600_NS6detail15normal_iteratorINSC_10device_ptrIKtEEEESI_EEEEESK_NSA_INS5_IJNSC_16discard_iteratorINSC_11use_defaultEEESN_EEEEEPS7_SQ_SQ_NSC_11hip_rocprim7__merge17predicate_wrapperIttNSC_4lessItEEEEEE10hipError_tPvRmT0_T1_T2_T3_T4_T5_mmT6_P12ihipStream_tbEUlT_E_NS1_11comp_targetILNS1_3genE5ELNS1_11target_archE942ELNS1_3gpuE9ELNS1_3repE0EEENS1_30default_config_static_selectorELNS0_4arch9wavefront6targetE0EEEvS11_.has_indirect_call, 0
	.section	.AMDGPU.csdata,"",@progbits
; Kernel info:
; codeLenInByte = 0
; TotalNumSgprs: 0
; NumVgprs: 0
; ScratchSize: 0
; MemoryBound: 0
; FloatMode: 240
; IeeeMode: 1
; LDSByteSize: 0 bytes/workgroup (compile time only)
; SGPRBlocks: 0
; VGPRBlocks: 0
; NumSGPRsForWavesPerEU: 1
; NumVGPRsForWavesPerEU: 1
; Occupancy: 16
; WaveLimiterHint : 0
; COMPUTE_PGM_RSRC2:SCRATCH_EN: 0
; COMPUTE_PGM_RSRC2:USER_SGPR: 6
; COMPUTE_PGM_RSRC2:TRAP_HANDLER: 0
; COMPUTE_PGM_RSRC2:TGID_X_EN: 1
; COMPUTE_PGM_RSRC2:TGID_Y_EN: 0
; COMPUTE_PGM_RSRC2:TGID_Z_EN: 0
; COMPUTE_PGM_RSRC2:TIDIG_COMP_CNT: 0
	.section	.text._ZN7rocprim17ROCPRIM_400000_NS6detail17trampoline_kernelINS0_14default_configENS1_21merge_config_selectorINS0_5tupleIJttEEENS0_10empty_typeEEEZNS1_10merge_implIS3_NS0_12zip_iteratorINS5_IJN6thrust23THRUST_200600_302600_NS6detail15normal_iteratorINSC_10device_ptrIKtEEEESI_EEEEESK_NSA_INS5_IJNSC_16discard_iteratorINSC_11use_defaultEEESN_EEEEEPS7_SQ_SQ_NSC_11hip_rocprim7__merge17predicate_wrapperIttNSC_4lessItEEEEEE10hipError_tPvRmT0_T1_T2_T3_T4_T5_mmT6_P12ihipStream_tbEUlT_E_NS1_11comp_targetILNS1_3genE4ELNS1_11target_archE910ELNS1_3gpuE8ELNS1_3repE0EEENS1_30default_config_static_selectorELNS0_4arch9wavefront6targetE0EEEvS11_,"axG",@progbits,_ZN7rocprim17ROCPRIM_400000_NS6detail17trampoline_kernelINS0_14default_configENS1_21merge_config_selectorINS0_5tupleIJttEEENS0_10empty_typeEEEZNS1_10merge_implIS3_NS0_12zip_iteratorINS5_IJN6thrust23THRUST_200600_302600_NS6detail15normal_iteratorINSC_10device_ptrIKtEEEESI_EEEEESK_NSA_INS5_IJNSC_16discard_iteratorINSC_11use_defaultEEESN_EEEEEPS7_SQ_SQ_NSC_11hip_rocprim7__merge17predicate_wrapperIttNSC_4lessItEEEEEE10hipError_tPvRmT0_T1_T2_T3_T4_T5_mmT6_P12ihipStream_tbEUlT_E_NS1_11comp_targetILNS1_3genE4ELNS1_11target_archE910ELNS1_3gpuE8ELNS1_3repE0EEENS1_30default_config_static_selectorELNS0_4arch9wavefront6targetE0EEEvS11_,comdat
	.protected	_ZN7rocprim17ROCPRIM_400000_NS6detail17trampoline_kernelINS0_14default_configENS1_21merge_config_selectorINS0_5tupleIJttEEENS0_10empty_typeEEEZNS1_10merge_implIS3_NS0_12zip_iteratorINS5_IJN6thrust23THRUST_200600_302600_NS6detail15normal_iteratorINSC_10device_ptrIKtEEEESI_EEEEESK_NSA_INS5_IJNSC_16discard_iteratorINSC_11use_defaultEEESN_EEEEEPS7_SQ_SQ_NSC_11hip_rocprim7__merge17predicate_wrapperIttNSC_4lessItEEEEEE10hipError_tPvRmT0_T1_T2_T3_T4_T5_mmT6_P12ihipStream_tbEUlT_E_NS1_11comp_targetILNS1_3genE4ELNS1_11target_archE910ELNS1_3gpuE8ELNS1_3repE0EEENS1_30default_config_static_selectorELNS0_4arch9wavefront6targetE0EEEvS11_ ; -- Begin function _ZN7rocprim17ROCPRIM_400000_NS6detail17trampoline_kernelINS0_14default_configENS1_21merge_config_selectorINS0_5tupleIJttEEENS0_10empty_typeEEEZNS1_10merge_implIS3_NS0_12zip_iteratorINS5_IJN6thrust23THRUST_200600_302600_NS6detail15normal_iteratorINSC_10device_ptrIKtEEEESI_EEEEESK_NSA_INS5_IJNSC_16discard_iteratorINSC_11use_defaultEEESN_EEEEEPS7_SQ_SQ_NSC_11hip_rocprim7__merge17predicate_wrapperIttNSC_4lessItEEEEEE10hipError_tPvRmT0_T1_T2_T3_T4_T5_mmT6_P12ihipStream_tbEUlT_E_NS1_11comp_targetILNS1_3genE4ELNS1_11target_archE910ELNS1_3gpuE8ELNS1_3repE0EEENS1_30default_config_static_selectorELNS0_4arch9wavefront6targetE0EEEvS11_
	.globl	_ZN7rocprim17ROCPRIM_400000_NS6detail17trampoline_kernelINS0_14default_configENS1_21merge_config_selectorINS0_5tupleIJttEEENS0_10empty_typeEEEZNS1_10merge_implIS3_NS0_12zip_iteratorINS5_IJN6thrust23THRUST_200600_302600_NS6detail15normal_iteratorINSC_10device_ptrIKtEEEESI_EEEEESK_NSA_INS5_IJNSC_16discard_iteratorINSC_11use_defaultEEESN_EEEEEPS7_SQ_SQ_NSC_11hip_rocprim7__merge17predicate_wrapperIttNSC_4lessItEEEEEE10hipError_tPvRmT0_T1_T2_T3_T4_T5_mmT6_P12ihipStream_tbEUlT_E_NS1_11comp_targetILNS1_3genE4ELNS1_11target_archE910ELNS1_3gpuE8ELNS1_3repE0EEENS1_30default_config_static_selectorELNS0_4arch9wavefront6targetE0EEEvS11_
	.p2align	8
	.type	_ZN7rocprim17ROCPRIM_400000_NS6detail17trampoline_kernelINS0_14default_configENS1_21merge_config_selectorINS0_5tupleIJttEEENS0_10empty_typeEEEZNS1_10merge_implIS3_NS0_12zip_iteratorINS5_IJN6thrust23THRUST_200600_302600_NS6detail15normal_iteratorINSC_10device_ptrIKtEEEESI_EEEEESK_NSA_INS5_IJNSC_16discard_iteratorINSC_11use_defaultEEESN_EEEEEPS7_SQ_SQ_NSC_11hip_rocprim7__merge17predicate_wrapperIttNSC_4lessItEEEEEE10hipError_tPvRmT0_T1_T2_T3_T4_T5_mmT6_P12ihipStream_tbEUlT_E_NS1_11comp_targetILNS1_3genE4ELNS1_11target_archE910ELNS1_3gpuE8ELNS1_3repE0EEENS1_30default_config_static_selectorELNS0_4arch9wavefront6targetE0EEEvS11_,@function
_ZN7rocprim17ROCPRIM_400000_NS6detail17trampoline_kernelINS0_14default_configENS1_21merge_config_selectorINS0_5tupleIJttEEENS0_10empty_typeEEEZNS1_10merge_implIS3_NS0_12zip_iteratorINS5_IJN6thrust23THRUST_200600_302600_NS6detail15normal_iteratorINSC_10device_ptrIKtEEEESI_EEEEESK_NSA_INS5_IJNSC_16discard_iteratorINSC_11use_defaultEEESN_EEEEEPS7_SQ_SQ_NSC_11hip_rocprim7__merge17predicate_wrapperIttNSC_4lessItEEEEEE10hipError_tPvRmT0_T1_T2_T3_T4_T5_mmT6_P12ihipStream_tbEUlT_E_NS1_11comp_targetILNS1_3genE4ELNS1_11target_archE910ELNS1_3gpuE8ELNS1_3repE0EEENS1_30default_config_static_selectorELNS0_4arch9wavefront6targetE0EEEvS11_: ; @_ZN7rocprim17ROCPRIM_400000_NS6detail17trampoline_kernelINS0_14default_configENS1_21merge_config_selectorINS0_5tupleIJttEEENS0_10empty_typeEEEZNS1_10merge_implIS3_NS0_12zip_iteratorINS5_IJN6thrust23THRUST_200600_302600_NS6detail15normal_iteratorINSC_10device_ptrIKtEEEESI_EEEEESK_NSA_INS5_IJNSC_16discard_iteratorINSC_11use_defaultEEESN_EEEEEPS7_SQ_SQ_NSC_11hip_rocprim7__merge17predicate_wrapperIttNSC_4lessItEEEEEE10hipError_tPvRmT0_T1_T2_T3_T4_T5_mmT6_P12ihipStream_tbEUlT_E_NS1_11comp_targetILNS1_3genE4ELNS1_11target_archE910ELNS1_3gpuE8ELNS1_3repE0EEENS1_30default_config_static_selectorELNS0_4arch9wavefront6targetE0EEEvS11_
; %bb.0:
	.section	.rodata,"a",@progbits
	.p2align	6, 0x0
	.amdhsa_kernel _ZN7rocprim17ROCPRIM_400000_NS6detail17trampoline_kernelINS0_14default_configENS1_21merge_config_selectorINS0_5tupleIJttEEENS0_10empty_typeEEEZNS1_10merge_implIS3_NS0_12zip_iteratorINS5_IJN6thrust23THRUST_200600_302600_NS6detail15normal_iteratorINSC_10device_ptrIKtEEEESI_EEEEESK_NSA_INS5_IJNSC_16discard_iteratorINSC_11use_defaultEEESN_EEEEEPS7_SQ_SQ_NSC_11hip_rocprim7__merge17predicate_wrapperIttNSC_4lessItEEEEEE10hipError_tPvRmT0_T1_T2_T3_T4_T5_mmT6_P12ihipStream_tbEUlT_E_NS1_11comp_targetILNS1_3genE4ELNS1_11target_archE910ELNS1_3gpuE8ELNS1_3repE0EEENS1_30default_config_static_selectorELNS0_4arch9wavefront6targetE0EEEvS11_
		.amdhsa_group_segment_fixed_size 0
		.amdhsa_private_segment_fixed_size 0
		.amdhsa_kernarg_size 64
		.amdhsa_user_sgpr_count 6
		.amdhsa_user_sgpr_private_segment_buffer 1
		.amdhsa_user_sgpr_dispatch_ptr 0
		.amdhsa_user_sgpr_queue_ptr 0
		.amdhsa_user_sgpr_kernarg_segment_ptr 1
		.amdhsa_user_sgpr_dispatch_id 0
		.amdhsa_user_sgpr_flat_scratch_init 0
		.amdhsa_user_sgpr_private_segment_size 0
		.amdhsa_wavefront_size32 1
		.amdhsa_uses_dynamic_stack 0
		.amdhsa_system_sgpr_private_segment_wavefront_offset 0
		.amdhsa_system_sgpr_workgroup_id_x 1
		.amdhsa_system_sgpr_workgroup_id_y 0
		.amdhsa_system_sgpr_workgroup_id_z 0
		.amdhsa_system_sgpr_workgroup_info 0
		.amdhsa_system_vgpr_workitem_id 0
		.amdhsa_next_free_vgpr 1
		.amdhsa_next_free_sgpr 1
		.amdhsa_reserve_vcc 0
		.amdhsa_reserve_flat_scratch 0
		.amdhsa_float_round_mode_32 0
		.amdhsa_float_round_mode_16_64 0
		.amdhsa_float_denorm_mode_32 3
		.amdhsa_float_denorm_mode_16_64 3
		.amdhsa_dx10_clamp 1
		.amdhsa_ieee_mode 1
		.amdhsa_fp16_overflow 0
		.amdhsa_workgroup_processor_mode 1
		.amdhsa_memory_ordered 1
		.amdhsa_forward_progress 1
		.amdhsa_shared_vgpr_count 0
		.amdhsa_exception_fp_ieee_invalid_op 0
		.amdhsa_exception_fp_denorm_src 0
		.amdhsa_exception_fp_ieee_div_zero 0
		.amdhsa_exception_fp_ieee_overflow 0
		.amdhsa_exception_fp_ieee_underflow 0
		.amdhsa_exception_fp_ieee_inexact 0
		.amdhsa_exception_int_div_zero 0
	.end_amdhsa_kernel
	.section	.text._ZN7rocprim17ROCPRIM_400000_NS6detail17trampoline_kernelINS0_14default_configENS1_21merge_config_selectorINS0_5tupleIJttEEENS0_10empty_typeEEEZNS1_10merge_implIS3_NS0_12zip_iteratorINS5_IJN6thrust23THRUST_200600_302600_NS6detail15normal_iteratorINSC_10device_ptrIKtEEEESI_EEEEESK_NSA_INS5_IJNSC_16discard_iteratorINSC_11use_defaultEEESN_EEEEEPS7_SQ_SQ_NSC_11hip_rocprim7__merge17predicate_wrapperIttNSC_4lessItEEEEEE10hipError_tPvRmT0_T1_T2_T3_T4_T5_mmT6_P12ihipStream_tbEUlT_E_NS1_11comp_targetILNS1_3genE4ELNS1_11target_archE910ELNS1_3gpuE8ELNS1_3repE0EEENS1_30default_config_static_selectorELNS0_4arch9wavefront6targetE0EEEvS11_,"axG",@progbits,_ZN7rocprim17ROCPRIM_400000_NS6detail17trampoline_kernelINS0_14default_configENS1_21merge_config_selectorINS0_5tupleIJttEEENS0_10empty_typeEEEZNS1_10merge_implIS3_NS0_12zip_iteratorINS5_IJN6thrust23THRUST_200600_302600_NS6detail15normal_iteratorINSC_10device_ptrIKtEEEESI_EEEEESK_NSA_INS5_IJNSC_16discard_iteratorINSC_11use_defaultEEESN_EEEEEPS7_SQ_SQ_NSC_11hip_rocprim7__merge17predicate_wrapperIttNSC_4lessItEEEEEE10hipError_tPvRmT0_T1_T2_T3_T4_T5_mmT6_P12ihipStream_tbEUlT_E_NS1_11comp_targetILNS1_3genE4ELNS1_11target_archE910ELNS1_3gpuE8ELNS1_3repE0EEENS1_30default_config_static_selectorELNS0_4arch9wavefront6targetE0EEEvS11_,comdat
.Lfunc_end553:
	.size	_ZN7rocprim17ROCPRIM_400000_NS6detail17trampoline_kernelINS0_14default_configENS1_21merge_config_selectorINS0_5tupleIJttEEENS0_10empty_typeEEEZNS1_10merge_implIS3_NS0_12zip_iteratorINS5_IJN6thrust23THRUST_200600_302600_NS6detail15normal_iteratorINSC_10device_ptrIKtEEEESI_EEEEESK_NSA_INS5_IJNSC_16discard_iteratorINSC_11use_defaultEEESN_EEEEEPS7_SQ_SQ_NSC_11hip_rocprim7__merge17predicate_wrapperIttNSC_4lessItEEEEEE10hipError_tPvRmT0_T1_T2_T3_T4_T5_mmT6_P12ihipStream_tbEUlT_E_NS1_11comp_targetILNS1_3genE4ELNS1_11target_archE910ELNS1_3gpuE8ELNS1_3repE0EEENS1_30default_config_static_selectorELNS0_4arch9wavefront6targetE0EEEvS11_, .Lfunc_end553-_ZN7rocprim17ROCPRIM_400000_NS6detail17trampoline_kernelINS0_14default_configENS1_21merge_config_selectorINS0_5tupleIJttEEENS0_10empty_typeEEEZNS1_10merge_implIS3_NS0_12zip_iteratorINS5_IJN6thrust23THRUST_200600_302600_NS6detail15normal_iteratorINSC_10device_ptrIKtEEEESI_EEEEESK_NSA_INS5_IJNSC_16discard_iteratorINSC_11use_defaultEEESN_EEEEEPS7_SQ_SQ_NSC_11hip_rocprim7__merge17predicate_wrapperIttNSC_4lessItEEEEEE10hipError_tPvRmT0_T1_T2_T3_T4_T5_mmT6_P12ihipStream_tbEUlT_E_NS1_11comp_targetILNS1_3genE4ELNS1_11target_archE910ELNS1_3gpuE8ELNS1_3repE0EEENS1_30default_config_static_selectorELNS0_4arch9wavefront6targetE0EEEvS11_
                                        ; -- End function
	.set _ZN7rocprim17ROCPRIM_400000_NS6detail17trampoline_kernelINS0_14default_configENS1_21merge_config_selectorINS0_5tupleIJttEEENS0_10empty_typeEEEZNS1_10merge_implIS3_NS0_12zip_iteratorINS5_IJN6thrust23THRUST_200600_302600_NS6detail15normal_iteratorINSC_10device_ptrIKtEEEESI_EEEEESK_NSA_INS5_IJNSC_16discard_iteratorINSC_11use_defaultEEESN_EEEEEPS7_SQ_SQ_NSC_11hip_rocprim7__merge17predicate_wrapperIttNSC_4lessItEEEEEE10hipError_tPvRmT0_T1_T2_T3_T4_T5_mmT6_P12ihipStream_tbEUlT_E_NS1_11comp_targetILNS1_3genE4ELNS1_11target_archE910ELNS1_3gpuE8ELNS1_3repE0EEENS1_30default_config_static_selectorELNS0_4arch9wavefront6targetE0EEEvS11_.num_vgpr, 0
	.set _ZN7rocprim17ROCPRIM_400000_NS6detail17trampoline_kernelINS0_14default_configENS1_21merge_config_selectorINS0_5tupleIJttEEENS0_10empty_typeEEEZNS1_10merge_implIS3_NS0_12zip_iteratorINS5_IJN6thrust23THRUST_200600_302600_NS6detail15normal_iteratorINSC_10device_ptrIKtEEEESI_EEEEESK_NSA_INS5_IJNSC_16discard_iteratorINSC_11use_defaultEEESN_EEEEEPS7_SQ_SQ_NSC_11hip_rocprim7__merge17predicate_wrapperIttNSC_4lessItEEEEEE10hipError_tPvRmT0_T1_T2_T3_T4_T5_mmT6_P12ihipStream_tbEUlT_E_NS1_11comp_targetILNS1_3genE4ELNS1_11target_archE910ELNS1_3gpuE8ELNS1_3repE0EEENS1_30default_config_static_selectorELNS0_4arch9wavefront6targetE0EEEvS11_.num_agpr, 0
	.set _ZN7rocprim17ROCPRIM_400000_NS6detail17trampoline_kernelINS0_14default_configENS1_21merge_config_selectorINS0_5tupleIJttEEENS0_10empty_typeEEEZNS1_10merge_implIS3_NS0_12zip_iteratorINS5_IJN6thrust23THRUST_200600_302600_NS6detail15normal_iteratorINSC_10device_ptrIKtEEEESI_EEEEESK_NSA_INS5_IJNSC_16discard_iteratorINSC_11use_defaultEEESN_EEEEEPS7_SQ_SQ_NSC_11hip_rocprim7__merge17predicate_wrapperIttNSC_4lessItEEEEEE10hipError_tPvRmT0_T1_T2_T3_T4_T5_mmT6_P12ihipStream_tbEUlT_E_NS1_11comp_targetILNS1_3genE4ELNS1_11target_archE910ELNS1_3gpuE8ELNS1_3repE0EEENS1_30default_config_static_selectorELNS0_4arch9wavefront6targetE0EEEvS11_.numbered_sgpr, 0
	.set _ZN7rocprim17ROCPRIM_400000_NS6detail17trampoline_kernelINS0_14default_configENS1_21merge_config_selectorINS0_5tupleIJttEEENS0_10empty_typeEEEZNS1_10merge_implIS3_NS0_12zip_iteratorINS5_IJN6thrust23THRUST_200600_302600_NS6detail15normal_iteratorINSC_10device_ptrIKtEEEESI_EEEEESK_NSA_INS5_IJNSC_16discard_iteratorINSC_11use_defaultEEESN_EEEEEPS7_SQ_SQ_NSC_11hip_rocprim7__merge17predicate_wrapperIttNSC_4lessItEEEEEE10hipError_tPvRmT0_T1_T2_T3_T4_T5_mmT6_P12ihipStream_tbEUlT_E_NS1_11comp_targetILNS1_3genE4ELNS1_11target_archE910ELNS1_3gpuE8ELNS1_3repE0EEENS1_30default_config_static_selectorELNS0_4arch9wavefront6targetE0EEEvS11_.num_named_barrier, 0
	.set _ZN7rocprim17ROCPRIM_400000_NS6detail17trampoline_kernelINS0_14default_configENS1_21merge_config_selectorINS0_5tupleIJttEEENS0_10empty_typeEEEZNS1_10merge_implIS3_NS0_12zip_iteratorINS5_IJN6thrust23THRUST_200600_302600_NS6detail15normal_iteratorINSC_10device_ptrIKtEEEESI_EEEEESK_NSA_INS5_IJNSC_16discard_iteratorINSC_11use_defaultEEESN_EEEEEPS7_SQ_SQ_NSC_11hip_rocprim7__merge17predicate_wrapperIttNSC_4lessItEEEEEE10hipError_tPvRmT0_T1_T2_T3_T4_T5_mmT6_P12ihipStream_tbEUlT_E_NS1_11comp_targetILNS1_3genE4ELNS1_11target_archE910ELNS1_3gpuE8ELNS1_3repE0EEENS1_30default_config_static_selectorELNS0_4arch9wavefront6targetE0EEEvS11_.private_seg_size, 0
	.set _ZN7rocprim17ROCPRIM_400000_NS6detail17trampoline_kernelINS0_14default_configENS1_21merge_config_selectorINS0_5tupleIJttEEENS0_10empty_typeEEEZNS1_10merge_implIS3_NS0_12zip_iteratorINS5_IJN6thrust23THRUST_200600_302600_NS6detail15normal_iteratorINSC_10device_ptrIKtEEEESI_EEEEESK_NSA_INS5_IJNSC_16discard_iteratorINSC_11use_defaultEEESN_EEEEEPS7_SQ_SQ_NSC_11hip_rocprim7__merge17predicate_wrapperIttNSC_4lessItEEEEEE10hipError_tPvRmT0_T1_T2_T3_T4_T5_mmT6_P12ihipStream_tbEUlT_E_NS1_11comp_targetILNS1_3genE4ELNS1_11target_archE910ELNS1_3gpuE8ELNS1_3repE0EEENS1_30default_config_static_selectorELNS0_4arch9wavefront6targetE0EEEvS11_.uses_vcc, 0
	.set _ZN7rocprim17ROCPRIM_400000_NS6detail17trampoline_kernelINS0_14default_configENS1_21merge_config_selectorINS0_5tupleIJttEEENS0_10empty_typeEEEZNS1_10merge_implIS3_NS0_12zip_iteratorINS5_IJN6thrust23THRUST_200600_302600_NS6detail15normal_iteratorINSC_10device_ptrIKtEEEESI_EEEEESK_NSA_INS5_IJNSC_16discard_iteratorINSC_11use_defaultEEESN_EEEEEPS7_SQ_SQ_NSC_11hip_rocprim7__merge17predicate_wrapperIttNSC_4lessItEEEEEE10hipError_tPvRmT0_T1_T2_T3_T4_T5_mmT6_P12ihipStream_tbEUlT_E_NS1_11comp_targetILNS1_3genE4ELNS1_11target_archE910ELNS1_3gpuE8ELNS1_3repE0EEENS1_30default_config_static_selectorELNS0_4arch9wavefront6targetE0EEEvS11_.uses_flat_scratch, 0
	.set _ZN7rocprim17ROCPRIM_400000_NS6detail17trampoline_kernelINS0_14default_configENS1_21merge_config_selectorINS0_5tupleIJttEEENS0_10empty_typeEEEZNS1_10merge_implIS3_NS0_12zip_iteratorINS5_IJN6thrust23THRUST_200600_302600_NS6detail15normal_iteratorINSC_10device_ptrIKtEEEESI_EEEEESK_NSA_INS5_IJNSC_16discard_iteratorINSC_11use_defaultEEESN_EEEEEPS7_SQ_SQ_NSC_11hip_rocprim7__merge17predicate_wrapperIttNSC_4lessItEEEEEE10hipError_tPvRmT0_T1_T2_T3_T4_T5_mmT6_P12ihipStream_tbEUlT_E_NS1_11comp_targetILNS1_3genE4ELNS1_11target_archE910ELNS1_3gpuE8ELNS1_3repE0EEENS1_30default_config_static_selectorELNS0_4arch9wavefront6targetE0EEEvS11_.has_dyn_sized_stack, 0
	.set _ZN7rocprim17ROCPRIM_400000_NS6detail17trampoline_kernelINS0_14default_configENS1_21merge_config_selectorINS0_5tupleIJttEEENS0_10empty_typeEEEZNS1_10merge_implIS3_NS0_12zip_iteratorINS5_IJN6thrust23THRUST_200600_302600_NS6detail15normal_iteratorINSC_10device_ptrIKtEEEESI_EEEEESK_NSA_INS5_IJNSC_16discard_iteratorINSC_11use_defaultEEESN_EEEEEPS7_SQ_SQ_NSC_11hip_rocprim7__merge17predicate_wrapperIttNSC_4lessItEEEEEE10hipError_tPvRmT0_T1_T2_T3_T4_T5_mmT6_P12ihipStream_tbEUlT_E_NS1_11comp_targetILNS1_3genE4ELNS1_11target_archE910ELNS1_3gpuE8ELNS1_3repE0EEENS1_30default_config_static_selectorELNS0_4arch9wavefront6targetE0EEEvS11_.has_recursion, 0
	.set _ZN7rocprim17ROCPRIM_400000_NS6detail17trampoline_kernelINS0_14default_configENS1_21merge_config_selectorINS0_5tupleIJttEEENS0_10empty_typeEEEZNS1_10merge_implIS3_NS0_12zip_iteratorINS5_IJN6thrust23THRUST_200600_302600_NS6detail15normal_iteratorINSC_10device_ptrIKtEEEESI_EEEEESK_NSA_INS5_IJNSC_16discard_iteratorINSC_11use_defaultEEESN_EEEEEPS7_SQ_SQ_NSC_11hip_rocprim7__merge17predicate_wrapperIttNSC_4lessItEEEEEE10hipError_tPvRmT0_T1_T2_T3_T4_T5_mmT6_P12ihipStream_tbEUlT_E_NS1_11comp_targetILNS1_3genE4ELNS1_11target_archE910ELNS1_3gpuE8ELNS1_3repE0EEENS1_30default_config_static_selectorELNS0_4arch9wavefront6targetE0EEEvS11_.has_indirect_call, 0
	.section	.AMDGPU.csdata,"",@progbits
; Kernel info:
; codeLenInByte = 0
; TotalNumSgprs: 0
; NumVgprs: 0
; ScratchSize: 0
; MemoryBound: 0
; FloatMode: 240
; IeeeMode: 1
; LDSByteSize: 0 bytes/workgroup (compile time only)
; SGPRBlocks: 0
; VGPRBlocks: 0
; NumSGPRsForWavesPerEU: 1
; NumVGPRsForWavesPerEU: 1
; Occupancy: 16
; WaveLimiterHint : 0
; COMPUTE_PGM_RSRC2:SCRATCH_EN: 0
; COMPUTE_PGM_RSRC2:USER_SGPR: 6
; COMPUTE_PGM_RSRC2:TRAP_HANDLER: 0
; COMPUTE_PGM_RSRC2:TGID_X_EN: 1
; COMPUTE_PGM_RSRC2:TGID_Y_EN: 0
; COMPUTE_PGM_RSRC2:TGID_Z_EN: 0
; COMPUTE_PGM_RSRC2:TIDIG_COMP_CNT: 0
	.section	.text._ZN7rocprim17ROCPRIM_400000_NS6detail17trampoline_kernelINS0_14default_configENS1_21merge_config_selectorINS0_5tupleIJttEEENS0_10empty_typeEEEZNS1_10merge_implIS3_NS0_12zip_iteratorINS5_IJN6thrust23THRUST_200600_302600_NS6detail15normal_iteratorINSC_10device_ptrIKtEEEESI_EEEEESK_NSA_INS5_IJNSC_16discard_iteratorINSC_11use_defaultEEESN_EEEEEPS7_SQ_SQ_NSC_11hip_rocprim7__merge17predicate_wrapperIttNSC_4lessItEEEEEE10hipError_tPvRmT0_T1_T2_T3_T4_T5_mmT6_P12ihipStream_tbEUlT_E_NS1_11comp_targetILNS1_3genE3ELNS1_11target_archE908ELNS1_3gpuE7ELNS1_3repE0EEENS1_30default_config_static_selectorELNS0_4arch9wavefront6targetE0EEEvS11_,"axG",@progbits,_ZN7rocprim17ROCPRIM_400000_NS6detail17trampoline_kernelINS0_14default_configENS1_21merge_config_selectorINS0_5tupleIJttEEENS0_10empty_typeEEEZNS1_10merge_implIS3_NS0_12zip_iteratorINS5_IJN6thrust23THRUST_200600_302600_NS6detail15normal_iteratorINSC_10device_ptrIKtEEEESI_EEEEESK_NSA_INS5_IJNSC_16discard_iteratorINSC_11use_defaultEEESN_EEEEEPS7_SQ_SQ_NSC_11hip_rocprim7__merge17predicate_wrapperIttNSC_4lessItEEEEEE10hipError_tPvRmT0_T1_T2_T3_T4_T5_mmT6_P12ihipStream_tbEUlT_E_NS1_11comp_targetILNS1_3genE3ELNS1_11target_archE908ELNS1_3gpuE7ELNS1_3repE0EEENS1_30default_config_static_selectorELNS0_4arch9wavefront6targetE0EEEvS11_,comdat
	.protected	_ZN7rocprim17ROCPRIM_400000_NS6detail17trampoline_kernelINS0_14default_configENS1_21merge_config_selectorINS0_5tupleIJttEEENS0_10empty_typeEEEZNS1_10merge_implIS3_NS0_12zip_iteratorINS5_IJN6thrust23THRUST_200600_302600_NS6detail15normal_iteratorINSC_10device_ptrIKtEEEESI_EEEEESK_NSA_INS5_IJNSC_16discard_iteratorINSC_11use_defaultEEESN_EEEEEPS7_SQ_SQ_NSC_11hip_rocprim7__merge17predicate_wrapperIttNSC_4lessItEEEEEE10hipError_tPvRmT0_T1_T2_T3_T4_T5_mmT6_P12ihipStream_tbEUlT_E_NS1_11comp_targetILNS1_3genE3ELNS1_11target_archE908ELNS1_3gpuE7ELNS1_3repE0EEENS1_30default_config_static_selectorELNS0_4arch9wavefront6targetE0EEEvS11_ ; -- Begin function _ZN7rocprim17ROCPRIM_400000_NS6detail17trampoline_kernelINS0_14default_configENS1_21merge_config_selectorINS0_5tupleIJttEEENS0_10empty_typeEEEZNS1_10merge_implIS3_NS0_12zip_iteratorINS5_IJN6thrust23THRUST_200600_302600_NS6detail15normal_iteratorINSC_10device_ptrIKtEEEESI_EEEEESK_NSA_INS5_IJNSC_16discard_iteratorINSC_11use_defaultEEESN_EEEEEPS7_SQ_SQ_NSC_11hip_rocprim7__merge17predicate_wrapperIttNSC_4lessItEEEEEE10hipError_tPvRmT0_T1_T2_T3_T4_T5_mmT6_P12ihipStream_tbEUlT_E_NS1_11comp_targetILNS1_3genE3ELNS1_11target_archE908ELNS1_3gpuE7ELNS1_3repE0EEENS1_30default_config_static_selectorELNS0_4arch9wavefront6targetE0EEEvS11_
	.globl	_ZN7rocprim17ROCPRIM_400000_NS6detail17trampoline_kernelINS0_14default_configENS1_21merge_config_selectorINS0_5tupleIJttEEENS0_10empty_typeEEEZNS1_10merge_implIS3_NS0_12zip_iteratorINS5_IJN6thrust23THRUST_200600_302600_NS6detail15normal_iteratorINSC_10device_ptrIKtEEEESI_EEEEESK_NSA_INS5_IJNSC_16discard_iteratorINSC_11use_defaultEEESN_EEEEEPS7_SQ_SQ_NSC_11hip_rocprim7__merge17predicate_wrapperIttNSC_4lessItEEEEEE10hipError_tPvRmT0_T1_T2_T3_T4_T5_mmT6_P12ihipStream_tbEUlT_E_NS1_11comp_targetILNS1_3genE3ELNS1_11target_archE908ELNS1_3gpuE7ELNS1_3repE0EEENS1_30default_config_static_selectorELNS0_4arch9wavefront6targetE0EEEvS11_
	.p2align	8
	.type	_ZN7rocprim17ROCPRIM_400000_NS6detail17trampoline_kernelINS0_14default_configENS1_21merge_config_selectorINS0_5tupleIJttEEENS0_10empty_typeEEEZNS1_10merge_implIS3_NS0_12zip_iteratorINS5_IJN6thrust23THRUST_200600_302600_NS6detail15normal_iteratorINSC_10device_ptrIKtEEEESI_EEEEESK_NSA_INS5_IJNSC_16discard_iteratorINSC_11use_defaultEEESN_EEEEEPS7_SQ_SQ_NSC_11hip_rocprim7__merge17predicate_wrapperIttNSC_4lessItEEEEEE10hipError_tPvRmT0_T1_T2_T3_T4_T5_mmT6_P12ihipStream_tbEUlT_E_NS1_11comp_targetILNS1_3genE3ELNS1_11target_archE908ELNS1_3gpuE7ELNS1_3repE0EEENS1_30default_config_static_selectorELNS0_4arch9wavefront6targetE0EEEvS11_,@function
_ZN7rocprim17ROCPRIM_400000_NS6detail17trampoline_kernelINS0_14default_configENS1_21merge_config_selectorINS0_5tupleIJttEEENS0_10empty_typeEEEZNS1_10merge_implIS3_NS0_12zip_iteratorINS5_IJN6thrust23THRUST_200600_302600_NS6detail15normal_iteratorINSC_10device_ptrIKtEEEESI_EEEEESK_NSA_INS5_IJNSC_16discard_iteratorINSC_11use_defaultEEESN_EEEEEPS7_SQ_SQ_NSC_11hip_rocprim7__merge17predicate_wrapperIttNSC_4lessItEEEEEE10hipError_tPvRmT0_T1_T2_T3_T4_T5_mmT6_P12ihipStream_tbEUlT_E_NS1_11comp_targetILNS1_3genE3ELNS1_11target_archE908ELNS1_3gpuE7ELNS1_3repE0EEENS1_30default_config_static_selectorELNS0_4arch9wavefront6targetE0EEEvS11_: ; @_ZN7rocprim17ROCPRIM_400000_NS6detail17trampoline_kernelINS0_14default_configENS1_21merge_config_selectorINS0_5tupleIJttEEENS0_10empty_typeEEEZNS1_10merge_implIS3_NS0_12zip_iteratorINS5_IJN6thrust23THRUST_200600_302600_NS6detail15normal_iteratorINSC_10device_ptrIKtEEEESI_EEEEESK_NSA_INS5_IJNSC_16discard_iteratorINSC_11use_defaultEEESN_EEEEEPS7_SQ_SQ_NSC_11hip_rocprim7__merge17predicate_wrapperIttNSC_4lessItEEEEEE10hipError_tPvRmT0_T1_T2_T3_T4_T5_mmT6_P12ihipStream_tbEUlT_E_NS1_11comp_targetILNS1_3genE3ELNS1_11target_archE908ELNS1_3gpuE7ELNS1_3repE0EEENS1_30default_config_static_selectorELNS0_4arch9wavefront6targetE0EEEvS11_
; %bb.0:
	.section	.rodata,"a",@progbits
	.p2align	6, 0x0
	.amdhsa_kernel _ZN7rocprim17ROCPRIM_400000_NS6detail17trampoline_kernelINS0_14default_configENS1_21merge_config_selectorINS0_5tupleIJttEEENS0_10empty_typeEEEZNS1_10merge_implIS3_NS0_12zip_iteratorINS5_IJN6thrust23THRUST_200600_302600_NS6detail15normal_iteratorINSC_10device_ptrIKtEEEESI_EEEEESK_NSA_INS5_IJNSC_16discard_iteratorINSC_11use_defaultEEESN_EEEEEPS7_SQ_SQ_NSC_11hip_rocprim7__merge17predicate_wrapperIttNSC_4lessItEEEEEE10hipError_tPvRmT0_T1_T2_T3_T4_T5_mmT6_P12ihipStream_tbEUlT_E_NS1_11comp_targetILNS1_3genE3ELNS1_11target_archE908ELNS1_3gpuE7ELNS1_3repE0EEENS1_30default_config_static_selectorELNS0_4arch9wavefront6targetE0EEEvS11_
		.amdhsa_group_segment_fixed_size 0
		.amdhsa_private_segment_fixed_size 0
		.amdhsa_kernarg_size 64
		.amdhsa_user_sgpr_count 6
		.amdhsa_user_sgpr_private_segment_buffer 1
		.amdhsa_user_sgpr_dispatch_ptr 0
		.amdhsa_user_sgpr_queue_ptr 0
		.amdhsa_user_sgpr_kernarg_segment_ptr 1
		.amdhsa_user_sgpr_dispatch_id 0
		.amdhsa_user_sgpr_flat_scratch_init 0
		.amdhsa_user_sgpr_private_segment_size 0
		.amdhsa_wavefront_size32 1
		.amdhsa_uses_dynamic_stack 0
		.amdhsa_system_sgpr_private_segment_wavefront_offset 0
		.amdhsa_system_sgpr_workgroup_id_x 1
		.amdhsa_system_sgpr_workgroup_id_y 0
		.amdhsa_system_sgpr_workgroup_id_z 0
		.amdhsa_system_sgpr_workgroup_info 0
		.amdhsa_system_vgpr_workitem_id 0
		.amdhsa_next_free_vgpr 1
		.amdhsa_next_free_sgpr 1
		.amdhsa_reserve_vcc 0
		.amdhsa_reserve_flat_scratch 0
		.amdhsa_float_round_mode_32 0
		.amdhsa_float_round_mode_16_64 0
		.amdhsa_float_denorm_mode_32 3
		.amdhsa_float_denorm_mode_16_64 3
		.amdhsa_dx10_clamp 1
		.amdhsa_ieee_mode 1
		.amdhsa_fp16_overflow 0
		.amdhsa_workgroup_processor_mode 1
		.amdhsa_memory_ordered 1
		.amdhsa_forward_progress 1
		.amdhsa_shared_vgpr_count 0
		.amdhsa_exception_fp_ieee_invalid_op 0
		.amdhsa_exception_fp_denorm_src 0
		.amdhsa_exception_fp_ieee_div_zero 0
		.amdhsa_exception_fp_ieee_overflow 0
		.amdhsa_exception_fp_ieee_underflow 0
		.amdhsa_exception_fp_ieee_inexact 0
		.amdhsa_exception_int_div_zero 0
	.end_amdhsa_kernel
	.section	.text._ZN7rocprim17ROCPRIM_400000_NS6detail17trampoline_kernelINS0_14default_configENS1_21merge_config_selectorINS0_5tupleIJttEEENS0_10empty_typeEEEZNS1_10merge_implIS3_NS0_12zip_iteratorINS5_IJN6thrust23THRUST_200600_302600_NS6detail15normal_iteratorINSC_10device_ptrIKtEEEESI_EEEEESK_NSA_INS5_IJNSC_16discard_iteratorINSC_11use_defaultEEESN_EEEEEPS7_SQ_SQ_NSC_11hip_rocprim7__merge17predicate_wrapperIttNSC_4lessItEEEEEE10hipError_tPvRmT0_T1_T2_T3_T4_T5_mmT6_P12ihipStream_tbEUlT_E_NS1_11comp_targetILNS1_3genE3ELNS1_11target_archE908ELNS1_3gpuE7ELNS1_3repE0EEENS1_30default_config_static_selectorELNS0_4arch9wavefront6targetE0EEEvS11_,"axG",@progbits,_ZN7rocprim17ROCPRIM_400000_NS6detail17trampoline_kernelINS0_14default_configENS1_21merge_config_selectorINS0_5tupleIJttEEENS0_10empty_typeEEEZNS1_10merge_implIS3_NS0_12zip_iteratorINS5_IJN6thrust23THRUST_200600_302600_NS6detail15normal_iteratorINSC_10device_ptrIKtEEEESI_EEEEESK_NSA_INS5_IJNSC_16discard_iteratorINSC_11use_defaultEEESN_EEEEEPS7_SQ_SQ_NSC_11hip_rocprim7__merge17predicate_wrapperIttNSC_4lessItEEEEEE10hipError_tPvRmT0_T1_T2_T3_T4_T5_mmT6_P12ihipStream_tbEUlT_E_NS1_11comp_targetILNS1_3genE3ELNS1_11target_archE908ELNS1_3gpuE7ELNS1_3repE0EEENS1_30default_config_static_selectorELNS0_4arch9wavefront6targetE0EEEvS11_,comdat
.Lfunc_end554:
	.size	_ZN7rocprim17ROCPRIM_400000_NS6detail17trampoline_kernelINS0_14default_configENS1_21merge_config_selectorINS0_5tupleIJttEEENS0_10empty_typeEEEZNS1_10merge_implIS3_NS0_12zip_iteratorINS5_IJN6thrust23THRUST_200600_302600_NS6detail15normal_iteratorINSC_10device_ptrIKtEEEESI_EEEEESK_NSA_INS5_IJNSC_16discard_iteratorINSC_11use_defaultEEESN_EEEEEPS7_SQ_SQ_NSC_11hip_rocprim7__merge17predicate_wrapperIttNSC_4lessItEEEEEE10hipError_tPvRmT0_T1_T2_T3_T4_T5_mmT6_P12ihipStream_tbEUlT_E_NS1_11comp_targetILNS1_3genE3ELNS1_11target_archE908ELNS1_3gpuE7ELNS1_3repE0EEENS1_30default_config_static_selectorELNS0_4arch9wavefront6targetE0EEEvS11_, .Lfunc_end554-_ZN7rocprim17ROCPRIM_400000_NS6detail17trampoline_kernelINS0_14default_configENS1_21merge_config_selectorINS0_5tupleIJttEEENS0_10empty_typeEEEZNS1_10merge_implIS3_NS0_12zip_iteratorINS5_IJN6thrust23THRUST_200600_302600_NS6detail15normal_iteratorINSC_10device_ptrIKtEEEESI_EEEEESK_NSA_INS5_IJNSC_16discard_iteratorINSC_11use_defaultEEESN_EEEEEPS7_SQ_SQ_NSC_11hip_rocprim7__merge17predicate_wrapperIttNSC_4lessItEEEEEE10hipError_tPvRmT0_T1_T2_T3_T4_T5_mmT6_P12ihipStream_tbEUlT_E_NS1_11comp_targetILNS1_3genE3ELNS1_11target_archE908ELNS1_3gpuE7ELNS1_3repE0EEENS1_30default_config_static_selectorELNS0_4arch9wavefront6targetE0EEEvS11_
                                        ; -- End function
	.set _ZN7rocprim17ROCPRIM_400000_NS6detail17trampoline_kernelINS0_14default_configENS1_21merge_config_selectorINS0_5tupleIJttEEENS0_10empty_typeEEEZNS1_10merge_implIS3_NS0_12zip_iteratorINS5_IJN6thrust23THRUST_200600_302600_NS6detail15normal_iteratorINSC_10device_ptrIKtEEEESI_EEEEESK_NSA_INS5_IJNSC_16discard_iteratorINSC_11use_defaultEEESN_EEEEEPS7_SQ_SQ_NSC_11hip_rocprim7__merge17predicate_wrapperIttNSC_4lessItEEEEEE10hipError_tPvRmT0_T1_T2_T3_T4_T5_mmT6_P12ihipStream_tbEUlT_E_NS1_11comp_targetILNS1_3genE3ELNS1_11target_archE908ELNS1_3gpuE7ELNS1_3repE0EEENS1_30default_config_static_selectorELNS0_4arch9wavefront6targetE0EEEvS11_.num_vgpr, 0
	.set _ZN7rocprim17ROCPRIM_400000_NS6detail17trampoline_kernelINS0_14default_configENS1_21merge_config_selectorINS0_5tupleIJttEEENS0_10empty_typeEEEZNS1_10merge_implIS3_NS0_12zip_iteratorINS5_IJN6thrust23THRUST_200600_302600_NS6detail15normal_iteratorINSC_10device_ptrIKtEEEESI_EEEEESK_NSA_INS5_IJNSC_16discard_iteratorINSC_11use_defaultEEESN_EEEEEPS7_SQ_SQ_NSC_11hip_rocprim7__merge17predicate_wrapperIttNSC_4lessItEEEEEE10hipError_tPvRmT0_T1_T2_T3_T4_T5_mmT6_P12ihipStream_tbEUlT_E_NS1_11comp_targetILNS1_3genE3ELNS1_11target_archE908ELNS1_3gpuE7ELNS1_3repE0EEENS1_30default_config_static_selectorELNS0_4arch9wavefront6targetE0EEEvS11_.num_agpr, 0
	.set _ZN7rocprim17ROCPRIM_400000_NS6detail17trampoline_kernelINS0_14default_configENS1_21merge_config_selectorINS0_5tupleIJttEEENS0_10empty_typeEEEZNS1_10merge_implIS3_NS0_12zip_iteratorINS5_IJN6thrust23THRUST_200600_302600_NS6detail15normal_iteratorINSC_10device_ptrIKtEEEESI_EEEEESK_NSA_INS5_IJNSC_16discard_iteratorINSC_11use_defaultEEESN_EEEEEPS7_SQ_SQ_NSC_11hip_rocprim7__merge17predicate_wrapperIttNSC_4lessItEEEEEE10hipError_tPvRmT0_T1_T2_T3_T4_T5_mmT6_P12ihipStream_tbEUlT_E_NS1_11comp_targetILNS1_3genE3ELNS1_11target_archE908ELNS1_3gpuE7ELNS1_3repE0EEENS1_30default_config_static_selectorELNS0_4arch9wavefront6targetE0EEEvS11_.numbered_sgpr, 0
	.set _ZN7rocprim17ROCPRIM_400000_NS6detail17trampoline_kernelINS0_14default_configENS1_21merge_config_selectorINS0_5tupleIJttEEENS0_10empty_typeEEEZNS1_10merge_implIS3_NS0_12zip_iteratorINS5_IJN6thrust23THRUST_200600_302600_NS6detail15normal_iteratorINSC_10device_ptrIKtEEEESI_EEEEESK_NSA_INS5_IJNSC_16discard_iteratorINSC_11use_defaultEEESN_EEEEEPS7_SQ_SQ_NSC_11hip_rocprim7__merge17predicate_wrapperIttNSC_4lessItEEEEEE10hipError_tPvRmT0_T1_T2_T3_T4_T5_mmT6_P12ihipStream_tbEUlT_E_NS1_11comp_targetILNS1_3genE3ELNS1_11target_archE908ELNS1_3gpuE7ELNS1_3repE0EEENS1_30default_config_static_selectorELNS0_4arch9wavefront6targetE0EEEvS11_.num_named_barrier, 0
	.set _ZN7rocprim17ROCPRIM_400000_NS6detail17trampoline_kernelINS0_14default_configENS1_21merge_config_selectorINS0_5tupleIJttEEENS0_10empty_typeEEEZNS1_10merge_implIS3_NS0_12zip_iteratorINS5_IJN6thrust23THRUST_200600_302600_NS6detail15normal_iteratorINSC_10device_ptrIKtEEEESI_EEEEESK_NSA_INS5_IJNSC_16discard_iteratorINSC_11use_defaultEEESN_EEEEEPS7_SQ_SQ_NSC_11hip_rocprim7__merge17predicate_wrapperIttNSC_4lessItEEEEEE10hipError_tPvRmT0_T1_T2_T3_T4_T5_mmT6_P12ihipStream_tbEUlT_E_NS1_11comp_targetILNS1_3genE3ELNS1_11target_archE908ELNS1_3gpuE7ELNS1_3repE0EEENS1_30default_config_static_selectorELNS0_4arch9wavefront6targetE0EEEvS11_.private_seg_size, 0
	.set _ZN7rocprim17ROCPRIM_400000_NS6detail17trampoline_kernelINS0_14default_configENS1_21merge_config_selectorINS0_5tupleIJttEEENS0_10empty_typeEEEZNS1_10merge_implIS3_NS0_12zip_iteratorINS5_IJN6thrust23THRUST_200600_302600_NS6detail15normal_iteratorINSC_10device_ptrIKtEEEESI_EEEEESK_NSA_INS5_IJNSC_16discard_iteratorINSC_11use_defaultEEESN_EEEEEPS7_SQ_SQ_NSC_11hip_rocprim7__merge17predicate_wrapperIttNSC_4lessItEEEEEE10hipError_tPvRmT0_T1_T2_T3_T4_T5_mmT6_P12ihipStream_tbEUlT_E_NS1_11comp_targetILNS1_3genE3ELNS1_11target_archE908ELNS1_3gpuE7ELNS1_3repE0EEENS1_30default_config_static_selectorELNS0_4arch9wavefront6targetE0EEEvS11_.uses_vcc, 0
	.set _ZN7rocprim17ROCPRIM_400000_NS6detail17trampoline_kernelINS0_14default_configENS1_21merge_config_selectorINS0_5tupleIJttEEENS0_10empty_typeEEEZNS1_10merge_implIS3_NS0_12zip_iteratorINS5_IJN6thrust23THRUST_200600_302600_NS6detail15normal_iteratorINSC_10device_ptrIKtEEEESI_EEEEESK_NSA_INS5_IJNSC_16discard_iteratorINSC_11use_defaultEEESN_EEEEEPS7_SQ_SQ_NSC_11hip_rocprim7__merge17predicate_wrapperIttNSC_4lessItEEEEEE10hipError_tPvRmT0_T1_T2_T3_T4_T5_mmT6_P12ihipStream_tbEUlT_E_NS1_11comp_targetILNS1_3genE3ELNS1_11target_archE908ELNS1_3gpuE7ELNS1_3repE0EEENS1_30default_config_static_selectorELNS0_4arch9wavefront6targetE0EEEvS11_.uses_flat_scratch, 0
	.set _ZN7rocprim17ROCPRIM_400000_NS6detail17trampoline_kernelINS0_14default_configENS1_21merge_config_selectorINS0_5tupleIJttEEENS0_10empty_typeEEEZNS1_10merge_implIS3_NS0_12zip_iteratorINS5_IJN6thrust23THRUST_200600_302600_NS6detail15normal_iteratorINSC_10device_ptrIKtEEEESI_EEEEESK_NSA_INS5_IJNSC_16discard_iteratorINSC_11use_defaultEEESN_EEEEEPS7_SQ_SQ_NSC_11hip_rocprim7__merge17predicate_wrapperIttNSC_4lessItEEEEEE10hipError_tPvRmT0_T1_T2_T3_T4_T5_mmT6_P12ihipStream_tbEUlT_E_NS1_11comp_targetILNS1_3genE3ELNS1_11target_archE908ELNS1_3gpuE7ELNS1_3repE0EEENS1_30default_config_static_selectorELNS0_4arch9wavefront6targetE0EEEvS11_.has_dyn_sized_stack, 0
	.set _ZN7rocprim17ROCPRIM_400000_NS6detail17trampoline_kernelINS0_14default_configENS1_21merge_config_selectorINS0_5tupleIJttEEENS0_10empty_typeEEEZNS1_10merge_implIS3_NS0_12zip_iteratorINS5_IJN6thrust23THRUST_200600_302600_NS6detail15normal_iteratorINSC_10device_ptrIKtEEEESI_EEEEESK_NSA_INS5_IJNSC_16discard_iteratorINSC_11use_defaultEEESN_EEEEEPS7_SQ_SQ_NSC_11hip_rocprim7__merge17predicate_wrapperIttNSC_4lessItEEEEEE10hipError_tPvRmT0_T1_T2_T3_T4_T5_mmT6_P12ihipStream_tbEUlT_E_NS1_11comp_targetILNS1_3genE3ELNS1_11target_archE908ELNS1_3gpuE7ELNS1_3repE0EEENS1_30default_config_static_selectorELNS0_4arch9wavefront6targetE0EEEvS11_.has_recursion, 0
	.set _ZN7rocprim17ROCPRIM_400000_NS6detail17trampoline_kernelINS0_14default_configENS1_21merge_config_selectorINS0_5tupleIJttEEENS0_10empty_typeEEEZNS1_10merge_implIS3_NS0_12zip_iteratorINS5_IJN6thrust23THRUST_200600_302600_NS6detail15normal_iteratorINSC_10device_ptrIKtEEEESI_EEEEESK_NSA_INS5_IJNSC_16discard_iteratorINSC_11use_defaultEEESN_EEEEEPS7_SQ_SQ_NSC_11hip_rocprim7__merge17predicate_wrapperIttNSC_4lessItEEEEEE10hipError_tPvRmT0_T1_T2_T3_T4_T5_mmT6_P12ihipStream_tbEUlT_E_NS1_11comp_targetILNS1_3genE3ELNS1_11target_archE908ELNS1_3gpuE7ELNS1_3repE0EEENS1_30default_config_static_selectorELNS0_4arch9wavefront6targetE0EEEvS11_.has_indirect_call, 0
	.section	.AMDGPU.csdata,"",@progbits
; Kernel info:
; codeLenInByte = 0
; TotalNumSgprs: 0
; NumVgprs: 0
; ScratchSize: 0
; MemoryBound: 0
; FloatMode: 240
; IeeeMode: 1
; LDSByteSize: 0 bytes/workgroup (compile time only)
; SGPRBlocks: 0
; VGPRBlocks: 0
; NumSGPRsForWavesPerEU: 1
; NumVGPRsForWavesPerEU: 1
; Occupancy: 16
; WaveLimiterHint : 0
; COMPUTE_PGM_RSRC2:SCRATCH_EN: 0
; COMPUTE_PGM_RSRC2:USER_SGPR: 6
; COMPUTE_PGM_RSRC2:TRAP_HANDLER: 0
; COMPUTE_PGM_RSRC2:TGID_X_EN: 1
; COMPUTE_PGM_RSRC2:TGID_Y_EN: 0
; COMPUTE_PGM_RSRC2:TGID_Z_EN: 0
; COMPUTE_PGM_RSRC2:TIDIG_COMP_CNT: 0
	.section	.text._ZN7rocprim17ROCPRIM_400000_NS6detail17trampoline_kernelINS0_14default_configENS1_21merge_config_selectorINS0_5tupleIJttEEENS0_10empty_typeEEEZNS1_10merge_implIS3_NS0_12zip_iteratorINS5_IJN6thrust23THRUST_200600_302600_NS6detail15normal_iteratorINSC_10device_ptrIKtEEEESI_EEEEESK_NSA_INS5_IJNSC_16discard_iteratorINSC_11use_defaultEEESN_EEEEEPS7_SQ_SQ_NSC_11hip_rocprim7__merge17predicate_wrapperIttNSC_4lessItEEEEEE10hipError_tPvRmT0_T1_T2_T3_T4_T5_mmT6_P12ihipStream_tbEUlT_E_NS1_11comp_targetILNS1_3genE2ELNS1_11target_archE906ELNS1_3gpuE6ELNS1_3repE0EEENS1_30default_config_static_selectorELNS0_4arch9wavefront6targetE0EEEvS11_,"axG",@progbits,_ZN7rocprim17ROCPRIM_400000_NS6detail17trampoline_kernelINS0_14default_configENS1_21merge_config_selectorINS0_5tupleIJttEEENS0_10empty_typeEEEZNS1_10merge_implIS3_NS0_12zip_iteratorINS5_IJN6thrust23THRUST_200600_302600_NS6detail15normal_iteratorINSC_10device_ptrIKtEEEESI_EEEEESK_NSA_INS5_IJNSC_16discard_iteratorINSC_11use_defaultEEESN_EEEEEPS7_SQ_SQ_NSC_11hip_rocprim7__merge17predicate_wrapperIttNSC_4lessItEEEEEE10hipError_tPvRmT0_T1_T2_T3_T4_T5_mmT6_P12ihipStream_tbEUlT_E_NS1_11comp_targetILNS1_3genE2ELNS1_11target_archE906ELNS1_3gpuE6ELNS1_3repE0EEENS1_30default_config_static_selectorELNS0_4arch9wavefront6targetE0EEEvS11_,comdat
	.protected	_ZN7rocprim17ROCPRIM_400000_NS6detail17trampoline_kernelINS0_14default_configENS1_21merge_config_selectorINS0_5tupleIJttEEENS0_10empty_typeEEEZNS1_10merge_implIS3_NS0_12zip_iteratorINS5_IJN6thrust23THRUST_200600_302600_NS6detail15normal_iteratorINSC_10device_ptrIKtEEEESI_EEEEESK_NSA_INS5_IJNSC_16discard_iteratorINSC_11use_defaultEEESN_EEEEEPS7_SQ_SQ_NSC_11hip_rocprim7__merge17predicate_wrapperIttNSC_4lessItEEEEEE10hipError_tPvRmT0_T1_T2_T3_T4_T5_mmT6_P12ihipStream_tbEUlT_E_NS1_11comp_targetILNS1_3genE2ELNS1_11target_archE906ELNS1_3gpuE6ELNS1_3repE0EEENS1_30default_config_static_selectorELNS0_4arch9wavefront6targetE0EEEvS11_ ; -- Begin function _ZN7rocprim17ROCPRIM_400000_NS6detail17trampoline_kernelINS0_14default_configENS1_21merge_config_selectorINS0_5tupleIJttEEENS0_10empty_typeEEEZNS1_10merge_implIS3_NS0_12zip_iteratorINS5_IJN6thrust23THRUST_200600_302600_NS6detail15normal_iteratorINSC_10device_ptrIKtEEEESI_EEEEESK_NSA_INS5_IJNSC_16discard_iteratorINSC_11use_defaultEEESN_EEEEEPS7_SQ_SQ_NSC_11hip_rocprim7__merge17predicate_wrapperIttNSC_4lessItEEEEEE10hipError_tPvRmT0_T1_T2_T3_T4_T5_mmT6_P12ihipStream_tbEUlT_E_NS1_11comp_targetILNS1_3genE2ELNS1_11target_archE906ELNS1_3gpuE6ELNS1_3repE0EEENS1_30default_config_static_selectorELNS0_4arch9wavefront6targetE0EEEvS11_
	.globl	_ZN7rocprim17ROCPRIM_400000_NS6detail17trampoline_kernelINS0_14default_configENS1_21merge_config_selectorINS0_5tupleIJttEEENS0_10empty_typeEEEZNS1_10merge_implIS3_NS0_12zip_iteratorINS5_IJN6thrust23THRUST_200600_302600_NS6detail15normal_iteratorINSC_10device_ptrIKtEEEESI_EEEEESK_NSA_INS5_IJNSC_16discard_iteratorINSC_11use_defaultEEESN_EEEEEPS7_SQ_SQ_NSC_11hip_rocprim7__merge17predicate_wrapperIttNSC_4lessItEEEEEE10hipError_tPvRmT0_T1_T2_T3_T4_T5_mmT6_P12ihipStream_tbEUlT_E_NS1_11comp_targetILNS1_3genE2ELNS1_11target_archE906ELNS1_3gpuE6ELNS1_3repE0EEENS1_30default_config_static_selectorELNS0_4arch9wavefront6targetE0EEEvS11_
	.p2align	8
	.type	_ZN7rocprim17ROCPRIM_400000_NS6detail17trampoline_kernelINS0_14default_configENS1_21merge_config_selectorINS0_5tupleIJttEEENS0_10empty_typeEEEZNS1_10merge_implIS3_NS0_12zip_iteratorINS5_IJN6thrust23THRUST_200600_302600_NS6detail15normal_iteratorINSC_10device_ptrIKtEEEESI_EEEEESK_NSA_INS5_IJNSC_16discard_iteratorINSC_11use_defaultEEESN_EEEEEPS7_SQ_SQ_NSC_11hip_rocprim7__merge17predicate_wrapperIttNSC_4lessItEEEEEE10hipError_tPvRmT0_T1_T2_T3_T4_T5_mmT6_P12ihipStream_tbEUlT_E_NS1_11comp_targetILNS1_3genE2ELNS1_11target_archE906ELNS1_3gpuE6ELNS1_3repE0EEENS1_30default_config_static_selectorELNS0_4arch9wavefront6targetE0EEEvS11_,@function
_ZN7rocprim17ROCPRIM_400000_NS6detail17trampoline_kernelINS0_14default_configENS1_21merge_config_selectorINS0_5tupleIJttEEENS0_10empty_typeEEEZNS1_10merge_implIS3_NS0_12zip_iteratorINS5_IJN6thrust23THRUST_200600_302600_NS6detail15normal_iteratorINSC_10device_ptrIKtEEEESI_EEEEESK_NSA_INS5_IJNSC_16discard_iteratorINSC_11use_defaultEEESN_EEEEEPS7_SQ_SQ_NSC_11hip_rocprim7__merge17predicate_wrapperIttNSC_4lessItEEEEEE10hipError_tPvRmT0_T1_T2_T3_T4_T5_mmT6_P12ihipStream_tbEUlT_E_NS1_11comp_targetILNS1_3genE2ELNS1_11target_archE906ELNS1_3gpuE6ELNS1_3repE0EEENS1_30default_config_static_selectorELNS0_4arch9wavefront6targetE0EEEvS11_: ; @_ZN7rocprim17ROCPRIM_400000_NS6detail17trampoline_kernelINS0_14default_configENS1_21merge_config_selectorINS0_5tupleIJttEEENS0_10empty_typeEEEZNS1_10merge_implIS3_NS0_12zip_iteratorINS5_IJN6thrust23THRUST_200600_302600_NS6detail15normal_iteratorINSC_10device_ptrIKtEEEESI_EEEEESK_NSA_INS5_IJNSC_16discard_iteratorINSC_11use_defaultEEESN_EEEEEPS7_SQ_SQ_NSC_11hip_rocprim7__merge17predicate_wrapperIttNSC_4lessItEEEEEE10hipError_tPvRmT0_T1_T2_T3_T4_T5_mmT6_P12ihipStream_tbEUlT_E_NS1_11comp_targetILNS1_3genE2ELNS1_11target_archE906ELNS1_3gpuE6ELNS1_3repE0EEENS1_30default_config_static_selectorELNS0_4arch9wavefront6targetE0EEEvS11_
; %bb.0:
	.section	.rodata,"a",@progbits
	.p2align	6, 0x0
	.amdhsa_kernel _ZN7rocprim17ROCPRIM_400000_NS6detail17trampoline_kernelINS0_14default_configENS1_21merge_config_selectorINS0_5tupleIJttEEENS0_10empty_typeEEEZNS1_10merge_implIS3_NS0_12zip_iteratorINS5_IJN6thrust23THRUST_200600_302600_NS6detail15normal_iteratorINSC_10device_ptrIKtEEEESI_EEEEESK_NSA_INS5_IJNSC_16discard_iteratorINSC_11use_defaultEEESN_EEEEEPS7_SQ_SQ_NSC_11hip_rocprim7__merge17predicate_wrapperIttNSC_4lessItEEEEEE10hipError_tPvRmT0_T1_T2_T3_T4_T5_mmT6_P12ihipStream_tbEUlT_E_NS1_11comp_targetILNS1_3genE2ELNS1_11target_archE906ELNS1_3gpuE6ELNS1_3repE0EEENS1_30default_config_static_selectorELNS0_4arch9wavefront6targetE0EEEvS11_
		.amdhsa_group_segment_fixed_size 0
		.amdhsa_private_segment_fixed_size 0
		.amdhsa_kernarg_size 64
		.amdhsa_user_sgpr_count 6
		.amdhsa_user_sgpr_private_segment_buffer 1
		.amdhsa_user_sgpr_dispatch_ptr 0
		.amdhsa_user_sgpr_queue_ptr 0
		.amdhsa_user_sgpr_kernarg_segment_ptr 1
		.amdhsa_user_sgpr_dispatch_id 0
		.amdhsa_user_sgpr_flat_scratch_init 0
		.amdhsa_user_sgpr_private_segment_size 0
		.amdhsa_wavefront_size32 1
		.amdhsa_uses_dynamic_stack 0
		.amdhsa_system_sgpr_private_segment_wavefront_offset 0
		.amdhsa_system_sgpr_workgroup_id_x 1
		.amdhsa_system_sgpr_workgroup_id_y 0
		.amdhsa_system_sgpr_workgroup_id_z 0
		.amdhsa_system_sgpr_workgroup_info 0
		.amdhsa_system_vgpr_workitem_id 0
		.amdhsa_next_free_vgpr 1
		.amdhsa_next_free_sgpr 1
		.amdhsa_reserve_vcc 0
		.amdhsa_reserve_flat_scratch 0
		.amdhsa_float_round_mode_32 0
		.amdhsa_float_round_mode_16_64 0
		.amdhsa_float_denorm_mode_32 3
		.amdhsa_float_denorm_mode_16_64 3
		.amdhsa_dx10_clamp 1
		.amdhsa_ieee_mode 1
		.amdhsa_fp16_overflow 0
		.amdhsa_workgroup_processor_mode 1
		.amdhsa_memory_ordered 1
		.amdhsa_forward_progress 1
		.amdhsa_shared_vgpr_count 0
		.amdhsa_exception_fp_ieee_invalid_op 0
		.amdhsa_exception_fp_denorm_src 0
		.amdhsa_exception_fp_ieee_div_zero 0
		.amdhsa_exception_fp_ieee_overflow 0
		.amdhsa_exception_fp_ieee_underflow 0
		.amdhsa_exception_fp_ieee_inexact 0
		.amdhsa_exception_int_div_zero 0
	.end_amdhsa_kernel
	.section	.text._ZN7rocprim17ROCPRIM_400000_NS6detail17trampoline_kernelINS0_14default_configENS1_21merge_config_selectorINS0_5tupleIJttEEENS0_10empty_typeEEEZNS1_10merge_implIS3_NS0_12zip_iteratorINS5_IJN6thrust23THRUST_200600_302600_NS6detail15normal_iteratorINSC_10device_ptrIKtEEEESI_EEEEESK_NSA_INS5_IJNSC_16discard_iteratorINSC_11use_defaultEEESN_EEEEEPS7_SQ_SQ_NSC_11hip_rocprim7__merge17predicate_wrapperIttNSC_4lessItEEEEEE10hipError_tPvRmT0_T1_T2_T3_T4_T5_mmT6_P12ihipStream_tbEUlT_E_NS1_11comp_targetILNS1_3genE2ELNS1_11target_archE906ELNS1_3gpuE6ELNS1_3repE0EEENS1_30default_config_static_selectorELNS0_4arch9wavefront6targetE0EEEvS11_,"axG",@progbits,_ZN7rocprim17ROCPRIM_400000_NS6detail17trampoline_kernelINS0_14default_configENS1_21merge_config_selectorINS0_5tupleIJttEEENS0_10empty_typeEEEZNS1_10merge_implIS3_NS0_12zip_iteratorINS5_IJN6thrust23THRUST_200600_302600_NS6detail15normal_iteratorINSC_10device_ptrIKtEEEESI_EEEEESK_NSA_INS5_IJNSC_16discard_iteratorINSC_11use_defaultEEESN_EEEEEPS7_SQ_SQ_NSC_11hip_rocprim7__merge17predicate_wrapperIttNSC_4lessItEEEEEE10hipError_tPvRmT0_T1_T2_T3_T4_T5_mmT6_P12ihipStream_tbEUlT_E_NS1_11comp_targetILNS1_3genE2ELNS1_11target_archE906ELNS1_3gpuE6ELNS1_3repE0EEENS1_30default_config_static_selectorELNS0_4arch9wavefront6targetE0EEEvS11_,comdat
.Lfunc_end555:
	.size	_ZN7rocprim17ROCPRIM_400000_NS6detail17trampoline_kernelINS0_14default_configENS1_21merge_config_selectorINS0_5tupleIJttEEENS0_10empty_typeEEEZNS1_10merge_implIS3_NS0_12zip_iteratorINS5_IJN6thrust23THRUST_200600_302600_NS6detail15normal_iteratorINSC_10device_ptrIKtEEEESI_EEEEESK_NSA_INS5_IJNSC_16discard_iteratorINSC_11use_defaultEEESN_EEEEEPS7_SQ_SQ_NSC_11hip_rocprim7__merge17predicate_wrapperIttNSC_4lessItEEEEEE10hipError_tPvRmT0_T1_T2_T3_T4_T5_mmT6_P12ihipStream_tbEUlT_E_NS1_11comp_targetILNS1_3genE2ELNS1_11target_archE906ELNS1_3gpuE6ELNS1_3repE0EEENS1_30default_config_static_selectorELNS0_4arch9wavefront6targetE0EEEvS11_, .Lfunc_end555-_ZN7rocprim17ROCPRIM_400000_NS6detail17trampoline_kernelINS0_14default_configENS1_21merge_config_selectorINS0_5tupleIJttEEENS0_10empty_typeEEEZNS1_10merge_implIS3_NS0_12zip_iteratorINS5_IJN6thrust23THRUST_200600_302600_NS6detail15normal_iteratorINSC_10device_ptrIKtEEEESI_EEEEESK_NSA_INS5_IJNSC_16discard_iteratorINSC_11use_defaultEEESN_EEEEEPS7_SQ_SQ_NSC_11hip_rocprim7__merge17predicate_wrapperIttNSC_4lessItEEEEEE10hipError_tPvRmT0_T1_T2_T3_T4_T5_mmT6_P12ihipStream_tbEUlT_E_NS1_11comp_targetILNS1_3genE2ELNS1_11target_archE906ELNS1_3gpuE6ELNS1_3repE0EEENS1_30default_config_static_selectorELNS0_4arch9wavefront6targetE0EEEvS11_
                                        ; -- End function
	.set _ZN7rocprim17ROCPRIM_400000_NS6detail17trampoline_kernelINS0_14default_configENS1_21merge_config_selectorINS0_5tupleIJttEEENS0_10empty_typeEEEZNS1_10merge_implIS3_NS0_12zip_iteratorINS5_IJN6thrust23THRUST_200600_302600_NS6detail15normal_iteratorINSC_10device_ptrIKtEEEESI_EEEEESK_NSA_INS5_IJNSC_16discard_iteratorINSC_11use_defaultEEESN_EEEEEPS7_SQ_SQ_NSC_11hip_rocprim7__merge17predicate_wrapperIttNSC_4lessItEEEEEE10hipError_tPvRmT0_T1_T2_T3_T4_T5_mmT6_P12ihipStream_tbEUlT_E_NS1_11comp_targetILNS1_3genE2ELNS1_11target_archE906ELNS1_3gpuE6ELNS1_3repE0EEENS1_30default_config_static_selectorELNS0_4arch9wavefront6targetE0EEEvS11_.num_vgpr, 0
	.set _ZN7rocprim17ROCPRIM_400000_NS6detail17trampoline_kernelINS0_14default_configENS1_21merge_config_selectorINS0_5tupleIJttEEENS0_10empty_typeEEEZNS1_10merge_implIS3_NS0_12zip_iteratorINS5_IJN6thrust23THRUST_200600_302600_NS6detail15normal_iteratorINSC_10device_ptrIKtEEEESI_EEEEESK_NSA_INS5_IJNSC_16discard_iteratorINSC_11use_defaultEEESN_EEEEEPS7_SQ_SQ_NSC_11hip_rocprim7__merge17predicate_wrapperIttNSC_4lessItEEEEEE10hipError_tPvRmT0_T1_T2_T3_T4_T5_mmT6_P12ihipStream_tbEUlT_E_NS1_11comp_targetILNS1_3genE2ELNS1_11target_archE906ELNS1_3gpuE6ELNS1_3repE0EEENS1_30default_config_static_selectorELNS0_4arch9wavefront6targetE0EEEvS11_.num_agpr, 0
	.set _ZN7rocprim17ROCPRIM_400000_NS6detail17trampoline_kernelINS0_14default_configENS1_21merge_config_selectorINS0_5tupleIJttEEENS0_10empty_typeEEEZNS1_10merge_implIS3_NS0_12zip_iteratorINS5_IJN6thrust23THRUST_200600_302600_NS6detail15normal_iteratorINSC_10device_ptrIKtEEEESI_EEEEESK_NSA_INS5_IJNSC_16discard_iteratorINSC_11use_defaultEEESN_EEEEEPS7_SQ_SQ_NSC_11hip_rocprim7__merge17predicate_wrapperIttNSC_4lessItEEEEEE10hipError_tPvRmT0_T1_T2_T3_T4_T5_mmT6_P12ihipStream_tbEUlT_E_NS1_11comp_targetILNS1_3genE2ELNS1_11target_archE906ELNS1_3gpuE6ELNS1_3repE0EEENS1_30default_config_static_selectorELNS0_4arch9wavefront6targetE0EEEvS11_.numbered_sgpr, 0
	.set _ZN7rocprim17ROCPRIM_400000_NS6detail17trampoline_kernelINS0_14default_configENS1_21merge_config_selectorINS0_5tupleIJttEEENS0_10empty_typeEEEZNS1_10merge_implIS3_NS0_12zip_iteratorINS5_IJN6thrust23THRUST_200600_302600_NS6detail15normal_iteratorINSC_10device_ptrIKtEEEESI_EEEEESK_NSA_INS5_IJNSC_16discard_iteratorINSC_11use_defaultEEESN_EEEEEPS7_SQ_SQ_NSC_11hip_rocprim7__merge17predicate_wrapperIttNSC_4lessItEEEEEE10hipError_tPvRmT0_T1_T2_T3_T4_T5_mmT6_P12ihipStream_tbEUlT_E_NS1_11comp_targetILNS1_3genE2ELNS1_11target_archE906ELNS1_3gpuE6ELNS1_3repE0EEENS1_30default_config_static_selectorELNS0_4arch9wavefront6targetE0EEEvS11_.num_named_barrier, 0
	.set _ZN7rocprim17ROCPRIM_400000_NS6detail17trampoline_kernelINS0_14default_configENS1_21merge_config_selectorINS0_5tupleIJttEEENS0_10empty_typeEEEZNS1_10merge_implIS3_NS0_12zip_iteratorINS5_IJN6thrust23THRUST_200600_302600_NS6detail15normal_iteratorINSC_10device_ptrIKtEEEESI_EEEEESK_NSA_INS5_IJNSC_16discard_iteratorINSC_11use_defaultEEESN_EEEEEPS7_SQ_SQ_NSC_11hip_rocprim7__merge17predicate_wrapperIttNSC_4lessItEEEEEE10hipError_tPvRmT0_T1_T2_T3_T4_T5_mmT6_P12ihipStream_tbEUlT_E_NS1_11comp_targetILNS1_3genE2ELNS1_11target_archE906ELNS1_3gpuE6ELNS1_3repE0EEENS1_30default_config_static_selectorELNS0_4arch9wavefront6targetE0EEEvS11_.private_seg_size, 0
	.set _ZN7rocprim17ROCPRIM_400000_NS6detail17trampoline_kernelINS0_14default_configENS1_21merge_config_selectorINS0_5tupleIJttEEENS0_10empty_typeEEEZNS1_10merge_implIS3_NS0_12zip_iteratorINS5_IJN6thrust23THRUST_200600_302600_NS6detail15normal_iteratorINSC_10device_ptrIKtEEEESI_EEEEESK_NSA_INS5_IJNSC_16discard_iteratorINSC_11use_defaultEEESN_EEEEEPS7_SQ_SQ_NSC_11hip_rocprim7__merge17predicate_wrapperIttNSC_4lessItEEEEEE10hipError_tPvRmT0_T1_T2_T3_T4_T5_mmT6_P12ihipStream_tbEUlT_E_NS1_11comp_targetILNS1_3genE2ELNS1_11target_archE906ELNS1_3gpuE6ELNS1_3repE0EEENS1_30default_config_static_selectorELNS0_4arch9wavefront6targetE0EEEvS11_.uses_vcc, 0
	.set _ZN7rocprim17ROCPRIM_400000_NS6detail17trampoline_kernelINS0_14default_configENS1_21merge_config_selectorINS0_5tupleIJttEEENS0_10empty_typeEEEZNS1_10merge_implIS3_NS0_12zip_iteratorINS5_IJN6thrust23THRUST_200600_302600_NS6detail15normal_iteratorINSC_10device_ptrIKtEEEESI_EEEEESK_NSA_INS5_IJNSC_16discard_iteratorINSC_11use_defaultEEESN_EEEEEPS7_SQ_SQ_NSC_11hip_rocprim7__merge17predicate_wrapperIttNSC_4lessItEEEEEE10hipError_tPvRmT0_T1_T2_T3_T4_T5_mmT6_P12ihipStream_tbEUlT_E_NS1_11comp_targetILNS1_3genE2ELNS1_11target_archE906ELNS1_3gpuE6ELNS1_3repE0EEENS1_30default_config_static_selectorELNS0_4arch9wavefront6targetE0EEEvS11_.uses_flat_scratch, 0
	.set _ZN7rocprim17ROCPRIM_400000_NS6detail17trampoline_kernelINS0_14default_configENS1_21merge_config_selectorINS0_5tupleIJttEEENS0_10empty_typeEEEZNS1_10merge_implIS3_NS0_12zip_iteratorINS5_IJN6thrust23THRUST_200600_302600_NS6detail15normal_iteratorINSC_10device_ptrIKtEEEESI_EEEEESK_NSA_INS5_IJNSC_16discard_iteratorINSC_11use_defaultEEESN_EEEEEPS7_SQ_SQ_NSC_11hip_rocprim7__merge17predicate_wrapperIttNSC_4lessItEEEEEE10hipError_tPvRmT0_T1_T2_T3_T4_T5_mmT6_P12ihipStream_tbEUlT_E_NS1_11comp_targetILNS1_3genE2ELNS1_11target_archE906ELNS1_3gpuE6ELNS1_3repE0EEENS1_30default_config_static_selectorELNS0_4arch9wavefront6targetE0EEEvS11_.has_dyn_sized_stack, 0
	.set _ZN7rocprim17ROCPRIM_400000_NS6detail17trampoline_kernelINS0_14default_configENS1_21merge_config_selectorINS0_5tupleIJttEEENS0_10empty_typeEEEZNS1_10merge_implIS3_NS0_12zip_iteratorINS5_IJN6thrust23THRUST_200600_302600_NS6detail15normal_iteratorINSC_10device_ptrIKtEEEESI_EEEEESK_NSA_INS5_IJNSC_16discard_iteratorINSC_11use_defaultEEESN_EEEEEPS7_SQ_SQ_NSC_11hip_rocprim7__merge17predicate_wrapperIttNSC_4lessItEEEEEE10hipError_tPvRmT0_T1_T2_T3_T4_T5_mmT6_P12ihipStream_tbEUlT_E_NS1_11comp_targetILNS1_3genE2ELNS1_11target_archE906ELNS1_3gpuE6ELNS1_3repE0EEENS1_30default_config_static_selectorELNS0_4arch9wavefront6targetE0EEEvS11_.has_recursion, 0
	.set _ZN7rocprim17ROCPRIM_400000_NS6detail17trampoline_kernelINS0_14default_configENS1_21merge_config_selectorINS0_5tupleIJttEEENS0_10empty_typeEEEZNS1_10merge_implIS3_NS0_12zip_iteratorINS5_IJN6thrust23THRUST_200600_302600_NS6detail15normal_iteratorINSC_10device_ptrIKtEEEESI_EEEEESK_NSA_INS5_IJNSC_16discard_iteratorINSC_11use_defaultEEESN_EEEEEPS7_SQ_SQ_NSC_11hip_rocprim7__merge17predicate_wrapperIttNSC_4lessItEEEEEE10hipError_tPvRmT0_T1_T2_T3_T4_T5_mmT6_P12ihipStream_tbEUlT_E_NS1_11comp_targetILNS1_3genE2ELNS1_11target_archE906ELNS1_3gpuE6ELNS1_3repE0EEENS1_30default_config_static_selectorELNS0_4arch9wavefront6targetE0EEEvS11_.has_indirect_call, 0
	.section	.AMDGPU.csdata,"",@progbits
; Kernel info:
; codeLenInByte = 0
; TotalNumSgprs: 0
; NumVgprs: 0
; ScratchSize: 0
; MemoryBound: 0
; FloatMode: 240
; IeeeMode: 1
; LDSByteSize: 0 bytes/workgroup (compile time only)
; SGPRBlocks: 0
; VGPRBlocks: 0
; NumSGPRsForWavesPerEU: 1
; NumVGPRsForWavesPerEU: 1
; Occupancy: 16
; WaveLimiterHint : 0
; COMPUTE_PGM_RSRC2:SCRATCH_EN: 0
; COMPUTE_PGM_RSRC2:USER_SGPR: 6
; COMPUTE_PGM_RSRC2:TRAP_HANDLER: 0
; COMPUTE_PGM_RSRC2:TGID_X_EN: 1
; COMPUTE_PGM_RSRC2:TGID_Y_EN: 0
; COMPUTE_PGM_RSRC2:TGID_Z_EN: 0
; COMPUTE_PGM_RSRC2:TIDIG_COMP_CNT: 0
	.section	.text._ZN7rocprim17ROCPRIM_400000_NS6detail17trampoline_kernelINS0_14default_configENS1_21merge_config_selectorINS0_5tupleIJttEEENS0_10empty_typeEEEZNS1_10merge_implIS3_NS0_12zip_iteratorINS5_IJN6thrust23THRUST_200600_302600_NS6detail15normal_iteratorINSC_10device_ptrIKtEEEESI_EEEEESK_NSA_INS5_IJNSC_16discard_iteratorINSC_11use_defaultEEESN_EEEEEPS7_SQ_SQ_NSC_11hip_rocprim7__merge17predicate_wrapperIttNSC_4lessItEEEEEE10hipError_tPvRmT0_T1_T2_T3_T4_T5_mmT6_P12ihipStream_tbEUlT_E_NS1_11comp_targetILNS1_3genE10ELNS1_11target_archE1201ELNS1_3gpuE5ELNS1_3repE0EEENS1_30default_config_static_selectorELNS0_4arch9wavefront6targetE0EEEvS11_,"axG",@progbits,_ZN7rocprim17ROCPRIM_400000_NS6detail17trampoline_kernelINS0_14default_configENS1_21merge_config_selectorINS0_5tupleIJttEEENS0_10empty_typeEEEZNS1_10merge_implIS3_NS0_12zip_iteratorINS5_IJN6thrust23THRUST_200600_302600_NS6detail15normal_iteratorINSC_10device_ptrIKtEEEESI_EEEEESK_NSA_INS5_IJNSC_16discard_iteratorINSC_11use_defaultEEESN_EEEEEPS7_SQ_SQ_NSC_11hip_rocprim7__merge17predicate_wrapperIttNSC_4lessItEEEEEE10hipError_tPvRmT0_T1_T2_T3_T4_T5_mmT6_P12ihipStream_tbEUlT_E_NS1_11comp_targetILNS1_3genE10ELNS1_11target_archE1201ELNS1_3gpuE5ELNS1_3repE0EEENS1_30default_config_static_selectorELNS0_4arch9wavefront6targetE0EEEvS11_,comdat
	.protected	_ZN7rocprim17ROCPRIM_400000_NS6detail17trampoline_kernelINS0_14default_configENS1_21merge_config_selectorINS0_5tupleIJttEEENS0_10empty_typeEEEZNS1_10merge_implIS3_NS0_12zip_iteratorINS5_IJN6thrust23THRUST_200600_302600_NS6detail15normal_iteratorINSC_10device_ptrIKtEEEESI_EEEEESK_NSA_INS5_IJNSC_16discard_iteratorINSC_11use_defaultEEESN_EEEEEPS7_SQ_SQ_NSC_11hip_rocprim7__merge17predicate_wrapperIttNSC_4lessItEEEEEE10hipError_tPvRmT0_T1_T2_T3_T4_T5_mmT6_P12ihipStream_tbEUlT_E_NS1_11comp_targetILNS1_3genE10ELNS1_11target_archE1201ELNS1_3gpuE5ELNS1_3repE0EEENS1_30default_config_static_selectorELNS0_4arch9wavefront6targetE0EEEvS11_ ; -- Begin function _ZN7rocprim17ROCPRIM_400000_NS6detail17trampoline_kernelINS0_14default_configENS1_21merge_config_selectorINS0_5tupleIJttEEENS0_10empty_typeEEEZNS1_10merge_implIS3_NS0_12zip_iteratorINS5_IJN6thrust23THRUST_200600_302600_NS6detail15normal_iteratorINSC_10device_ptrIKtEEEESI_EEEEESK_NSA_INS5_IJNSC_16discard_iteratorINSC_11use_defaultEEESN_EEEEEPS7_SQ_SQ_NSC_11hip_rocprim7__merge17predicate_wrapperIttNSC_4lessItEEEEEE10hipError_tPvRmT0_T1_T2_T3_T4_T5_mmT6_P12ihipStream_tbEUlT_E_NS1_11comp_targetILNS1_3genE10ELNS1_11target_archE1201ELNS1_3gpuE5ELNS1_3repE0EEENS1_30default_config_static_selectorELNS0_4arch9wavefront6targetE0EEEvS11_
	.globl	_ZN7rocprim17ROCPRIM_400000_NS6detail17trampoline_kernelINS0_14default_configENS1_21merge_config_selectorINS0_5tupleIJttEEENS0_10empty_typeEEEZNS1_10merge_implIS3_NS0_12zip_iteratorINS5_IJN6thrust23THRUST_200600_302600_NS6detail15normal_iteratorINSC_10device_ptrIKtEEEESI_EEEEESK_NSA_INS5_IJNSC_16discard_iteratorINSC_11use_defaultEEESN_EEEEEPS7_SQ_SQ_NSC_11hip_rocprim7__merge17predicate_wrapperIttNSC_4lessItEEEEEE10hipError_tPvRmT0_T1_T2_T3_T4_T5_mmT6_P12ihipStream_tbEUlT_E_NS1_11comp_targetILNS1_3genE10ELNS1_11target_archE1201ELNS1_3gpuE5ELNS1_3repE0EEENS1_30default_config_static_selectorELNS0_4arch9wavefront6targetE0EEEvS11_
	.p2align	8
	.type	_ZN7rocprim17ROCPRIM_400000_NS6detail17trampoline_kernelINS0_14default_configENS1_21merge_config_selectorINS0_5tupleIJttEEENS0_10empty_typeEEEZNS1_10merge_implIS3_NS0_12zip_iteratorINS5_IJN6thrust23THRUST_200600_302600_NS6detail15normal_iteratorINSC_10device_ptrIKtEEEESI_EEEEESK_NSA_INS5_IJNSC_16discard_iteratorINSC_11use_defaultEEESN_EEEEEPS7_SQ_SQ_NSC_11hip_rocprim7__merge17predicate_wrapperIttNSC_4lessItEEEEEE10hipError_tPvRmT0_T1_T2_T3_T4_T5_mmT6_P12ihipStream_tbEUlT_E_NS1_11comp_targetILNS1_3genE10ELNS1_11target_archE1201ELNS1_3gpuE5ELNS1_3repE0EEENS1_30default_config_static_selectorELNS0_4arch9wavefront6targetE0EEEvS11_,@function
_ZN7rocprim17ROCPRIM_400000_NS6detail17trampoline_kernelINS0_14default_configENS1_21merge_config_selectorINS0_5tupleIJttEEENS0_10empty_typeEEEZNS1_10merge_implIS3_NS0_12zip_iteratorINS5_IJN6thrust23THRUST_200600_302600_NS6detail15normal_iteratorINSC_10device_ptrIKtEEEESI_EEEEESK_NSA_INS5_IJNSC_16discard_iteratorINSC_11use_defaultEEESN_EEEEEPS7_SQ_SQ_NSC_11hip_rocprim7__merge17predicate_wrapperIttNSC_4lessItEEEEEE10hipError_tPvRmT0_T1_T2_T3_T4_T5_mmT6_P12ihipStream_tbEUlT_E_NS1_11comp_targetILNS1_3genE10ELNS1_11target_archE1201ELNS1_3gpuE5ELNS1_3repE0EEENS1_30default_config_static_selectorELNS0_4arch9wavefront6targetE0EEEvS11_: ; @_ZN7rocprim17ROCPRIM_400000_NS6detail17trampoline_kernelINS0_14default_configENS1_21merge_config_selectorINS0_5tupleIJttEEENS0_10empty_typeEEEZNS1_10merge_implIS3_NS0_12zip_iteratorINS5_IJN6thrust23THRUST_200600_302600_NS6detail15normal_iteratorINSC_10device_ptrIKtEEEESI_EEEEESK_NSA_INS5_IJNSC_16discard_iteratorINSC_11use_defaultEEESN_EEEEEPS7_SQ_SQ_NSC_11hip_rocprim7__merge17predicate_wrapperIttNSC_4lessItEEEEEE10hipError_tPvRmT0_T1_T2_T3_T4_T5_mmT6_P12ihipStream_tbEUlT_E_NS1_11comp_targetILNS1_3genE10ELNS1_11target_archE1201ELNS1_3gpuE5ELNS1_3repE0EEENS1_30default_config_static_selectorELNS0_4arch9wavefront6targetE0EEEvS11_
; %bb.0:
	.section	.rodata,"a",@progbits
	.p2align	6, 0x0
	.amdhsa_kernel _ZN7rocprim17ROCPRIM_400000_NS6detail17trampoline_kernelINS0_14default_configENS1_21merge_config_selectorINS0_5tupleIJttEEENS0_10empty_typeEEEZNS1_10merge_implIS3_NS0_12zip_iteratorINS5_IJN6thrust23THRUST_200600_302600_NS6detail15normal_iteratorINSC_10device_ptrIKtEEEESI_EEEEESK_NSA_INS5_IJNSC_16discard_iteratorINSC_11use_defaultEEESN_EEEEEPS7_SQ_SQ_NSC_11hip_rocprim7__merge17predicate_wrapperIttNSC_4lessItEEEEEE10hipError_tPvRmT0_T1_T2_T3_T4_T5_mmT6_P12ihipStream_tbEUlT_E_NS1_11comp_targetILNS1_3genE10ELNS1_11target_archE1201ELNS1_3gpuE5ELNS1_3repE0EEENS1_30default_config_static_selectorELNS0_4arch9wavefront6targetE0EEEvS11_
		.amdhsa_group_segment_fixed_size 0
		.amdhsa_private_segment_fixed_size 0
		.amdhsa_kernarg_size 64
		.amdhsa_user_sgpr_count 6
		.amdhsa_user_sgpr_private_segment_buffer 1
		.amdhsa_user_sgpr_dispatch_ptr 0
		.amdhsa_user_sgpr_queue_ptr 0
		.amdhsa_user_sgpr_kernarg_segment_ptr 1
		.amdhsa_user_sgpr_dispatch_id 0
		.amdhsa_user_sgpr_flat_scratch_init 0
		.amdhsa_user_sgpr_private_segment_size 0
		.amdhsa_wavefront_size32 1
		.amdhsa_uses_dynamic_stack 0
		.amdhsa_system_sgpr_private_segment_wavefront_offset 0
		.amdhsa_system_sgpr_workgroup_id_x 1
		.amdhsa_system_sgpr_workgroup_id_y 0
		.amdhsa_system_sgpr_workgroup_id_z 0
		.amdhsa_system_sgpr_workgroup_info 0
		.amdhsa_system_vgpr_workitem_id 0
		.amdhsa_next_free_vgpr 1
		.amdhsa_next_free_sgpr 1
		.amdhsa_reserve_vcc 0
		.amdhsa_reserve_flat_scratch 0
		.amdhsa_float_round_mode_32 0
		.amdhsa_float_round_mode_16_64 0
		.amdhsa_float_denorm_mode_32 3
		.amdhsa_float_denorm_mode_16_64 3
		.amdhsa_dx10_clamp 1
		.amdhsa_ieee_mode 1
		.amdhsa_fp16_overflow 0
		.amdhsa_workgroup_processor_mode 1
		.amdhsa_memory_ordered 1
		.amdhsa_forward_progress 1
		.amdhsa_shared_vgpr_count 0
		.amdhsa_exception_fp_ieee_invalid_op 0
		.amdhsa_exception_fp_denorm_src 0
		.amdhsa_exception_fp_ieee_div_zero 0
		.amdhsa_exception_fp_ieee_overflow 0
		.amdhsa_exception_fp_ieee_underflow 0
		.amdhsa_exception_fp_ieee_inexact 0
		.amdhsa_exception_int_div_zero 0
	.end_amdhsa_kernel
	.section	.text._ZN7rocprim17ROCPRIM_400000_NS6detail17trampoline_kernelINS0_14default_configENS1_21merge_config_selectorINS0_5tupleIJttEEENS0_10empty_typeEEEZNS1_10merge_implIS3_NS0_12zip_iteratorINS5_IJN6thrust23THRUST_200600_302600_NS6detail15normal_iteratorINSC_10device_ptrIKtEEEESI_EEEEESK_NSA_INS5_IJNSC_16discard_iteratorINSC_11use_defaultEEESN_EEEEEPS7_SQ_SQ_NSC_11hip_rocprim7__merge17predicate_wrapperIttNSC_4lessItEEEEEE10hipError_tPvRmT0_T1_T2_T3_T4_T5_mmT6_P12ihipStream_tbEUlT_E_NS1_11comp_targetILNS1_3genE10ELNS1_11target_archE1201ELNS1_3gpuE5ELNS1_3repE0EEENS1_30default_config_static_selectorELNS0_4arch9wavefront6targetE0EEEvS11_,"axG",@progbits,_ZN7rocprim17ROCPRIM_400000_NS6detail17trampoline_kernelINS0_14default_configENS1_21merge_config_selectorINS0_5tupleIJttEEENS0_10empty_typeEEEZNS1_10merge_implIS3_NS0_12zip_iteratorINS5_IJN6thrust23THRUST_200600_302600_NS6detail15normal_iteratorINSC_10device_ptrIKtEEEESI_EEEEESK_NSA_INS5_IJNSC_16discard_iteratorINSC_11use_defaultEEESN_EEEEEPS7_SQ_SQ_NSC_11hip_rocprim7__merge17predicate_wrapperIttNSC_4lessItEEEEEE10hipError_tPvRmT0_T1_T2_T3_T4_T5_mmT6_P12ihipStream_tbEUlT_E_NS1_11comp_targetILNS1_3genE10ELNS1_11target_archE1201ELNS1_3gpuE5ELNS1_3repE0EEENS1_30default_config_static_selectorELNS0_4arch9wavefront6targetE0EEEvS11_,comdat
.Lfunc_end556:
	.size	_ZN7rocprim17ROCPRIM_400000_NS6detail17trampoline_kernelINS0_14default_configENS1_21merge_config_selectorINS0_5tupleIJttEEENS0_10empty_typeEEEZNS1_10merge_implIS3_NS0_12zip_iteratorINS5_IJN6thrust23THRUST_200600_302600_NS6detail15normal_iteratorINSC_10device_ptrIKtEEEESI_EEEEESK_NSA_INS5_IJNSC_16discard_iteratorINSC_11use_defaultEEESN_EEEEEPS7_SQ_SQ_NSC_11hip_rocprim7__merge17predicate_wrapperIttNSC_4lessItEEEEEE10hipError_tPvRmT0_T1_T2_T3_T4_T5_mmT6_P12ihipStream_tbEUlT_E_NS1_11comp_targetILNS1_3genE10ELNS1_11target_archE1201ELNS1_3gpuE5ELNS1_3repE0EEENS1_30default_config_static_selectorELNS0_4arch9wavefront6targetE0EEEvS11_, .Lfunc_end556-_ZN7rocprim17ROCPRIM_400000_NS6detail17trampoline_kernelINS0_14default_configENS1_21merge_config_selectorINS0_5tupleIJttEEENS0_10empty_typeEEEZNS1_10merge_implIS3_NS0_12zip_iteratorINS5_IJN6thrust23THRUST_200600_302600_NS6detail15normal_iteratorINSC_10device_ptrIKtEEEESI_EEEEESK_NSA_INS5_IJNSC_16discard_iteratorINSC_11use_defaultEEESN_EEEEEPS7_SQ_SQ_NSC_11hip_rocprim7__merge17predicate_wrapperIttNSC_4lessItEEEEEE10hipError_tPvRmT0_T1_T2_T3_T4_T5_mmT6_P12ihipStream_tbEUlT_E_NS1_11comp_targetILNS1_3genE10ELNS1_11target_archE1201ELNS1_3gpuE5ELNS1_3repE0EEENS1_30default_config_static_selectorELNS0_4arch9wavefront6targetE0EEEvS11_
                                        ; -- End function
	.set _ZN7rocprim17ROCPRIM_400000_NS6detail17trampoline_kernelINS0_14default_configENS1_21merge_config_selectorINS0_5tupleIJttEEENS0_10empty_typeEEEZNS1_10merge_implIS3_NS0_12zip_iteratorINS5_IJN6thrust23THRUST_200600_302600_NS6detail15normal_iteratorINSC_10device_ptrIKtEEEESI_EEEEESK_NSA_INS5_IJNSC_16discard_iteratorINSC_11use_defaultEEESN_EEEEEPS7_SQ_SQ_NSC_11hip_rocprim7__merge17predicate_wrapperIttNSC_4lessItEEEEEE10hipError_tPvRmT0_T1_T2_T3_T4_T5_mmT6_P12ihipStream_tbEUlT_E_NS1_11comp_targetILNS1_3genE10ELNS1_11target_archE1201ELNS1_3gpuE5ELNS1_3repE0EEENS1_30default_config_static_selectorELNS0_4arch9wavefront6targetE0EEEvS11_.num_vgpr, 0
	.set _ZN7rocprim17ROCPRIM_400000_NS6detail17trampoline_kernelINS0_14default_configENS1_21merge_config_selectorINS0_5tupleIJttEEENS0_10empty_typeEEEZNS1_10merge_implIS3_NS0_12zip_iteratorINS5_IJN6thrust23THRUST_200600_302600_NS6detail15normal_iteratorINSC_10device_ptrIKtEEEESI_EEEEESK_NSA_INS5_IJNSC_16discard_iteratorINSC_11use_defaultEEESN_EEEEEPS7_SQ_SQ_NSC_11hip_rocprim7__merge17predicate_wrapperIttNSC_4lessItEEEEEE10hipError_tPvRmT0_T1_T2_T3_T4_T5_mmT6_P12ihipStream_tbEUlT_E_NS1_11comp_targetILNS1_3genE10ELNS1_11target_archE1201ELNS1_3gpuE5ELNS1_3repE0EEENS1_30default_config_static_selectorELNS0_4arch9wavefront6targetE0EEEvS11_.num_agpr, 0
	.set _ZN7rocprim17ROCPRIM_400000_NS6detail17trampoline_kernelINS0_14default_configENS1_21merge_config_selectorINS0_5tupleIJttEEENS0_10empty_typeEEEZNS1_10merge_implIS3_NS0_12zip_iteratorINS5_IJN6thrust23THRUST_200600_302600_NS6detail15normal_iteratorINSC_10device_ptrIKtEEEESI_EEEEESK_NSA_INS5_IJNSC_16discard_iteratorINSC_11use_defaultEEESN_EEEEEPS7_SQ_SQ_NSC_11hip_rocprim7__merge17predicate_wrapperIttNSC_4lessItEEEEEE10hipError_tPvRmT0_T1_T2_T3_T4_T5_mmT6_P12ihipStream_tbEUlT_E_NS1_11comp_targetILNS1_3genE10ELNS1_11target_archE1201ELNS1_3gpuE5ELNS1_3repE0EEENS1_30default_config_static_selectorELNS0_4arch9wavefront6targetE0EEEvS11_.numbered_sgpr, 0
	.set _ZN7rocprim17ROCPRIM_400000_NS6detail17trampoline_kernelINS0_14default_configENS1_21merge_config_selectorINS0_5tupleIJttEEENS0_10empty_typeEEEZNS1_10merge_implIS3_NS0_12zip_iteratorINS5_IJN6thrust23THRUST_200600_302600_NS6detail15normal_iteratorINSC_10device_ptrIKtEEEESI_EEEEESK_NSA_INS5_IJNSC_16discard_iteratorINSC_11use_defaultEEESN_EEEEEPS7_SQ_SQ_NSC_11hip_rocprim7__merge17predicate_wrapperIttNSC_4lessItEEEEEE10hipError_tPvRmT0_T1_T2_T3_T4_T5_mmT6_P12ihipStream_tbEUlT_E_NS1_11comp_targetILNS1_3genE10ELNS1_11target_archE1201ELNS1_3gpuE5ELNS1_3repE0EEENS1_30default_config_static_selectorELNS0_4arch9wavefront6targetE0EEEvS11_.num_named_barrier, 0
	.set _ZN7rocprim17ROCPRIM_400000_NS6detail17trampoline_kernelINS0_14default_configENS1_21merge_config_selectorINS0_5tupleIJttEEENS0_10empty_typeEEEZNS1_10merge_implIS3_NS0_12zip_iteratorINS5_IJN6thrust23THRUST_200600_302600_NS6detail15normal_iteratorINSC_10device_ptrIKtEEEESI_EEEEESK_NSA_INS5_IJNSC_16discard_iteratorINSC_11use_defaultEEESN_EEEEEPS7_SQ_SQ_NSC_11hip_rocprim7__merge17predicate_wrapperIttNSC_4lessItEEEEEE10hipError_tPvRmT0_T1_T2_T3_T4_T5_mmT6_P12ihipStream_tbEUlT_E_NS1_11comp_targetILNS1_3genE10ELNS1_11target_archE1201ELNS1_3gpuE5ELNS1_3repE0EEENS1_30default_config_static_selectorELNS0_4arch9wavefront6targetE0EEEvS11_.private_seg_size, 0
	.set _ZN7rocprim17ROCPRIM_400000_NS6detail17trampoline_kernelINS0_14default_configENS1_21merge_config_selectorINS0_5tupleIJttEEENS0_10empty_typeEEEZNS1_10merge_implIS3_NS0_12zip_iteratorINS5_IJN6thrust23THRUST_200600_302600_NS6detail15normal_iteratorINSC_10device_ptrIKtEEEESI_EEEEESK_NSA_INS5_IJNSC_16discard_iteratorINSC_11use_defaultEEESN_EEEEEPS7_SQ_SQ_NSC_11hip_rocprim7__merge17predicate_wrapperIttNSC_4lessItEEEEEE10hipError_tPvRmT0_T1_T2_T3_T4_T5_mmT6_P12ihipStream_tbEUlT_E_NS1_11comp_targetILNS1_3genE10ELNS1_11target_archE1201ELNS1_3gpuE5ELNS1_3repE0EEENS1_30default_config_static_selectorELNS0_4arch9wavefront6targetE0EEEvS11_.uses_vcc, 0
	.set _ZN7rocprim17ROCPRIM_400000_NS6detail17trampoline_kernelINS0_14default_configENS1_21merge_config_selectorINS0_5tupleIJttEEENS0_10empty_typeEEEZNS1_10merge_implIS3_NS0_12zip_iteratorINS5_IJN6thrust23THRUST_200600_302600_NS6detail15normal_iteratorINSC_10device_ptrIKtEEEESI_EEEEESK_NSA_INS5_IJNSC_16discard_iteratorINSC_11use_defaultEEESN_EEEEEPS7_SQ_SQ_NSC_11hip_rocprim7__merge17predicate_wrapperIttNSC_4lessItEEEEEE10hipError_tPvRmT0_T1_T2_T3_T4_T5_mmT6_P12ihipStream_tbEUlT_E_NS1_11comp_targetILNS1_3genE10ELNS1_11target_archE1201ELNS1_3gpuE5ELNS1_3repE0EEENS1_30default_config_static_selectorELNS0_4arch9wavefront6targetE0EEEvS11_.uses_flat_scratch, 0
	.set _ZN7rocprim17ROCPRIM_400000_NS6detail17trampoline_kernelINS0_14default_configENS1_21merge_config_selectorINS0_5tupleIJttEEENS0_10empty_typeEEEZNS1_10merge_implIS3_NS0_12zip_iteratorINS5_IJN6thrust23THRUST_200600_302600_NS6detail15normal_iteratorINSC_10device_ptrIKtEEEESI_EEEEESK_NSA_INS5_IJNSC_16discard_iteratorINSC_11use_defaultEEESN_EEEEEPS7_SQ_SQ_NSC_11hip_rocprim7__merge17predicate_wrapperIttNSC_4lessItEEEEEE10hipError_tPvRmT0_T1_T2_T3_T4_T5_mmT6_P12ihipStream_tbEUlT_E_NS1_11comp_targetILNS1_3genE10ELNS1_11target_archE1201ELNS1_3gpuE5ELNS1_3repE0EEENS1_30default_config_static_selectorELNS0_4arch9wavefront6targetE0EEEvS11_.has_dyn_sized_stack, 0
	.set _ZN7rocprim17ROCPRIM_400000_NS6detail17trampoline_kernelINS0_14default_configENS1_21merge_config_selectorINS0_5tupleIJttEEENS0_10empty_typeEEEZNS1_10merge_implIS3_NS0_12zip_iteratorINS5_IJN6thrust23THRUST_200600_302600_NS6detail15normal_iteratorINSC_10device_ptrIKtEEEESI_EEEEESK_NSA_INS5_IJNSC_16discard_iteratorINSC_11use_defaultEEESN_EEEEEPS7_SQ_SQ_NSC_11hip_rocprim7__merge17predicate_wrapperIttNSC_4lessItEEEEEE10hipError_tPvRmT0_T1_T2_T3_T4_T5_mmT6_P12ihipStream_tbEUlT_E_NS1_11comp_targetILNS1_3genE10ELNS1_11target_archE1201ELNS1_3gpuE5ELNS1_3repE0EEENS1_30default_config_static_selectorELNS0_4arch9wavefront6targetE0EEEvS11_.has_recursion, 0
	.set _ZN7rocprim17ROCPRIM_400000_NS6detail17trampoline_kernelINS0_14default_configENS1_21merge_config_selectorINS0_5tupleIJttEEENS0_10empty_typeEEEZNS1_10merge_implIS3_NS0_12zip_iteratorINS5_IJN6thrust23THRUST_200600_302600_NS6detail15normal_iteratorINSC_10device_ptrIKtEEEESI_EEEEESK_NSA_INS5_IJNSC_16discard_iteratorINSC_11use_defaultEEESN_EEEEEPS7_SQ_SQ_NSC_11hip_rocprim7__merge17predicate_wrapperIttNSC_4lessItEEEEEE10hipError_tPvRmT0_T1_T2_T3_T4_T5_mmT6_P12ihipStream_tbEUlT_E_NS1_11comp_targetILNS1_3genE10ELNS1_11target_archE1201ELNS1_3gpuE5ELNS1_3repE0EEENS1_30default_config_static_selectorELNS0_4arch9wavefront6targetE0EEEvS11_.has_indirect_call, 0
	.section	.AMDGPU.csdata,"",@progbits
; Kernel info:
; codeLenInByte = 0
; TotalNumSgprs: 0
; NumVgprs: 0
; ScratchSize: 0
; MemoryBound: 0
; FloatMode: 240
; IeeeMode: 1
; LDSByteSize: 0 bytes/workgroup (compile time only)
; SGPRBlocks: 0
; VGPRBlocks: 0
; NumSGPRsForWavesPerEU: 1
; NumVGPRsForWavesPerEU: 1
; Occupancy: 16
; WaveLimiterHint : 0
; COMPUTE_PGM_RSRC2:SCRATCH_EN: 0
; COMPUTE_PGM_RSRC2:USER_SGPR: 6
; COMPUTE_PGM_RSRC2:TRAP_HANDLER: 0
; COMPUTE_PGM_RSRC2:TGID_X_EN: 1
; COMPUTE_PGM_RSRC2:TGID_Y_EN: 0
; COMPUTE_PGM_RSRC2:TGID_Z_EN: 0
; COMPUTE_PGM_RSRC2:TIDIG_COMP_CNT: 0
	.section	.text._ZN7rocprim17ROCPRIM_400000_NS6detail17trampoline_kernelINS0_14default_configENS1_21merge_config_selectorINS0_5tupleIJttEEENS0_10empty_typeEEEZNS1_10merge_implIS3_NS0_12zip_iteratorINS5_IJN6thrust23THRUST_200600_302600_NS6detail15normal_iteratorINSC_10device_ptrIKtEEEESI_EEEEESK_NSA_INS5_IJNSC_16discard_iteratorINSC_11use_defaultEEESN_EEEEEPS7_SQ_SQ_NSC_11hip_rocprim7__merge17predicate_wrapperIttNSC_4lessItEEEEEE10hipError_tPvRmT0_T1_T2_T3_T4_T5_mmT6_P12ihipStream_tbEUlT_E_NS1_11comp_targetILNS1_3genE10ELNS1_11target_archE1200ELNS1_3gpuE4ELNS1_3repE0EEENS1_30default_config_static_selectorELNS0_4arch9wavefront6targetE0EEEvS11_,"axG",@progbits,_ZN7rocprim17ROCPRIM_400000_NS6detail17trampoline_kernelINS0_14default_configENS1_21merge_config_selectorINS0_5tupleIJttEEENS0_10empty_typeEEEZNS1_10merge_implIS3_NS0_12zip_iteratorINS5_IJN6thrust23THRUST_200600_302600_NS6detail15normal_iteratorINSC_10device_ptrIKtEEEESI_EEEEESK_NSA_INS5_IJNSC_16discard_iteratorINSC_11use_defaultEEESN_EEEEEPS7_SQ_SQ_NSC_11hip_rocprim7__merge17predicate_wrapperIttNSC_4lessItEEEEEE10hipError_tPvRmT0_T1_T2_T3_T4_T5_mmT6_P12ihipStream_tbEUlT_E_NS1_11comp_targetILNS1_3genE10ELNS1_11target_archE1200ELNS1_3gpuE4ELNS1_3repE0EEENS1_30default_config_static_selectorELNS0_4arch9wavefront6targetE0EEEvS11_,comdat
	.protected	_ZN7rocprim17ROCPRIM_400000_NS6detail17trampoline_kernelINS0_14default_configENS1_21merge_config_selectorINS0_5tupleIJttEEENS0_10empty_typeEEEZNS1_10merge_implIS3_NS0_12zip_iteratorINS5_IJN6thrust23THRUST_200600_302600_NS6detail15normal_iteratorINSC_10device_ptrIKtEEEESI_EEEEESK_NSA_INS5_IJNSC_16discard_iteratorINSC_11use_defaultEEESN_EEEEEPS7_SQ_SQ_NSC_11hip_rocprim7__merge17predicate_wrapperIttNSC_4lessItEEEEEE10hipError_tPvRmT0_T1_T2_T3_T4_T5_mmT6_P12ihipStream_tbEUlT_E_NS1_11comp_targetILNS1_3genE10ELNS1_11target_archE1200ELNS1_3gpuE4ELNS1_3repE0EEENS1_30default_config_static_selectorELNS0_4arch9wavefront6targetE0EEEvS11_ ; -- Begin function _ZN7rocprim17ROCPRIM_400000_NS6detail17trampoline_kernelINS0_14default_configENS1_21merge_config_selectorINS0_5tupleIJttEEENS0_10empty_typeEEEZNS1_10merge_implIS3_NS0_12zip_iteratorINS5_IJN6thrust23THRUST_200600_302600_NS6detail15normal_iteratorINSC_10device_ptrIKtEEEESI_EEEEESK_NSA_INS5_IJNSC_16discard_iteratorINSC_11use_defaultEEESN_EEEEEPS7_SQ_SQ_NSC_11hip_rocprim7__merge17predicate_wrapperIttNSC_4lessItEEEEEE10hipError_tPvRmT0_T1_T2_T3_T4_T5_mmT6_P12ihipStream_tbEUlT_E_NS1_11comp_targetILNS1_3genE10ELNS1_11target_archE1200ELNS1_3gpuE4ELNS1_3repE0EEENS1_30default_config_static_selectorELNS0_4arch9wavefront6targetE0EEEvS11_
	.globl	_ZN7rocprim17ROCPRIM_400000_NS6detail17trampoline_kernelINS0_14default_configENS1_21merge_config_selectorINS0_5tupleIJttEEENS0_10empty_typeEEEZNS1_10merge_implIS3_NS0_12zip_iteratorINS5_IJN6thrust23THRUST_200600_302600_NS6detail15normal_iteratorINSC_10device_ptrIKtEEEESI_EEEEESK_NSA_INS5_IJNSC_16discard_iteratorINSC_11use_defaultEEESN_EEEEEPS7_SQ_SQ_NSC_11hip_rocprim7__merge17predicate_wrapperIttNSC_4lessItEEEEEE10hipError_tPvRmT0_T1_T2_T3_T4_T5_mmT6_P12ihipStream_tbEUlT_E_NS1_11comp_targetILNS1_3genE10ELNS1_11target_archE1200ELNS1_3gpuE4ELNS1_3repE0EEENS1_30default_config_static_selectorELNS0_4arch9wavefront6targetE0EEEvS11_
	.p2align	8
	.type	_ZN7rocprim17ROCPRIM_400000_NS6detail17trampoline_kernelINS0_14default_configENS1_21merge_config_selectorINS0_5tupleIJttEEENS0_10empty_typeEEEZNS1_10merge_implIS3_NS0_12zip_iteratorINS5_IJN6thrust23THRUST_200600_302600_NS6detail15normal_iteratorINSC_10device_ptrIKtEEEESI_EEEEESK_NSA_INS5_IJNSC_16discard_iteratorINSC_11use_defaultEEESN_EEEEEPS7_SQ_SQ_NSC_11hip_rocprim7__merge17predicate_wrapperIttNSC_4lessItEEEEEE10hipError_tPvRmT0_T1_T2_T3_T4_T5_mmT6_P12ihipStream_tbEUlT_E_NS1_11comp_targetILNS1_3genE10ELNS1_11target_archE1200ELNS1_3gpuE4ELNS1_3repE0EEENS1_30default_config_static_selectorELNS0_4arch9wavefront6targetE0EEEvS11_,@function
_ZN7rocprim17ROCPRIM_400000_NS6detail17trampoline_kernelINS0_14default_configENS1_21merge_config_selectorINS0_5tupleIJttEEENS0_10empty_typeEEEZNS1_10merge_implIS3_NS0_12zip_iteratorINS5_IJN6thrust23THRUST_200600_302600_NS6detail15normal_iteratorINSC_10device_ptrIKtEEEESI_EEEEESK_NSA_INS5_IJNSC_16discard_iteratorINSC_11use_defaultEEESN_EEEEEPS7_SQ_SQ_NSC_11hip_rocprim7__merge17predicate_wrapperIttNSC_4lessItEEEEEE10hipError_tPvRmT0_T1_T2_T3_T4_T5_mmT6_P12ihipStream_tbEUlT_E_NS1_11comp_targetILNS1_3genE10ELNS1_11target_archE1200ELNS1_3gpuE4ELNS1_3repE0EEENS1_30default_config_static_selectorELNS0_4arch9wavefront6targetE0EEEvS11_: ; @_ZN7rocprim17ROCPRIM_400000_NS6detail17trampoline_kernelINS0_14default_configENS1_21merge_config_selectorINS0_5tupleIJttEEENS0_10empty_typeEEEZNS1_10merge_implIS3_NS0_12zip_iteratorINS5_IJN6thrust23THRUST_200600_302600_NS6detail15normal_iteratorINSC_10device_ptrIKtEEEESI_EEEEESK_NSA_INS5_IJNSC_16discard_iteratorINSC_11use_defaultEEESN_EEEEEPS7_SQ_SQ_NSC_11hip_rocprim7__merge17predicate_wrapperIttNSC_4lessItEEEEEE10hipError_tPvRmT0_T1_T2_T3_T4_T5_mmT6_P12ihipStream_tbEUlT_E_NS1_11comp_targetILNS1_3genE10ELNS1_11target_archE1200ELNS1_3gpuE4ELNS1_3repE0EEENS1_30default_config_static_selectorELNS0_4arch9wavefront6targetE0EEEvS11_
; %bb.0:
	.section	.rodata,"a",@progbits
	.p2align	6, 0x0
	.amdhsa_kernel _ZN7rocprim17ROCPRIM_400000_NS6detail17trampoline_kernelINS0_14default_configENS1_21merge_config_selectorINS0_5tupleIJttEEENS0_10empty_typeEEEZNS1_10merge_implIS3_NS0_12zip_iteratorINS5_IJN6thrust23THRUST_200600_302600_NS6detail15normal_iteratorINSC_10device_ptrIKtEEEESI_EEEEESK_NSA_INS5_IJNSC_16discard_iteratorINSC_11use_defaultEEESN_EEEEEPS7_SQ_SQ_NSC_11hip_rocprim7__merge17predicate_wrapperIttNSC_4lessItEEEEEE10hipError_tPvRmT0_T1_T2_T3_T4_T5_mmT6_P12ihipStream_tbEUlT_E_NS1_11comp_targetILNS1_3genE10ELNS1_11target_archE1200ELNS1_3gpuE4ELNS1_3repE0EEENS1_30default_config_static_selectorELNS0_4arch9wavefront6targetE0EEEvS11_
		.amdhsa_group_segment_fixed_size 0
		.amdhsa_private_segment_fixed_size 0
		.amdhsa_kernarg_size 64
		.amdhsa_user_sgpr_count 6
		.amdhsa_user_sgpr_private_segment_buffer 1
		.amdhsa_user_sgpr_dispatch_ptr 0
		.amdhsa_user_sgpr_queue_ptr 0
		.amdhsa_user_sgpr_kernarg_segment_ptr 1
		.amdhsa_user_sgpr_dispatch_id 0
		.amdhsa_user_sgpr_flat_scratch_init 0
		.amdhsa_user_sgpr_private_segment_size 0
		.amdhsa_wavefront_size32 1
		.amdhsa_uses_dynamic_stack 0
		.amdhsa_system_sgpr_private_segment_wavefront_offset 0
		.amdhsa_system_sgpr_workgroup_id_x 1
		.amdhsa_system_sgpr_workgroup_id_y 0
		.amdhsa_system_sgpr_workgroup_id_z 0
		.amdhsa_system_sgpr_workgroup_info 0
		.amdhsa_system_vgpr_workitem_id 0
		.amdhsa_next_free_vgpr 1
		.amdhsa_next_free_sgpr 1
		.amdhsa_reserve_vcc 0
		.amdhsa_reserve_flat_scratch 0
		.amdhsa_float_round_mode_32 0
		.amdhsa_float_round_mode_16_64 0
		.amdhsa_float_denorm_mode_32 3
		.amdhsa_float_denorm_mode_16_64 3
		.amdhsa_dx10_clamp 1
		.amdhsa_ieee_mode 1
		.amdhsa_fp16_overflow 0
		.amdhsa_workgroup_processor_mode 1
		.amdhsa_memory_ordered 1
		.amdhsa_forward_progress 1
		.amdhsa_shared_vgpr_count 0
		.amdhsa_exception_fp_ieee_invalid_op 0
		.amdhsa_exception_fp_denorm_src 0
		.amdhsa_exception_fp_ieee_div_zero 0
		.amdhsa_exception_fp_ieee_overflow 0
		.amdhsa_exception_fp_ieee_underflow 0
		.amdhsa_exception_fp_ieee_inexact 0
		.amdhsa_exception_int_div_zero 0
	.end_amdhsa_kernel
	.section	.text._ZN7rocprim17ROCPRIM_400000_NS6detail17trampoline_kernelINS0_14default_configENS1_21merge_config_selectorINS0_5tupleIJttEEENS0_10empty_typeEEEZNS1_10merge_implIS3_NS0_12zip_iteratorINS5_IJN6thrust23THRUST_200600_302600_NS6detail15normal_iteratorINSC_10device_ptrIKtEEEESI_EEEEESK_NSA_INS5_IJNSC_16discard_iteratorINSC_11use_defaultEEESN_EEEEEPS7_SQ_SQ_NSC_11hip_rocprim7__merge17predicate_wrapperIttNSC_4lessItEEEEEE10hipError_tPvRmT0_T1_T2_T3_T4_T5_mmT6_P12ihipStream_tbEUlT_E_NS1_11comp_targetILNS1_3genE10ELNS1_11target_archE1200ELNS1_3gpuE4ELNS1_3repE0EEENS1_30default_config_static_selectorELNS0_4arch9wavefront6targetE0EEEvS11_,"axG",@progbits,_ZN7rocprim17ROCPRIM_400000_NS6detail17trampoline_kernelINS0_14default_configENS1_21merge_config_selectorINS0_5tupleIJttEEENS0_10empty_typeEEEZNS1_10merge_implIS3_NS0_12zip_iteratorINS5_IJN6thrust23THRUST_200600_302600_NS6detail15normal_iteratorINSC_10device_ptrIKtEEEESI_EEEEESK_NSA_INS5_IJNSC_16discard_iteratorINSC_11use_defaultEEESN_EEEEEPS7_SQ_SQ_NSC_11hip_rocprim7__merge17predicate_wrapperIttNSC_4lessItEEEEEE10hipError_tPvRmT0_T1_T2_T3_T4_T5_mmT6_P12ihipStream_tbEUlT_E_NS1_11comp_targetILNS1_3genE10ELNS1_11target_archE1200ELNS1_3gpuE4ELNS1_3repE0EEENS1_30default_config_static_selectorELNS0_4arch9wavefront6targetE0EEEvS11_,comdat
.Lfunc_end557:
	.size	_ZN7rocprim17ROCPRIM_400000_NS6detail17trampoline_kernelINS0_14default_configENS1_21merge_config_selectorINS0_5tupleIJttEEENS0_10empty_typeEEEZNS1_10merge_implIS3_NS0_12zip_iteratorINS5_IJN6thrust23THRUST_200600_302600_NS6detail15normal_iteratorINSC_10device_ptrIKtEEEESI_EEEEESK_NSA_INS5_IJNSC_16discard_iteratorINSC_11use_defaultEEESN_EEEEEPS7_SQ_SQ_NSC_11hip_rocprim7__merge17predicate_wrapperIttNSC_4lessItEEEEEE10hipError_tPvRmT0_T1_T2_T3_T4_T5_mmT6_P12ihipStream_tbEUlT_E_NS1_11comp_targetILNS1_3genE10ELNS1_11target_archE1200ELNS1_3gpuE4ELNS1_3repE0EEENS1_30default_config_static_selectorELNS0_4arch9wavefront6targetE0EEEvS11_, .Lfunc_end557-_ZN7rocprim17ROCPRIM_400000_NS6detail17trampoline_kernelINS0_14default_configENS1_21merge_config_selectorINS0_5tupleIJttEEENS0_10empty_typeEEEZNS1_10merge_implIS3_NS0_12zip_iteratorINS5_IJN6thrust23THRUST_200600_302600_NS6detail15normal_iteratorINSC_10device_ptrIKtEEEESI_EEEEESK_NSA_INS5_IJNSC_16discard_iteratorINSC_11use_defaultEEESN_EEEEEPS7_SQ_SQ_NSC_11hip_rocprim7__merge17predicate_wrapperIttNSC_4lessItEEEEEE10hipError_tPvRmT0_T1_T2_T3_T4_T5_mmT6_P12ihipStream_tbEUlT_E_NS1_11comp_targetILNS1_3genE10ELNS1_11target_archE1200ELNS1_3gpuE4ELNS1_3repE0EEENS1_30default_config_static_selectorELNS0_4arch9wavefront6targetE0EEEvS11_
                                        ; -- End function
	.set _ZN7rocprim17ROCPRIM_400000_NS6detail17trampoline_kernelINS0_14default_configENS1_21merge_config_selectorINS0_5tupleIJttEEENS0_10empty_typeEEEZNS1_10merge_implIS3_NS0_12zip_iteratorINS5_IJN6thrust23THRUST_200600_302600_NS6detail15normal_iteratorINSC_10device_ptrIKtEEEESI_EEEEESK_NSA_INS5_IJNSC_16discard_iteratorINSC_11use_defaultEEESN_EEEEEPS7_SQ_SQ_NSC_11hip_rocprim7__merge17predicate_wrapperIttNSC_4lessItEEEEEE10hipError_tPvRmT0_T1_T2_T3_T4_T5_mmT6_P12ihipStream_tbEUlT_E_NS1_11comp_targetILNS1_3genE10ELNS1_11target_archE1200ELNS1_3gpuE4ELNS1_3repE0EEENS1_30default_config_static_selectorELNS0_4arch9wavefront6targetE0EEEvS11_.num_vgpr, 0
	.set _ZN7rocprim17ROCPRIM_400000_NS6detail17trampoline_kernelINS0_14default_configENS1_21merge_config_selectorINS0_5tupleIJttEEENS0_10empty_typeEEEZNS1_10merge_implIS3_NS0_12zip_iteratorINS5_IJN6thrust23THRUST_200600_302600_NS6detail15normal_iteratorINSC_10device_ptrIKtEEEESI_EEEEESK_NSA_INS5_IJNSC_16discard_iteratorINSC_11use_defaultEEESN_EEEEEPS7_SQ_SQ_NSC_11hip_rocprim7__merge17predicate_wrapperIttNSC_4lessItEEEEEE10hipError_tPvRmT0_T1_T2_T3_T4_T5_mmT6_P12ihipStream_tbEUlT_E_NS1_11comp_targetILNS1_3genE10ELNS1_11target_archE1200ELNS1_3gpuE4ELNS1_3repE0EEENS1_30default_config_static_selectorELNS0_4arch9wavefront6targetE0EEEvS11_.num_agpr, 0
	.set _ZN7rocprim17ROCPRIM_400000_NS6detail17trampoline_kernelINS0_14default_configENS1_21merge_config_selectorINS0_5tupleIJttEEENS0_10empty_typeEEEZNS1_10merge_implIS3_NS0_12zip_iteratorINS5_IJN6thrust23THRUST_200600_302600_NS6detail15normal_iteratorINSC_10device_ptrIKtEEEESI_EEEEESK_NSA_INS5_IJNSC_16discard_iteratorINSC_11use_defaultEEESN_EEEEEPS7_SQ_SQ_NSC_11hip_rocprim7__merge17predicate_wrapperIttNSC_4lessItEEEEEE10hipError_tPvRmT0_T1_T2_T3_T4_T5_mmT6_P12ihipStream_tbEUlT_E_NS1_11comp_targetILNS1_3genE10ELNS1_11target_archE1200ELNS1_3gpuE4ELNS1_3repE0EEENS1_30default_config_static_selectorELNS0_4arch9wavefront6targetE0EEEvS11_.numbered_sgpr, 0
	.set _ZN7rocprim17ROCPRIM_400000_NS6detail17trampoline_kernelINS0_14default_configENS1_21merge_config_selectorINS0_5tupleIJttEEENS0_10empty_typeEEEZNS1_10merge_implIS3_NS0_12zip_iteratorINS5_IJN6thrust23THRUST_200600_302600_NS6detail15normal_iteratorINSC_10device_ptrIKtEEEESI_EEEEESK_NSA_INS5_IJNSC_16discard_iteratorINSC_11use_defaultEEESN_EEEEEPS7_SQ_SQ_NSC_11hip_rocprim7__merge17predicate_wrapperIttNSC_4lessItEEEEEE10hipError_tPvRmT0_T1_T2_T3_T4_T5_mmT6_P12ihipStream_tbEUlT_E_NS1_11comp_targetILNS1_3genE10ELNS1_11target_archE1200ELNS1_3gpuE4ELNS1_3repE0EEENS1_30default_config_static_selectorELNS0_4arch9wavefront6targetE0EEEvS11_.num_named_barrier, 0
	.set _ZN7rocprim17ROCPRIM_400000_NS6detail17trampoline_kernelINS0_14default_configENS1_21merge_config_selectorINS0_5tupleIJttEEENS0_10empty_typeEEEZNS1_10merge_implIS3_NS0_12zip_iteratorINS5_IJN6thrust23THRUST_200600_302600_NS6detail15normal_iteratorINSC_10device_ptrIKtEEEESI_EEEEESK_NSA_INS5_IJNSC_16discard_iteratorINSC_11use_defaultEEESN_EEEEEPS7_SQ_SQ_NSC_11hip_rocprim7__merge17predicate_wrapperIttNSC_4lessItEEEEEE10hipError_tPvRmT0_T1_T2_T3_T4_T5_mmT6_P12ihipStream_tbEUlT_E_NS1_11comp_targetILNS1_3genE10ELNS1_11target_archE1200ELNS1_3gpuE4ELNS1_3repE0EEENS1_30default_config_static_selectorELNS0_4arch9wavefront6targetE0EEEvS11_.private_seg_size, 0
	.set _ZN7rocprim17ROCPRIM_400000_NS6detail17trampoline_kernelINS0_14default_configENS1_21merge_config_selectorINS0_5tupleIJttEEENS0_10empty_typeEEEZNS1_10merge_implIS3_NS0_12zip_iteratorINS5_IJN6thrust23THRUST_200600_302600_NS6detail15normal_iteratorINSC_10device_ptrIKtEEEESI_EEEEESK_NSA_INS5_IJNSC_16discard_iteratorINSC_11use_defaultEEESN_EEEEEPS7_SQ_SQ_NSC_11hip_rocprim7__merge17predicate_wrapperIttNSC_4lessItEEEEEE10hipError_tPvRmT0_T1_T2_T3_T4_T5_mmT6_P12ihipStream_tbEUlT_E_NS1_11comp_targetILNS1_3genE10ELNS1_11target_archE1200ELNS1_3gpuE4ELNS1_3repE0EEENS1_30default_config_static_selectorELNS0_4arch9wavefront6targetE0EEEvS11_.uses_vcc, 0
	.set _ZN7rocprim17ROCPRIM_400000_NS6detail17trampoline_kernelINS0_14default_configENS1_21merge_config_selectorINS0_5tupleIJttEEENS0_10empty_typeEEEZNS1_10merge_implIS3_NS0_12zip_iteratorINS5_IJN6thrust23THRUST_200600_302600_NS6detail15normal_iteratorINSC_10device_ptrIKtEEEESI_EEEEESK_NSA_INS5_IJNSC_16discard_iteratorINSC_11use_defaultEEESN_EEEEEPS7_SQ_SQ_NSC_11hip_rocprim7__merge17predicate_wrapperIttNSC_4lessItEEEEEE10hipError_tPvRmT0_T1_T2_T3_T4_T5_mmT6_P12ihipStream_tbEUlT_E_NS1_11comp_targetILNS1_3genE10ELNS1_11target_archE1200ELNS1_3gpuE4ELNS1_3repE0EEENS1_30default_config_static_selectorELNS0_4arch9wavefront6targetE0EEEvS11_.uses_flat_scratch, 0
	.set _ZN7rocprim17ROCPRIM_400000_NS6detail17trampoline_kernelINS0_14default_configENS1_21merge_config_selectorINS0_5tupleIJttEEENS0_10empty_typeEEEZNS1_10merge_implIS3_NS0_12zip_iteratorINS5_IJN6thrust23THRUST_200600_302600_NS6detail15normal_iteratorINSC_10device_ptrIKtEEEESI_EEEEESK_NSA_INS5_IJNSC_16discard_iteratorINSC_11use_defaultEEESN_EEEEEPS7_SQ_SQ_NSC_11hip_rocprim7__merge17predicate_wrapperIttNSC_4lessItEEEEEE10hipError_tPvRmT0_T1_T2_T3_T4_T5_mmT6_P12ihipStream_tbEUlT_E_NS1_11comp_targetILNS1_3genE10ELNS1_11target_archE1200ELNS1_3gpuE4ELNS1_3repE0EEENS1_30default_config_static_selectorELNS0_4arch9wavefront6targetE0EEEvS11_.has_dyn_sized_stack, 0
	.set _ZN7rocprim17ROCPRIM_400000_NS6detail17trampoline_kernelINS0_14default_configENS1_21merge_config_selectorINS0_5tupleIJttEEENS0_10empty_typeEEEZNS1_10merge_implIS3_NS0_12zip_iteratorINS5_IJN6thrust23THRUST_200600_302600_NS6detail15normal_iteratorINSC_10device_ptrIKtEEEESI_EEEEESK_NSA_INS5_IJNSC_16discard_iteratorINSC_11use_defaultEEESN_EEEEEPS7_SQ_SQ_NSC_11hip_rocprim7__merge17predicate_wrapperIttNSC_4lessItEEEEEE10hipError_tPvRmT0_T1_T2_T3_T4_T5_mmT6_P12ihipStream_tbEUlT_E_NS1_11comp_targetILNS1_3genE10ELNS1_11target_archE1200ELNS1_3gpuE4ELNS1_3repE0EEENS1_30default_config_static_selectorELNS0_4arch9wavefront6targetE0EEEvS11_.has_recursion, 0
	.set _ZN7rocprim17ROCPRIM_400000_NS6detail17trampoline_kernelINS0_14default_configENS1_21merge_config_selectorINS0_5tupleIJttEEENS0_10empty_typeEEEZNS1_10merge_implIS3_NS0_12zip_iteratorINS5_IJN6thrust23THRUST_200600_302600_NS6detail15normal_iteratorINSC_10device_ptrIKtEEEESI_EEEEESK_NSA_INS5_IJNSC_16discard_iteratorINSC_11use_defaultEEESN_EEEEEPS7_SQ_SQ_NSC_11hip_rocprim7__merge17predicate_wrapperIttNSC_4lessItEEEEEE10hipError_tPvRmT0_T1_T2_T3_T4_T5_mmT6_P12ihipStream_tbEUlT_E_NS1_11comp_targetILNS1_3genE10ELNS1_11target_archE1200ELNS1_3gpuE4ELNS1_3repE0EEENS1_30default_config_static_selectorELNS0_4arch9wavefront6targetE0EEEvS11_.has_indirect_call, 0
	.section	.AMDGPU.csdata,"",@progbits
; Kernel info:
; codeLenInByte = 0
; TotalNumSgprs: 0
; NumVgprs: 0
; ScratchSize: 0
; MemoryBound: 0
; FloatMode: 240
; IeeeMode: 1
; LDSByteSize: 0 bytes/workgroup (compile time only)
; SGPRBlocks: 0
; VGPRBlocks: 0
; NumSGPRsForWavesPerEU: 1
; NumVGPRsForWavesPerEU: 1
; Occupancy: 16
; WaveLimiterHint : 0
; COMPUTE_PGM_RSRC2:SCRATCH_EN: 0
; COMPUTE_PGM_RSRC2:USER_SGPR: 6
; COMPUTE_PGM_RSRC2:TRAP_HANDLER: 0
; COMPUTE_PGM_RSRC2:TGID_X_EN: 1
; COMPUTE_PGM_RSRC2:TGID_Y_EN: 0
; COMPUTE_PGM_RSRC2:TGID_Z_EN: 0
; COMPUTE_PGM_RSRC2:TIDIG_COMP_CNT: 0
	.section	.text._ZN7rocprim17ROCPRIM_400000_NS6detail17trampoline_kernelINS0_14default_configENS1_21merge_config_selectorINS0_5tupleIJttEEENS0_10empty_typeEEEZNS1_10merge_implIS3_NS0_12zip_iteratorINS5_IJN6thrust23THRUST_200600_302600_NS6detail15normal_iteratorINSC_10device_ptrIKtEEEESI_EEEEESK_NSA_INS5_IJNSC_16discard_iteratorINSC_11use_defaultEEESN_EEEEEPS7_SQ_SQ_NSC_11hip_rocprim7__merge17predicate_wrapperIttNSC_4lessItEEEEEE10hipError_tPvRmT0_T1_T2_T3_T4_T5_mmT6_P12ihipStream_tbEUlT_E_NS1_11comp_targetILNS1_3genE9ELNS1_11target_archE1100ELNS1_3gpuE3ELNS1_3repE0EEENS1_30default_config_static_selectorELNS0_4arch9wavefront6targetE0EEEvS11_,"axG",@progbits,_ZN7rocprim17ROCPRIM_400000_NS6detail17trampoline_kernelINS0_14default_configENS1_21merge_config_selectorINS0_5tupleIJttEEENS0_10empty_typeEEEZNS1_10merge_implIS3_NS0_12zip_iteratorINS5_IJN6thrust23THRUST_200600_302600_NS6detail15normal_iteratorINSC_10device_ptrIKtEEEESI_EEEEESK_NSA_INS5_IJNSC_16discard_iteratorINSC_11use_defaultEEESN_EEEEEPS7_SQ_SQ_NSC_11hip_rocprim7__merge17predicate_wrapperIttNSC_4lessItEEEEEE10hipError_tPvRmT0_T1_T2_T3_T4_T5_mmT6_P12ihipStream_tbEUlT_E_NS1_11comp_targetILNS1_3genE9ELNS1_11target_archE1100ELNS1_3gpuE3ELNS1_3repE0EEENS1_30default_config_static_selectorELNS0_4arch9wavefront6targetE0EEEvS11_,comdat
	.protected	_ZN7rocprim17ROCPRIM_400000_NS6detail17trampoline_kernelINS0_14default_configENS1_21merge_config_selectorINS0_5tupleIJttEEENS0_10empty_typeEEEZNS1_10merge_implIS3_NS0_12zip_iteratorINS5_IJN6thrust23THRUST_200600_302600_NS6detail15normal_iteratorINSC_10device_ptrIKtEEEESI_EEEEESK_NSA_INS5_IJNSC_16discard_iteratorINSC_11use_defaultEEESN_EEEEEPS7_SQ_SQ_NSC_11hip_rocprim7__merge17predicate_wrapperIttNSC_4lessItEEEEEE10hipError_tPvRmT0_T1_T2_T3_T4_T5_mmT6_P12ihipStream_tbEUlT_E_NS1_11comp_targetILNS1_3genE9ELNS1_11target_archE1100ELNS1_3gpuE3ELNS1_3repE0EEENS1_30default_config_static_selectorELNS0_4arch9wavefront6targetE0EEEvS11_ ; -- Begin function _ZN7rocprim17ROCPRIM_400000_NS6detail17trampoline_kernelINS0_14default_configENS1_21merge_config_selectorINS0_5tupleIJttEEENS0_10empty_typeEEEZNS1_10merge_implIS3_NS0_12zip_iteratorINS5_IJN6thrust23THRUST_200600_302600_NS6detail15normal_iteratorINSC_10device_ptrIKtEEEESI_EEEEESK_NSA_INS5_IJNSC_16discard_iteratorINSC_11use_defaultEEESN_EEEEEPS7_SQ_SQ_NSC_11hip_rocprim7__merge17predicate_wrapperIttNSC_4lessItEEEEEE10hipError_tPvRmT0_T1_T2_T3_T4_T5_mmT6_P12ihipStream_tbEUlT_E_NS1_11comp_targetILNS1_3genE9ELNS1_11target_archE1100ELNS1_3gpuE3ELNS1_3repE0EEENS1_30default_config_static_selectorELNS0_4arch9wavefront6targetE0EEEvS11_
	.globl	_ZN7rocprim17ROCPRIM_400000_NS6detail17trampoline_kernelINS0_14default_configENS1_21merge_config_selectorINS0_5tupleIJttEEENS0_10empty_typeEEEZNS1_10merge_implIS3_NS0_12zip_iteratorINS5_IJN6thrust23THRUST_200600_302600_NS6detail15normal_iteratorINSC_10device_ptrIKtEEEESI_EEEEESK_NSA_INS5_IJNSC_16discard_iteratorINSC_11use_defaultEEESN_EEEEEPS7_SQ_SQ_NSC_11hip_rocprim7__merge17predicate_wrapperIttNSC_4lessItEEEEEE10hipError_tPvRmT0_T1_T2_T3_T4_T5_mmT6_P12ihipStream_tbEUlT_E_NS1_11comp_targetILNS1_3genE9ELNS1_11target_archE1100ELNS1_3gpuE3ELNS1_3repE0EEENS1_30default_config_static_selectorELNS0_4arch9wavefront6targetE0EEEvS11_
	.p2align	8
	.type	_ZN7rocprim17ROCPRIM_400000_NS6detail17trampoline_kernelINS0_14default_configENS1_21merge_config_selectorINS0_5tupleIJttEEENS0_10empty_typeEEEZNS1_10merge_implIS3_NS0_12zip_iteratorINS5_IJN6thrust23THRUST_200600_302600_NS6detail15normal_iteratorINSC_10device_ptrIKtEEEESI_EEEEESK_NSA_INS5_IJNSC_16discard_iteratorINSC_11use_defaultEEESN_EEEEEPS7_SQ_SQ_NSC_11hip_rocprim7__merge17predicate_wrapperIttNSC_4lessItEEEEEE10hipError_tPvRmT0_T1_T2_T3_T4_T5_mmT6_P12ihipStream_tbEUlT_E_NS1_11comp_targetILNS1_3genE9ELNS1_11target_archE1100ELNS1_3gpuE3ELNS1_3repE0EEENS1_30default_config_static_selectorELNS0_4arch9wavefront6targetE0EEEvS11_,@function
_ZN7rocprim17ROCPRIM_400000_NS6detail17trampoline_kernelINS0_14default_configENS1_21merge_config_selectorINS0_5tupleIJttEEENS0_10empty_typeEEEZNS1_10merge_implIS3_NS0_12zip_iteratorINS5_IJN6thrust23THRUST_200600_302600_NS6detail15normal_iteratorINSC_10device_ptrIKtEEEESI_EEEEESK_NSA_INS5_IJNSC_16discard_iteratorINSC_11use_defaultEEESN_EEEEEPS7_SQ_SQ_NSC_11hip_rocprim7__merge17predicate_wrapperIttNSC_4lessItEEEEEE10hipError_tPvRmT0_T1_T2_T3_T4_T5_mmT6_P12ihipStream_tbEUlT_E_NS1_11comp_targetILNS1_3genE9ELNS1_11target_archE1100ELNS1_3gpuE3ELNS1_3repE0EEENS1_30default_config_static_selectorELNS0_4arch9wavefront6targetE0EEEvS11_: ; @_ZN7rocprim17ROCPRIM_400000_NS6detail17trampoline_kernelINS0_14default_configENS1_21merge_config_selectorINS0_5tupleIJttEEENS0_10empty_typeEEEZNS1_10merge_implIS3_NS0_12zip_iteratorINS5_IJN6thrust23THRUST_200600_302600_NS6detail15normal_iteratorINSC_10device_ptrIKtEEEESI_EEEEESK_NSA_INS5_IJNSC_16discard_iteratorINSC_11use_defaultEEESN_EEEEEPS7_SQ_SQ_NSC_11hip_rocprim7__merge17predicate_wrapperIttNSC_4lessItEEEEEE10hipError_tPvRmT0_T1_T2_T3_T4_T5_mmT6_P12ihipStream_tbEUlT_E_NS1_11comp_targetILNS1_3genE9ELNS1_11target_archE1100ELNS1_3gpuE3ELNS1_3repE0EEENS1_30default_config_static_selectorELNS0_4arch9wavefront6targetE0EEEvS11_
; %bb.0:
	.section	.rodata,"a",@progbits
	.p2align	6, 0x0
	.amdhsa_kernel _ZN7rocprim17ROCPRIM_400000_NS6detail17trampoline_kernelINS0_14default_configENS1_21merge_config_selectorINS0_5tupleIJttEEENS0_10empty_typeEEEZNS1_10merge_implIS3_NS0_12zip_iteratorINS5_IJN6thrust23THRUST_200600_302600_NS6detail15normal_iteratorINSC_10device_ptrIKtEEEESI_EEEEESK_NSA_INS5_IJNSC_16discard_iteratorINSC_11use_defaultEEESN_EEEEEPS7_SQ_SQ_NSC_11hip_rocprim7__merge17predicate_wrapperIttNSC_4lessItEEEEEE10hipError_tPvRmT0_T1_T2_T3_T4_T5_mmT6_P12ihipStream_tbEUlT_E_NS1_11comp_targetILNS1_3genE9ELNS1_11target_archE1100ELNS1_3gpuE3ELNS1_3repE0EEENS1_30default_config_static_selectorELNS0_4arch9wavefront6targetE0EEEvS11_
		.amdhsa_group_segment_fixed_size 0
		.amdhsa_private_segment_fixed_size 0
		.amdhsa_kernarg_size 64
		.amdhsa_user_sgpr_count 6
		.amdhsa_user_sgpr_private_segment_buffer 1
		.amdhsa_user_sgpr_dispatch_ptr 0
		.amdhsa_user_sgpr_queue_ptr 0
		.amdhsa_user_sgpr_kernarg_segment_ptr 1
		.amdhsa_user_sgpr_dispatch_id 0
		.amdhsa_user_sgpr_flat_scratch_init 0
		.amdhsa_user_sgpr_private_segment_size 0
		.amdhsa_wavefront_size32 1
		.amdhsa_uses_dynamic_stack 0
		.amdhsa_system_sgpr_private_segment_wavefront_offset 0
		.amdhsa_system_sgpr_workgroup_id_x 1
		.amdhsa_system_sgpr_workgroup_id_y 0
		.amdhsa_system_sgpr_workgroup_id_z 0
		.amdhsa_system_sgpr_workgroup_info 0
		.amdhsa_system_vgpr_workitem_id 0
		.amdhsa_next_free_vgpr 1
		.amdhsa_next_free_sgpr 1
		.amdhsa_reserve_vcc 0
		.amdhsa_reserve_flat_scratch 0
		.amdhsa_float_round_mode_32 0
		.amdhsa_float_round_mode_16_64 0
		.amdhsa_float_denorm_mode_32 3
		.amdhsa_float_denorm_mode_16_64 3
		.amdhsa_dx10_clamp 1
		.amdhsa_ieee_mode 1
		.amdhsa_fp16_overflow 0
		.amdhsa_workgroup_processor_mode 1
		.amdhsa_memory_ordered 1
		.amdhsa_forward_progress 1
		.amdhsa_shared_vgpr_count 0
		.amdhsa_exception_fp_ieee_invalid_op 0
		.amdhsa_exception_fp_denorm_src 0
		.amdhsa_exception_fp_ieee_div_zero 0
		.amdhsa_exception_fp_ieee_overflow 0
		.amdhsa_exception_fp_ieee_underflow 0
		.amdhsa_exception_fp_ieee_inexact 0
		.amdhsa_exception_int_div_zero 0
	.end_amdhsa_kernel
	.section	.text._ZN7rocprim17ROCPRIM_400000_NS6detail17trampoline_kernelINS0_14default_configENS1_21merge_config_selectorINS0_5tupleIJttEEENS0_10empty_typeEEEZNS1_10merge_implIS3_NS0_12zip_iteratorINS5_IJN6thrust23THRUST_200600_302600_NS6detail15normal_iteratorINSC_10device_ptrIKtEEEESI_EEEEESK_NSA_INS5_IJNSC_16discard_iteratorINSC_11use_defaultEEESN_EEEEEPS7_SQ_SQ_NSC_11hip_rocprim7__merge17predicate_wrapperIttNSC_4lessItEEEEEE10hipError_tPvRmT0_T1_T2_T3_T4_T5_mmT6_P12ihipStream_tbEUlT_E_NS1_11comp_targetILNS1_3genE9ELNS1_11target_archE1100ELNS1_3gpuE3ELNS1_3repE0EEENS1_30default_config_static_selectorELNS0_4arch9wavefront6targetE0EEEvS11_,"axG",@progbits,_ZN7rocprim17ROCPRIM_400000_NS6detail17trampoline_kernelINS0_14default_configENS1_21merge_config_selectorINS0_5tupleIJttEEENS0_10empty_typeEEEZNS1_10merge_implIS3_NS0_12zip_iteratorINS5_IJN6thrust23THRUST_200600_302600_NS6detail15normal_iteratorINSC_10device_ptrIKtEEEESI_EEEEESK_NSA_INS5_IJNSC_16discard_iteratorINSC_11use_defaultEEESN_EEEEEPS7_SQ_SQ_NSC_11hip_rocprim7__merge17predicate_wrapperIttNSC_4lessItEEEEEE10hipError_tPvRmT0_T1_T2_T3_T4_T5_mmT6_P12ihipStream_tbEUlT_E_NS1_11comp_targetILNS1_3genE9ELNS1_11target_archE1100ELNS1_3gpuE3ELNS1_3repE0EEENS1_30default_config_static_selectorELNS0_4arch9wavefront6targetE0EEEvS11_,comdat
.Lfunc_end558:
	.size	_ZN7rocprim17ROCPRIM_400000_NS6detail17trampoline_kernelINS0_14default_configENS1_21merge_config_selectorINS0_5tupleIJttEEENS0_10empty_typeEEEZNS1_10merge_implIS3_NS0_12zip_iteratorINS5_IJN6thrust23THRUST_200600_302600_NS6detail15normal_iteratorINSC_10device_ptrIKtEEEESI_EEEEESK_NSA_INS5_IJNSC_16discard_iteratorINSC_11use_defaultEEESN_EEEEEPS7_SQ_SQ_NSC_11hip_rocprim7__merge17predicate_wrapperIttNSC_4lessItEEEEEE10hipError_tPvRmT0_T1_T2_T3_T4_T5_mmT6_P12ihipStream_tbEUlT_E_NS1_11comp_targetILNS1_3genE9ELNS1_11target_archE1100ELNS1_3gpuE3ELNS1_3repE0EEENS1_30default_config_static_selectorELNS0_4arch9wavefront6targetE0EEEvS11_, .Lfunc_end558-_ZN7rocprim17ROCPRIM_400000_NS6detail17trampoline_kernelINS0_14default_configENS1_21merge_config_selectorINS0_5tupleIJttEEENS0_10empty_typeEEEZNS1_10merge_implIS3_NS0_12zip_iteratorINS5_IJN6thrust23THRUST_200600_302600_NS6detail15normal_iteratorINSC_10device_ptrIKtEEEESI_EEEEESK_NSA_INS5_IJNSC_16discard_iteratorINSC_11use_defaultEEESN_EEEEEPS7_SQ_SQ_NSC_11hip_rocprim7__merge17predicate_wrapperIttNSC_4lessItEEEEEE10hipError_tPvRmT0_T1_T2_T3_T4_T5_mmT6_P12ihipStream_tbEUlT_E_NS1_11comp_targetILNS1_3genE9ELNS1_11target_archE1100ELNS1_3gpuE3ELNS1_3repE0EEENS1_30default_config_static_selectorELNS0_4arch9wavefront6targetE0EEEvS11_
                                        ; -- End function
	.set _ZN7rocprim17ROCPRIM_400000_NS6detail17trampoline_kernelINS0_14default_configENS1_21merge_config_selectorINS0_5tupleIJttEEENS0_10empty_typeEEEZNS1_10merge_implIS3_NS0_12zip_iteratorINS5_IJN6thrust23THRUST_200600_302600_NS6detail15normal_iteratorINSC_10device_ptrIKtEEEESI_EEEEESK_NSA_INS5_IJNSC_16discard_iteratorINSC_11use_defaultEEESN_EEEEEPS7_SQ_SQ_NSC_11hip_rocprim7__merge17predicate_wrapperIttNSC_4lessItEEEEEE10hipError_tPvRmT0_T1_T2_T3_T4_T5_mmT6_P12ihipStream_tbEUlT_E_NS1_11comp_targetILNS1_3genE9ELNS1_11target_archE1100ELNS1_3gpuE3ELNS1_3repE0EEENS1_30default_config_static_selectorELNS0_4arch9wavefront6targetE0EEEvS11_.num_vgpr, 0
	.set _ZN7rocprim17ROCPRIM_400000_NS6detail17trampoline_kernelINS0_14default_configENS1_21merge_config_selectorINS0_5tupleIJttEEENS0_10empty_typeEEEZNS1_10merge_implIS3_NS0_12zip_iteratorINS5_IJN6thrust23THRUST_200600_302600_NS6detail15normal_iteratorINSC_10device_ptrIKtEEEESI_EEEEESK_NSA_INS5_IJNSC_16discard_iteratorINSC_11use_defaultEEESN_EEEEEPS7_SQ_SQ_NSC_11hip_rocprim7__merge17predicate_wrapperIttNSC_4lessItEEEEEE10hipError_tPvRmT0_T1_T2_T3_T4_T5_mmT6_P12ihipStream_tbEUlT_E_NS1_11comp_targetILNS1_3genE9ELNS1_11target_archE1100ELNS1_3gpuE3ELNS1_3repE0EEENS1_30default_config_static_selectorELNS0_4arch9wavefront6targetE0EEEvS11_.num_agpr, 0
	.set _ZN7rocprim17ROCPRIM_400000_NS6detail17trampoline_kernelINS0_14default_configENS1_21merge_config_selectorINS0_5tupleIJttEEENS0_10empty_typeEEEZNS1_10merge_implIS3_NS0_12zip_iteratorINS5_IJN6thrust23THRUST_200600_302600_NS6detail15normal_iteratorINSC_10device_ptrIKtEEEESI_EEEEESK_NSA_INS5_IJNSC_16discard_iteratorINSC_11use_defaultEEESN_EEEEEPS7_SQ_SQ_NSC_11hip_rocprim7__merge17predicate_wrapperIttNSC_4lessItEEEEEE10hipError_tPvRmT0_T1_T2_T3_T4_T5_mmT6_P12ihipStream_tbEUlT_E_NS1_11comp_targetILNS1_3genE9ELNS1_11target_archE1100ELNS1_3gpuE3ELNS1_3repE0EEENS1_30default_config_static_selectorELNS0_4arch9wavefront6targetE0EEEvS11_.numbered_sgpr, 0
	.set _ZN7rocprim17ROCPRIM_400000_NS6detail17trampoline_kernelINS0_14default_configENS1_21merge_config_selectorINS0_5tupleIJttEEENS0_10empty_typeEEEZNS1_10merge_implIS3_NS0_12zip_iteratorINS5_IJN6thrust23THRUST_200600_302600_NS6detail15normal_iteratorINSC_10device_ptrIKtEEEESI_EEEEESK_NSA_INS5_IJNSC_16discard_iteratorINSC_11use_defaultEEESN_EEEEEPS7_SQ_SQ_NSC_11hip_rocprim7__merge17predicate_wrapperIttNSC_4lessItEEEEEE10hipError_tPvRmT0_T1_T2_T3_T4_T5_mmT6_P12ihipStream_tbEUlT_E_NS1_11comp_targetILNS1_3genE9ELNS1_11target_archE1100ELNS1_3gpuE3ELNS1_3repE0EEENS1_30default_config_static_selectorELNS0_4arch9wavefront6targetE0EEEvS11_.num_named_barrier, 0
	.set _ZN7rocprim17ROCPRIM_400000_NS6detail17trampoline_kernelINS0_14default_configENS1_21merge_config_selectorINS0_5tupleIJttEEENS0_10empty_typeEEEZNS1_10merge_implIS3_NS0_12zip_iteratorINS5_IJN6thrust23THRUST_200600_302600_NS6detail15normal_iteratorINSC_10device_ptrIKtEEEESI_EEEEESK_NSA_INS5_IJNSC_16discard_iteratorINSC_11use_defaultEEESN_EEEEEPS7_SQ_SQ_NSC_11hip_rocprim7__merge17predicate_wrapperIttNSC_4lessItEEEEEE10hipError_tPvRmT0_T1_T2_T3_T4_T5_mmT6_P12ihipStream_tbEUlT_E_NS1_11comp_targetILNS1_3genE9ELNS1_11target_archE1100ELNS1_3gpuE3ELNS1_3repE0EEENS1_30default_config_static_selectorELNS0_4arch9wavefront6targetE0EEEvS11_.private_seg_size, 0
	.set _ZN7rocprim17ROCPRIM_400000_NS6detail17trampoline_kernelINS0_14default_configENS1_21merge_config_selectorINS0_5tupleIJttEEENS0_10empty_typeEEEZNS1_10merge_implIS3_NS0_12zip_iteratorINS5_IJN6thrust23THRUST_200600_302600_NS6detail15normal_iteratorINSC_10device_ptrIKtEEEESI_EEEEESK_NSA_INS5_IJNSC_16discard_iteratorINSC_11use_defaultEEESN_EEEEEPS7_SQ_SQ_NSC_11hip_rocprim7__merge17predicate_wrapperIttNSC_4lessItEEEEEE10hipError_tPvRmT0_T1_T2_T3_T4_T5_mmT6_P12ihipStream_tbEUlT_E_NS1_11comp_targetILNS1_3genE9ELNS1_11target_archE1100ELNS1_3gpuE3ELNS1_3repE0EEENS1_30default_config_static_selectorELNS0_4arch9wavefront6targetE0EEEvS11_.uses_vcc, 0
	.set _ZN7rocprim17ROCPRIM_400000_NS6detail17trampoline_kernelINS0_14default_configENS1_21merge_config_selectorINS0_5tupleIJttEEENS0_10empty_typeEEEZNS1_10merge_implIS3_NS0_12zip_iteratorINS5_IJN6thrust23THRUST_200600_302600_NS6detail15normal_iteratorINSC_10device_ptrIKtEEEESI_EEEEESK_NSA_INS5_IJNSC_16discard_iteratorINSC_11use_defaultEEESN_EEEEEPS7_SQ_SQ_NSC_11hip_rocprim7__merge17predicate_wrapperIttNSC_4lessItEEEEEE10hipError_tPvRmT0_T1_T2_T3_T4_T5_mmT6_P12ihipStream_tbEUlT_E_NS1_11comp_targetILNS1_3genE9ELNS1_11target_archE1100ELNS1_3gpuE3ELNS1_3repE0EEENS1_30default_config_static_selectorELNS0_4arch9wavefront6targetE0EEEvS11_.uses_flat_scratch, 0
	.set _ZN7rocprim17ROCPRIM_400000_NS6detail17trampoline_kernelINS0_14default_configENS1_21merge_config_selectorINS0_5tupleIJttEEENS0_10empty_typeEEEZNS1_10merge_implIS3_NS0_12zip_iteratorINS5_IJN6thrust23THRUST_200600_302600_NS6detail15normal_iteratorINSC_10device_ptrIKtEEEESI_EEEEESK_NSA_INS5_IJNSC_16discard_iteratorINSC_11use_defaultEEESN_EEEEEPS7_SQ_SQ_NSC_11hip_rocprim7__merge17predicate_wrapperIttNSC_4lessItEEEEEE10hipError_tPvRmT0_T1_T2_T3_T4_T5_mmT6_P12ihipStream_tbEUlT_E_NS1_11comp_targetILNS1_3genE9ELNS1_11target_archE1100ELNS1_3gpuE3ELNS1_3repE0EEENS1_30default_config_static_selectorELNS0_4arch9wavefront6targetE0EEEvS11_.has_dyn_sized_stack, 0
	.set _ZN7rocprim17ROCPRIM_400000_NS6detail17trampoline_kernelINS0_14default_configENS1_21merge_config_selectorINS0_5tupleIJttEEENS0_10empty_typeEEEZNS1_10merge_implIS3_NS0_12zip_iteratorINS5_IJN6thrust23THRUST_200600_302600_NS6detail15normal_iteratorINSC_10device_ptrIKtEEEESI_EEEEESK_NSA_INS5_IJNSC_16discard_iteratorINSC_11use_defaultEEESN_EEEEEPS7_SQ_SQ_NSC_11hip_rocprim7__merge17predicate_wrapperIttNSC_4lessItEEEEEE10hipError_tPvRmT0_T1_T2_T3_T4_T5_mmT6_P12ihipStream_tbEUlT_E_NS1_11comp_targetILNS1_3genE9ELNS1_11target_archE1100ELNS1_3gpuE3ELNS1_3repE0EEENS1_30default_config_static_selectorELNS0_4arch9wavefront6targetE0EEEvS11_.has_recursion, 0
	.set _ZN7rocprim17ROCPRIM_400000_NS6detail17trampoline_kernelINS0_14default_configENS1_21merge_config_selectorINS0_5tupleIJttEEENS0_10empty_typeEEEZNS1_10merge_implIS3_NS0_12zip_iteratorINS5_IJN6thrust23THRUST_200600_302600_NS6detail15normal_iteratorINSC_10device_ptrIKtEEEESI_EEEEESK_NSA_INS5_IJNSC_16discard_iteratorINSC_11use_defaultEEESN_EEEEEPS7_SQ_SQ_NSC_11hip_rocprim7__merge17predicate_wrapperIttNSC_4lessItEEEEEE10hipError_tPvRmT0_T1_T2_T3_T4_T5_mmT6_P12ihipStream_tbEUlT_E_NS1_11comp_targetILNS1_3genE9ELNS1_11target_archE1100ELNS1_3gpuE3ELNS1_3repE0EEENS1_30default_config_static_selectorELNS0_4arch9wavefront6targetE0EEEvS11_.has_indirect_call, 0
	.section	.AMDGPU.csdata,"",@progbits
; Kernel info:
; codeLenInByte = 0
; TotalNumSgprs: 0
; NumVgprs: 0
; ScratchSize: 0
; MemoryBound: 0
; FloatMode: 240
; IeeeMode: 1
; LDSByteSize: 0 bytes/workgroup (compile time only)
; SGPRBlocks: 0
; VGPRBlocks: 0
; NumSGPRsForWavesPerEU: 1
; NumVGPRsForWavesPerEU: 1
; Occupancy: 16
; WaveLimiterHint : 0
; COMPUTE_PGM_RSRC2:SCRATCH_EN: 0
; COMPUTE_PGM_RSRC2:USER_SGPR: 6
; COMPUTE_PGM_RSRC2:TRAP_HANDLER: 0
; COMPUTE_PGM_RSRC2:TGID_X_EN: 1
; COMPUTE_PGM_RSRC2:TGID_Y_EN: 0
; COMPUTE_PGM_RSRC2:TGID_Z_EN: 0
; COMPUTE_PGM_RSRC2:TIDIG_COMP_CNT: 0
	.section	.text._ZN7rocprim17ROCPRIM_400000_NS6detail17trampoline_kernelINS0_14default_configENS1_21merge_config_selectorINS0_5tupleIJttEEENS0_10empty_typeEEEZNS1_10merge_implIS3_NS0_12zip_iteratorINS5_IJN6thrust23THRUST_200600_302600_NS6detail15normal_iteratorINSC_10device_ptrIKtEEEESI_EEEEESK_NSA_INS5_IJNSC_16discard_iteratorINSC_11use_defaultEEESN_EEEEEPS7_SQ_SQ_NSC_11hip_rocprim7__merge17predicate_wrapperIttNSC_4lessItEEEEEE10hipError_tPvRmT0_T1_T2_T3_T4_T5_mmT6_P12ihipStream_tbEUlT_E_NS1_11comp_targetILNS1_3genE8ELNS1_11target_archE1030ELNS1_3gpuE2ELNS1_3repE0EEENS1_30default_config_static_selectorELNS0_4arch9wavefront6targetE0EEEvS11_,"axG",@progbits,_ZN7rocprim17ROCPRIM_400000_NS6detail17trampoline_kernelINS0_14default_configENS1_21merge_config_selectorINS0_5tupleIJttEEENS0_10empty_typeEEEZNS1_10merge_implIS3_NS0_12zip_iteratorINS5_IJN6thrust23THRUST_200600_302600_NS6detail15normal_iteratorINSC_10device_ptrIKtEEEESI_EEEEESK_NSA_INS5_IJNSC_16discard_iteratorINSC_11use_defaultEEESN_EEEEEPS7_SQ_SQ_NSC_11hip_rocprim7__merge17predicate_wrapperIttNSC_4lessItEEEEEE10hipError_tPvRmT0_T1_T2_T3_T4_T5_mmT6_P12ihipStream_tbEUlT_E_NS1_11comp_targetILNS1_3genE8ELNS1_11target_archE1030ELNS1_3gpuE2ELNS1_3repE0EEENS1_30default_config_static_selectorELNS0_4arch9wavefront6targetE0EEEvS11_,comdat
	.protected	_ZN7rocprim17ROCPRIM_400000_NS6detail17trampoline_kernelINS0_14default_configENS1_21merge_config_selectorINS0_5tupleIJttEEENS0_10empty_typeEEEZNS1_10merge_implIS3_NS0_12zip_iteratorINS5_IJN6thrust23THRUST_200600_302600_NS6detail15normal_iteratorINSC_10device_ptrIKtEEEESI_EEEEESK_NSA_INS5_IJNSC_16discard_iteratorINSC_11use_defaultEEESN_EEEEEPS7_SQ_SQ_NSC_11hip_rocprim7__merge17predicate_wrapperIttNSC_4lessItEEEEEE10hipError_tPvRmT0_T1_T2_T3_T4_T5_mmT6_P12ihipStream_tbEUlT_E_NS1_11comp_targetILNS1_3genE8ELNS1_11target_archE1030ELNS1_3gpuE2ELNS1_3repE0EEENS1_30default_config_static_selectorELNS0_4arch9wavefront6targetE0EEEvS11_ ; -- Begin function _ZN7rocprim17ROCPRIM_400000_NS6detail17trampoline_kernelINS0_14default_configENS1_21merge_config_selectorINS0_5tupleIJttEEENS0_10empty_typeEEEZNS1_10merge_implIS3_NS0_12zip_iteratorINS5_IJN6thrust23THRUST_200600_302600_NS6detail15normal_iteratorINSC_10device_ptrIKtEEEESI_EEEEESK_NSA_INS5_IJNSC_16discard_iteratorINSC_11use_defaultEEESN_EEEEEPS7_SQ_SQ_NSC_11hip_rocprim7__merge17predicate_wrapperIttNSC_4lessItEEEEEE10hipError_tPvRmT0_T1_T2_T3_T4_T5_mmT6_P12ihipStream_tbEUlT_E_NS1_11comp_targetILNS1_3genE8ELNS1_11target_archE1030ELNS1_3gpuE2ELNS1_3repE0EEENS1_30default_config_static_selectorELNS0_4arch9wavefront6targetE0EEEvS11_
	.globl	_ZN7rocprim17ROCPRIM_400000_NS6detail17trampoline_kernelINS0_14default_configENS1_21merge_config_selectorINS0_5tupleIJttEEENS0_10empty_typeEEEZNS1_10merge_implIS3_NS0_12zip_iteratorINS5_IJN6thrust23THRUST_200600_302600_NS6detail15normal_iteratorINSC_10device_ptrIKtEEEESI_EEEEESK_NSA_INS5_IJNSC_16discard_iteratorINSC_11use_defaultEEESN_EEEEEPS7_SQ_SQ_NSC_11hip_rocprim7__merge17predicate_wrapperIttNSC_4lessItEEEEEE10hipError_tPvRmT0_T1_T2_T3_T4_T5_mmT6_P12ihipStream_tbEUlT_E_NS1_11comp_targetILNS1_3genE8ELNS1_11target_archE1030ELNS1_3gpuE2ELNS1_3repE0EEENS1_30default_config_static_selectorELNS0_4arch9wavefront6targetE0EEEvS11_
	.p2align	8
	.type	_ZN7rocprim17ROCPRIM_400000_NS6detail17trampoline_kernelINS0_14default_configENS1_21merge_config_selectorINS0_5tupleIJttEEENS0_10empty_typeEEEZNS1_10merge_implIS3_NS0_12zip_iteratorINS5_IJN6thrust23THRUST_200600_302600_NS6detail15normal_iteratorINSC_10device_ptrIKtEEEESI_EEEEESK_NSA_INS5_IJNSC_16discard_iteratorINSC_11use_defaultEEESN_EEEEEPS7_SQ_SQ_NSC_11hip_rocprim7__merge17predicate_wrapperIttNSC_4lessItEEEEEE10hipError_tPvRmT0_T1_T2_T3_T4_T5_mmT6_P12ihipStream_tbEUlT_E_NS1_11comp_targetILNS1_3genE8ELNS1_11target_archE1030ELNS1_3gpuE2ELNS1_3repE0EEENS1_30default_config_static_selectorELNS0_4arch9wavefront6targetE0EEEvS11_,@function
_ZN7rocprim17ROCPRIM_400000_NS6detail17trampoline_kernelINS0_14default_configENS1_21merge_config_selectorINS0_5tupleIJttEEENS0_10empty_typeEEEZNS1_10merge_implIS3_NS0_12zip_iteratorINS5_IJN6thrust23THRUST_200600_302600_NS6detail15normal_iteratorINSC_10device_ptrIKtEEEESI_EEEEESK_NSA_INS5_IJNSC_16discard_iteratorINSC_11use_defaultEEESN_EEEEEPS7_SQ_SQ_NSC_11hip_rocprim7__merge17predicate_wrapperIttNSC_4lessItEEEEEE10hipError_tPvRmT0_T1_T2_T3_T4_T5_mmT6_P12ihipStream_tbEUlT_E_NS1_11comp_targetILNS1_3genE8ELNS1_11target_archE1030ELNS1_3gpuE2ELNS1_3repE0EEENS1_30default_config_static_selectorELNS0_4arch9wavefront6targetE0EEEvS11_: ; @_ZN7rocprim17ROCPRIM_400000_NS6detail17trampoline_kernelINS0_14default_configENS1_21merge_config_selectorINS0_5tupleIJttEEENS0_10empty_typeEEEZNS1_10merge_implIS3_NS0_12zip_iteratorINS5_IJN6thrust23THRUST_200600_302600_NS6detail15normal_iteratorINSC_10device_ptrIKtEEEESI_EEEEESK_NSA_INS5_IJNSC_16discard_iteratorINSC_11use_defaultEEESN_EEEEEPS7_SQ_SQ_NSC_11hip_rocprim7__merge17predicate_wrapperIttNSC_4lessItEEEEEE10hipError_tPvRmT0_T1_T2_T3_T4_T5_mmT6_P12ihipStream_tbEUlT_E_NS1_11comp_targetILNS1_3genE8ELNS1_11target_archE1030ELNS1_3gpuE2ELNS1_3repE0EEENS1_30default_config_static_selectorELNS0_4arch9wavefront6targetE0EEEvS11_
; %bb.0:
	s_clause 0x2
	s_load_dword s2, s[4:5], 0x38
	s_load_dword s0, s[4:5], 0x4c
	s_load_dwordx4 s[12:15], s[4:5], 0x28
	s_waitcnt lgkmcnt(0)
	v_cvt_f32_u32_e32 v1, s2
	s_and_b32 s3, s0, 0xffff
	s_add_u32 s0, s14, s12
	s_addc_u32 s1, s15, s13
	s_sub_i32 s8, 0, s2
	v_rcp_iflag_f32_e32 v1, v1
	s_add_i32 s9, s2, s0
	s_add_i32 s9, s9, -1
	v_mul_f32_e32 v1, 0x4f7ffffe, v1
	v_cvt_u32_f32_e32 v1, v1
	v_readfirstlane_b32 s7, v1
	v_mad_u64_u32 v[0:1], null, s6, s3, v[0:1]
	s_mul_i32 s8, s8, s7
	s_mul_hi_u32 s8, s7, s8
	s_add_i32 s7, s7, s8
	s_mul_hi_u32 s7, s9, s7
	s_mul_i32 s8, s7, s2
	s_sub_i32 s8, s9, s8
	s_add_i32 s9, s7, 1
	s_sub_i32 s10, s8, s2
	s_cmp_ge_u32 s8, s2
	s_cselect_b32 s3, s9, s7
	s_cselect_b32 s6, s10, s8
	s_add_i32 s7, s3, 1
	s_cmp_ge_u32 s6, s2
	s_cselect_b32 s3, s7, s3
	v_cmp_ge_u32_e32 vcc_lo, s3, v0
	s_and_saveexec_b32 s3, vcc_lo
	s_cbranch_execz .LBB559_6
; %bb.1:
	v_mul_lo_u32 v1, v0, s2
	v_mov_b32_e32 v2, 0
	s_load_dwordx4 s[8:11], s[4:5], 0x0
	v_cmp_gt_u64_e32 vcc_lo, s[0:1], v[1:2]
	v_cndmask_b32_e32 v6, s0, v1, vcc_lo
	v_cndmask_b32_e64 v7, s1, 0, vcc_lo
	v_sub_co_u32 v1, vcc_lo, v6, s14
	v_subrev_co_ci_u32_e64 v2, null, s15, v7, vcc_lo
	v_cmp_gt_u64_e64 s0, s[12:13], v[6:7]
	v_cmp_gt_u64_e32 vcc_lo, v[1:2], v[6:7]
	v_cndmask_b32_e64 v5, s13, v7, s0
	v_cndmask_b32_e64 v4, s12, v6, s0
	s_mov_b32 s0, exec_lo
	v_cndmask_b32_e64 v3, v2, 0, vcc_lo
	v_cndmask_b32_e64 v2, v1, 0, vcc_lo
	v_cmpx_lt_u64_e64 v[2:3], v[4:5]
	s_cbranch_execz .LBB559_5
; %bb.2:
	s_load_dwordx2 s[2:3], s[4:5], 0x18
	v_lshlrev_b64 v[6:7], 1, v[6:7]
	s_mov_b32 s1, 0
	s_waitcnt lgkmcnt(0)
	v_add_co_u32 v1, vcc_lo, s2, v6
	v_add_co_ci_u32_e64 v6, null, s3, v7, vcc_lo
	s_inst_prefetch 0x1
	.p2align	6
.LBB559_3:                              ; =>This Inner Loop Header: Depth=1
	v_add_co_u32 v7, vcc_lo, v4, v2
	v_add_co_ci_u32_e64 v8, null, v5, v3, vcc_lo
	v_and_b32_e32 v9, -2, v7
	v_xor_b32_e32 v12, -1, v8
	v_xor_b32_e32 v11, -2, v9
	v_add_co_u32 v9, vcc_lo, s10, v9
	v_add_co_ci_u32_e64 v10, null, s11, v8, vcc_lo
	v_add_co_u32 v11, vcc_lo, v1, v11
	v_add_co_ci_u32_e64 v12, null, v6, v12, vcc_lo
	v_lshrrev_b64 v[7:8], 1, v[7:8]
	global_load_ushort v9, v[9:10], off
	global_load_ushort v10, v[11:12], off
	v_add_co_u32 v11, vcc_lo, v7, 1
	v_add_co_ci_u32_e64 v12, null, 0, v8, vcc_lo
	s_waitcnt vmcnt(0)
	v_cmp_lt_u16_e32 vcc_lo, v10, v9
	v_cndmask_b32_e32 v5, v5, v8, vcc_lo
	v_cndmask_b32_e32 v4, v4, v7, vcc_lo
	;; [unrolled: 1-line block ×4, first 2 shown]
	v_cmp_ge_u64_e32 vcc_lo, v[2:3], v[4:5]
	s_or_b32 s1, vcc_lo, s1
	s_andn2_b32 exec_lo, exec_lo, s1
	s_cbranch_execnz .LBB559_3
; %bb.4:
	s_inst_prefetch 0x2
	s_or_b32 exec_lo, exec_lo, s1
.LBB559_5:
	s_or_b32 exec_lo, exec_lo, s0
	v_mov_b32_e32 v1, 0
	v_lshlrev_b64 v[0:1], 2, v[0:1]
	s_waitcnt lgkmcnt(0)
	v_add_co_u32 v0, vcc_lo, s8, v0
	v_add_co_ci_u32_e64 v1, null, s9, v1, vcc_lo
	global_store_dword v[0:1], v2, off
.LBB559_6:
	s_endpgm
	.section	.rodata,"a",@progbits
	.p2align	6, 0x0
	.amdhsa_kernel _ZN7rocprim17ROCPRIM_400000_NS6detail17trampoline_kernelINS0_14default_configENS1_21merge_config_selectorINS0_5tupleIJttEEENS0_10empty_typeEEEZNS1_10merge_implIS3_NS0_12zip_iteratorINS5_IJN6thrust23THRUST_200600_302600_NS6detail15normal_iteratorINSC_10device_ptrIKtEEEESI_EEEEESK_NSA_INS5_IJNSC_16discard_iteratorINSC_11use_defaultEEESN_EEEEEPS7_SQ_SQ_NSC_11hip_rocprim7__merge17predicate_wrapperIttNSC_4lessItEEEEEE10hipError_tPvRmT0_T1_T2_T3_T4_T5_mmT6_P12ihipStream_tbEUlT_E_NS1_11comp_targetILNS1_3genE8ELNS1_11target_archE1030ELNS1_3gpuE2ELNS1_3repE0EEENS1_30default_config_static_selectorELNS0_4arch9wavefront6targetE0EEEvS11_
		.amdhsa_group_segment_fixed_size 0
		.amdhsa_private_segment_fixed_size 0
		.amdhsa_kernarg_size 320
		.amdhsa_user_sgpr_count 6
		.amdhsa_user_sgpr_private_segment_buffer 1
		.amdhsa_user_sgpr_dispatch_ptr 0
		.amdhsa_user_sgpr_queue_ptr 0
		.amdhsa_user_sgpr_kernarg_segment_ptr 1
		.amdhsa_user_sgpr_dispatch_id 0
		.amdhsa_user_sgpr_flat_scratch_init 0
		.amdhsa_user_sgpr_private_segment_size 0
		.amdhsa_wavefront_size32 1
		.amdhsa_uses_dynamic_stack 0
		.amdhsa_system_sgpr_private_segment_wavefront_offset 0
		.amdhsa_system_sgpr_workgroup_id_x 1
		.amdhsa_system_sgpr_workgroup_id_y 0
		.amdhsa_system_sgpr_workgroup_id_z 0
		.amdhsa_system_sgpr_workgroup_info 0
		.amdhsa_system_vgpr_workitem_id 0
		.amdhsa_next_free_vgpr 13
		.amdhsa_next_free_sgpr 16
		.amdhsa_reserve_vcc 1
		.amdhsa_reserve_flat_scratch 0
		.amdhsa_float_round_mode_32 0
		.amdhsa_float_round_mode_16_64 0
		.amdhsa_float_denorm_mode_32 3
		.amdhsa_float_denorm_mode_16_64 3
		.amdhsa_dx10_clamp 1
		.amdhsa_ieee_mode 1
		.amdhsa_fp16_overflow 0
		.amdhsa_workgroup_processor_mode 1
		.amdhsa_memory_ordered 1
		.amdhsa_forward_progress 1
		.amdhsa_shared_vgpr_count 0
		.amdhsa_exception_fp_ieee_invalid_op 0
		.amdhsa_exception_fp_denorm_src 0
		.amdhsa_exception_fp_ieee_div_zero 0
		.amdhsa_exception_fp_ieee_overflow 0
		.amdhsa_exception_fp_ieee_underflow 0
		.amdhsa_exception_fp_ieee_inexact 0
		.amdhsa_exception_int_div_zero 0
	.end_amdhsa_kernel
	.section	.text._ZN7rocprim17ROCPRIM_400000_NS6detail17trampoline_kernelINS0_14default_configENS1_21merge_config_selectorINS0_5tupleIJttEEENS0_10empty_typeEEEZNS1_10merge_implIS3_NS0_12zip_iteratorINS5_IJN6thrust23THRUST_200600_302600_NS6detail15normal_iteratorINSC_10device_ptrIKtEEEESI_EEEEESK_NSA_INS5_IJNSC_16discard_iteratorINSC_11use_defaultEEESN_EEEEEPS7_SQ_SQ_NSC_11hip_rocprim7__merge17predicate_wrapperIttNSC_4lessItEEEEEE10hipError_tPvRmT0_T1_T2_T3_T4_T5_mmT6_P12ihipStream_tbEUlT_E_NS1_11comp_targetILNS1_3genE8ELNS1_11target_archE1030ELNS1_3gpuE2ELNS1_3repE0EEENS1_30default_config_static_selectorELNS0_4arch9wavefront6targetE0EEEvS11_,"axG",@progbits,_ZN7rocprim17ROCPRIM_400000_NS6detail17trampoline_kernelINS0_14default_configENS1_21merge_config_selectorINS0_5tupleIJttEEENS0_10empty_typeEEEZNS1_10merge_implIS3_NS0_12zip_iteratorINS5_IJN6thrust23THRUST_200600_302600_NS6detail15normal_iteratorINSC_10device_ptrIKtEEEESI_EEEEESK_NSA_INS5_IJNSC_16discard_iteratorINSC_11use_defaultEEESN_EEEEEPS7_SQ_SQ_NSC_11hip_rocprim7__merge17predicate_wrapperIttNSC_4lessItEEEEEE10hipError_tPvRmT0_T1_T2_T3_T4_T5_mmT6_P12ihipStream_tbEUlT_E_NS1_11comp_targetILNS1_3genE8ELNS1_11target_archE1030ELNS1_3gpuE2ELNS1_3repE0EEENS1_30default_config_static_selectorELNS0_4arch9wavefront6targetE0EEEvS11_,comdat
.Lfunc_end559:
	.size	_ZN7rocprim17ROCPRIM_400000_NS6detail17trampoline_kernelINS0_14default_configENS1_21merge_config_selectorINS0_5tupleIJttEEENS0_10empty_typeEEEZNS1_10merge_implIS3_NS0_12zip_iteratorINS5_IJN6thrust23THRUST_200600_302600_NS6detail15normal_iteratorINSC_10device_ptrIKtEEEESI_EEEEESK_NSA_INS5_IJNSC_16discard_iteratorINSC_11use_defaultEEESN_EEEEEPS7_SQ_SQ_NSC_11hip_rocprim7__merge17predicate_wrapperIttNSC_4lessItEEEEEE10hipError_tPvRmT0_T1_T2_T3_T4_T5_mmT6_P12ihipStream_tbEUlT_E_NS1_11comp_targetILNS1_3genE8ELNS1_11target_archE1030ELNS1_3gpuE2ELNS1_3repE0EEENS1_30default_config_static_selectorELNS0_4arch9wavefront6targetE0EEEvS11_, .Lfunc_end559-_ZN7rocprim17ROCPRIM_400000_NS6detail17trampoline_kernelINS0_14default_configENS1_21merge_config_selectorINS0_5tupleIJttEEENS0_10empty_typeEEEZNS1_10merge_implIS3_NS0_12zip_iteratorINS5_IJN6thrust23THRUST_200600_302600_NS6detail15normal_iteratorINSC_10device_ptrIKtEEEESI_EEEEESK_NSA_INS5_IJNSC_16discard_iteratorINSC_11use_defaultEEESN_EEEEEPS7_SQ_SQ_NSC_11hip_rocprim7__merge17predicate_wrapperIttNSC_4lessItEEEEEE10hipError_tPvRmT0_T1_T2_T3_T4_T5_mmT6_P12ihipStream_tbEUlT_E_NS1_11comp_targetILNS1_3genE8ELNS1_11target_archE1030ELNS1_3gpuE2ELNS1_3repE0EEENS1_30default_config_static_selectorELNS0_4arch9wavefront6targetE0EEEvS11_
                                        ; -- End function
	.set _ZN7rocprim17ROCPRIM_400000_NS6detail17trampoline_kernelINS0_14default_configENS1_21merge_config_selectorINS0_5tupleIJttEEENS0_10empty_typeEEEZNS1_10merge_implIS3_NS0_12zip_iteratorINS5_IJN6thrust23THRUST_200600_302600_NS6detail15normal_iteratorINSC_10device_ptrIKtEEEESI_EEEEESK_NSA_INS5_IJNSC_16discard_iteratorINSC_11use_defaultEEESN_EEEEEPS7_SQ_SQ_NSC_11hip_rocprim7__merge17predicate_wrapperIttNSC_4lessItEEEEEE10hipError_tPvRmT0_T1_T2_T3_T4_T5_mmT6_P12ihipStream_tbEUlT_E_NS1_11comp_targetILNS1_3genE8ELNS1_11target_archE1030ELNS1_3gpuE2ELNS1_3repE0EEENS1_30default_config_static_selectorELNS0_4arch9wavefront6targetE0EEEvS11_.num_vgpr, 13
	.set _ZN7rocprim17ROCPRIM_400000_NS6detail17trampoline_kernelINS0_14default_configENS1_21merge_config_selectorINS0_5tupleIJttEEENS0_10empty_typeEEEZNS1_10merge_implIS3_NS0_12zip_iteratorINS5_IJN6thrust23THRUST_200600_302600_NS6detail15normal_iteratorINSC_10device_ptrIKtEEEESI_EEEEESK_NSA_INS5_IJNSC_16discard_iteratorINSC_11use_defaultEEESN_EEEEEPS7_SQ_SQ_NSC_11hip_rocprim7__merge17predicate_wrapperIttNSC_4lessItEEEEEE10hipError_tPvRmT0_T1_T2_T3_T4_T5_mmT6_P12ihipStream_tbEUlT_E_NS1_11comp_targetILNS1_3genE8ELNS1_11target_archE1030ELNS1_3gpuE2ELNS1_3repE0EEENS1_30default_config_static_selectorELNS0_4arch9wavefront6targetE0EEEvS11_.num_agpr, 0
	.set _ZN7rocprim17ROCPRIM_400000_NS6detail17trampoline_kernelINS0_14default_configENS1_21merge_config_selectorINS0_5tupleIJttEEENS0_10empty_typeEEEZNS1_10merge_implIS3_NS0_12zip_iteratorINS5_IJN6thrust23THRUST_200600_302600_NS6detail15normal_iteratorINSC_10device_ptrIKtEEEESI_EEEEESK_NSA_INS5_IJNSC_16discard_iteratorINSC_11use_defaultEEESN_EEEEEPS7_SQ_SQ_NSC_11hip_rocprim7__merge17predicate_wrapperIttNSC_4lessItEEEEEE10hipError_tPvRmT0_T1_T2_T3_T4_T5_mmT6_P12ihipStream_tbEUlT_E_NS1_11comp_targetILNS1_3genE8ELNS1_11target_archE1030ELNS1_3gpuE2ELNS1_3repE0EEENS1_30default_config_static_selectorELNS0_4arch9wavefront6targetE0EEEvS11_.numbered_sgpr, 16
	.set _ZN7rocprim17ROCPRIM_400000_NS6detail17trampoline_kernelINS0_14default_configENS1_21merge_config_selectorINS0_5tupleIJttEEENS0_10empty_typeEEEZNS1_10merge_implIS3_NS0_12zip_iteratorINS5_IJN6thrust23THRUST_200600_302600_NS6detail15normal_iteratorINSC_10device_ptrIKtEEEESI_EEEEESK_NSA_INS5_IJNSC_16discard_iteratorINSC_11use_defaultEEESN_EEEEEPS7_SQ_SQ_NSC_11hip_rocprim7__merge17predicate_wrapperIttNSC_4lessItEEEEEE10hipError_tPvRmT0_T1_T2_T3_T4_T5_mmT6_P12ihipStream_tbEUlT_E_NS1_11comp_targetILNS1_3genE8ELNS1_11target_archE1030ELNS1_3gpuE2ELNS1_3repE0EEENS1_30default_config_static_selectorELNS0_4arch9wavefront6targetE0EEEvS11_.num_named_barrier, 0
	.set _ZN7rocprim17ROCPRIM_400000_NS6detail17trampoline_kernelINS0_14default_configENS1_21merge_config_selectorINS0_5tupleIJttEEENS0_10empty_typeEEEZNS1_10merge_implIS3_NS0_12zip_iteratorINS5_IJN6thrust23THRUST_200600_302600_NS6detail15normal_iteratorINSC_10device_ptrIKtEEEESI_EEEEESK_NSA_INS5_IJNSC_16discard_iteratorINSC_11use_defaultEEESN_EEEEEPS7_SQ_SQ_NSC_11hip_rocprim7__merge17predicate_wrapperIttNSC_4lessItEEEEEE10hipError_tPvRmT0_T1_T2_T3_T4_T5_mmT6_P12ihipStream_tbEUlT_E_NS1_11comp_targetILNS1_3genE8ELNS1_11target_archE1030ELNS1_3gpuE2ELNS1_3repE0EEENS1_30default_config_static_selectorELNS0_4arch9wavefront6targetE0EEEvS11_.private_seg_size, 0
	.set _ZN7rocprim17ROCPRIM_400000_NS6detail17trampoline_kernelINS0_14default_configENS1_21merge_config_selectorINS0_5tupleIJttEEENS0_10empty_typeEEEZNS1_10merge_implIS3_NS0_12zip_iteratorINS5_IJN6thrust23THRUST_200600_302600_NS6detail15normal_iteratorINSC_10device_ptrIKtEEEESI_EEEEESK_NSA_INS5_IJNSC_16discard_iteratorINSC_11use_defaultEEESN_EEEEEPS7_SQ_SQ_NSC_11hip_rocprim7__merge17predicate_wrapperIttNSC_4lessItEEEEEE10hipError_tPvRmT0_T1_T2_T3_T4_T5_mmT6_P12ihipStream_tbEUlT_E_NS1_11comp_targetILNS1_3genE8ELNS1_11target_archE1030ELNS1_3gpuE2ELNS1_3repE0EEENS1_30default_config_static_selectorELNS0_4arch9wavefront6targetE0EEEvS11_.uses_vcc, 1
	.set _ZN7rocprim17ROCPRIM_400000_NS6detail17trampoline_kernelINS0_14default_configENS1_21merge_config_selectorINS0_5tupleIJttEEENS0_10empty_typeEEEZNS1_10merge_implIS3_NS0_12zip_iteratorINS5_IJN6thrust23THRUST_200600_302600_NS6detail15normal_iteratorINSC_10device_ptrIKtEEEESI_EEEEESK_NSA_INS5_IJNSC_16discard_iteratorINSC_11use_defaultEEESN_EEEEEPS7_SQ_SQ_NSC_11hip_rocprim7__merge17predicate_wrapperIttNSC_4lessItEEEEEE10hipError_tPvRmT0_T1_T2_T3_T4_T5_mmT6_P12ihipStream_tbEUlT_E_NS1_11comp_targetILNS1_3genE8ELNS1_11target_archE1030ELNS1_3gpuE2ELNS1_3repE0EEENS1_30default_config_static_selectorELNS0_4arch9wavefront6targetE0EEEvS11_.uses_flat_scratch, 0
	.set _ZN7rocprim17ROCPRIM_400000_NS6detail17trampoline_kernelINS0_14default_configENS1_21merge_config_selectorINS0_5tupleIJttEEENS0_10empty_typeEEEZNS1_10merge_implIS3_NS0_12zip_iteratorINS5_IJN6thrust23THRUST_200600_302600_NS6detail15normal_iteratorINSC_10device_ptrIKtEEEESI_EEEEESK_NSA_INS5_IJNSC_16discard_iteratorINSC_11use_defaultEEESN_EEEEEPS7_SQ_SQ_NSC_11hip_rocprim7__merge17predicate_wrapperIttNSC_4lessItEEEEEE10hipError_tPvRmT0_T1_T2_T3_T4_T5_mmT6_P12ihipStream_tbEUlT_E_NS1_11comp_targetILNS1_3genE8ELNS1_11target_archE1030ELNS1_3gpuE2ELNS1_3repE0EEENS1_30default_config_static_selectorELNS0_4arch9wavefront6targetE0EEEvS11_.has_dyn_sized_stack, 0
	.set _ZN7rocprim17ROCPRIM_400000_NS6detail17trampoline_kernelINS0_14default_configENS1_21merge_config_selectorINS0_5tupleIJttEEENS0_10empty_typeEEEZNS1_10merge_implIS3_NS0_12zip_iteratorINS5_IJN6thrust23THRUST_200600_302600_NS6detail15normal_iteratorINSC_10device_ptrIKtEEEESI_EEEEESK_NSA_INS5_IJNSC_16discard_iteratorINSC_11use_defaultEEESN_EEEEEPS7_SQ_SQ_NSC_11hip_rocprim7__merge17predicate_wrapperIttNSC_4lessItEEEEEE10hipError_tPvRmT0_T1_T2_T3_T4_T5_mmT6_P12ihipStream_tbEUlT_E_NS1_11comp_targetILNS1_3genE8ELNS1_11target_archE1030ELNS1_3gpuE2ELNS1_3repE0EEENS1_30default_config_static_selectorELNS0_4arch9wavefront6targetE0EEEvS11_.has_recursion, 0
	.set _ZN7rocprim17ROCPRIM_400000_NS6detail17trampoline_kernelINS0_14default_configENS1_21merge_config_selectorINS0_5tupleIJttEEENS0_10empty_typeEEEZNS1_10merge_implIS3_NS0_12zip_iteratorINS5_IJN6thrust23THRUST_200600_302600_NS6detail15normal_iteratorINSC_10device_ptrIKtEEEESI_EEEEESK_NSA_INS5_IJNSC_16discard_iteratorINSC_11use_defaultEEESN_EEEEEPS7_SQ_SQ_NSC_11hip_rocprim7__merge17predicate_wrapperIttNSC_4lessItEEEEEE10hipError_tPvRmT0_T1_T2_T3_T4_T5_mmT6_P12ihipStream_tbEUlT_E_NS1_11comp_targetILNS1_3genE8ELNS1_11target_archE1030ELNS1_3gpuE2ELNS1_3repE0EEENS1_30default_config_static_selectorELNS0_4arch9wavefront6targetE0EEEvS11_.has_indirect_call, 0
	.section	.AMDGPU.csdata,"",@progbits
; Kernel info:
; codeLenInByte = 516
; TotalNumSgprs: 18
; NumVgprs: 13
; ScratchSize: 0
; MemoryBound: 0
; FloatMode: 240
; IeeeMode: 1
; LDSByteSize: 0 bytes/workgroup (compile time only)
; SGPRBlocks: 0
; VGPRBlocks: 1
; NumSGPRsForWavesPerEU: 18
; NumVGPRsForWavesPerEU: 13
; Occupancy: 16
; WaveLimiterHint : 0
; COMPUTE_PGM_RSRC2:SCRATCH_EN: 0
; COMPUTE_PGM_RSRC2:USER_SGPR: 6
; COMPUTE_PGM_RSRC2:TRAP_HANDLER: 0
; COMPUTE_PGM_RSRC2:TGID_X_EN: 1
; COMPUTE_PGM_RSRC2:TGID_Y_EN: 0
; COMPUTE_PGM_RSRC2:TGID_Z_EN: 0
; COMPUTE_PGM_RSRC2:TIDIG_COMP_CNT: 0
	.section	.text._ZN7rocprim17ROCPRIM_400000_NS6detail17trampoline_kernelINS0_14default_configENS1_21merge_config_selectorINS0_5tupleIJttEEENS0_10empty_typeEEEZNS1_10merge_implIS3_NS0_12zip_iteratorINS5_IJN6thrust23THRUST_200600_302600_NS6detail15normal_iteratorINSC_10device_ptrIKtEEEESI_EEEEESK_NSA_INS5_IJNSC_16discard_iteratorINSC_11use_defaultEEESN_EEEEEPS7_SQ_SQ_NSC_11hip_rocprim7__merge17predicate_wrapperIttNSC_4lessItEEEEEE10hipError_tPvRmT0_T1_T2_T3_T4_T5_mmT6_P12ihipStream_tbEUlT_E0_NS1_11comp_targetILNS1_3genE0ELNS1_11target_archE4294967295ELNS1_3gpuE0ELNS1_3repE0EEENS1_30default_config_static_selectorELNS0_4arch9wavefront6targetE0EEEvS11_,"axG",@progbits,_ZN7rocprim17ROCPRIM_400000_NS6detail17trampoline_kernelINS0_14default_configENS1_21merge_config_selectorINS0_5tupleIJttEEENS0_10empty_typeEEEZNS1_10merge_implIS3_NS0_12zip_iteratorINS5_IJN6thrust23THRUST_200600_302600_NS6detail15normal_iteratorINSC_10device_ptrIKtEEEESI_EEEEESK_NSA_INS5_IJNSC_16discard_iteratorINSC_11use_defaultEEESN_EEEEEPS7_SQ_SQ_NSC_11hip_rocprim7__merge17predicate_wrapperIttNSC_4lessItEEEEEE10hipError_tPvRmT0_T1_T2_T3_T4_T5_mmT6_P12ihipStream_tbEUlT_E0_NS1_11comp_targetILNS1_3genE0ELNS1_11target_archE4294967295ELNS1_3gpuE0ELNS1_3repE0EEENS1_30default_config_static_selectorELNS0_4arch9wavefront6targetE0EEEvS11_,comdat
	.protected	_ZN7rocprim17ROCPRIM_400000_NS6detail17trampoline_kernelINS0_14default_configENS1_21merge_config_selectorINS0_5tupleIJttEEENS0_10empty_typeEEEZNS1_10merge_implIS3_NS0_12zip_iteratorINS5_IJN6thrust23THRUST_200600_302600_NS6detail15normal_iteratorINSC_10device_ptrIKtEEEESI_EEEEESK_NSA_INS5_IJNSC_16discard_iteratorINSC_11use_defaultEEESN_EEEEEPS7_SQ_SQ_NSC_11hip_rocprim7__merge17predicate_wrapperIttNSC_4lessItEEEEEE10hipError_tPvRmT0_T1_T2_T3_T4_T5_mmT6_P12ihipStream_tbEUlT_E0_NS1_11comp_targetILNS1_3genE0ELNS1_11target_archE4294967295ELNS1_3gpuE0ELNS1_3repE0EEENS1_30default_config_static_selectorELNS0_4arch9wavefront6targetE0EEEvS11_ ; -- Begin function _ZN7rocprim17ROCPRIM_400000_NS6detail17trampoline_kernelINS0_14default_configENS1_21merge_config_selectorINS0_5tupleIJttEEENS0_10empty_typeEEEZNS1_10merge_implIS3_NS0_12zip_iteratorINS5_IJN6thrust23THRUST_200600_302600_NS6detail15normal_iteratorINSC_10device_ptrIKtEEEESI_EEEEESK_NSA_INS5_IJNSC_16discard_iteratorINSC_11use_defaultEEESN_EEEEEPS7_SQ_SQ_NSC_11hip_rocprim7__merge17predicate_wrapperIttNSC_4lessItEEEEEE10hipError_tPvRmT0_T1_T2_T3_T4_T5_mmT6_P12ihipStream_tbEUlT_E0_NS1_11comp_targetILNS1_3genE0ELNS1_11target_archE4294967295ELNS1_3gpuE0ELNS1_3repE0EEENS1_30default_config_static_selectorELNS0_4arch9wavefront6targetE0EEEvS11_
	.globl	_ZN7rocprim17ROCPRIM_400000_NS6detail17trampoline_kernelINS0_14default_configENS1_21merge_config_selectorINS0_5tupleIJttEEENS0_10empty_typeEEEZNS1_10merge_implIS3_NS0_12zip_iteratorINS5_IJN6thrust23THRUST_200600_302600_NS6detail15normal_iteratorINSC_10device_ptrIKtEEEESI_EEEEESK_NSA_INS5_IJNSC_16discard_iteratorINSC_11use_defaultEEESN_EEEEEPS7_SQ_SQ_NSC_11hip_rocprim7__merge17predicate_wrapperIttNSC_4lessItEEEEEE10hipError_tPvRmT0_T1_T2_T3_T4_T5_mmT6_P12ihipStream_tbEUlT_E0_NS1_11comp_targetILNS1_3genE0ELNS1_11target_archE4294967295ELNS1_3gpuE0ELNS1_3repE0EEENS1_30default_config_static_selectorELNS0_4arch9wavefront6targetE0EEEvS11_
	.p2align	8
	.type	_ZN7rocprim17ROCPRIM_400000_NS6detail17trampoline_kernelINS0_14default_configENS1_21merge_config_selectorINS0_5tupleIJttEEENS0_10empty_typeEEEZNS1_10merge_implIS3_NS0_12zip_iteratorINS5_IJN6thrust23THRUST_200600_302600_NS6detail15normal_iteratorINSC_10device_ptrIKtEEEESI_EEEEESK_NSA_INS5_IJNSC_16discard_iteratorINSC_11use_defaultEEESN_EEEEEPS7_SQ_SQ_NSC_11hip_rocprim7__merge17predicate_wrapperIttNSC_4lessItEEEEEE10hipError_tPvRmT0_T1_T2_T3_T4_T5_mmT6_P12ihipStream_tbEUlT_E0_NS1_11comp_targetILNS1_3genE0ELNS1_11target_archE4294967295ELNS1_3gpuE0ELNS1_3repE0EEENS1_30default_config_static_selectorELNS0_4arch9wavefront6targetE0EEEvS11_,@function
_ZN7rocprim17ROCPRIM_400000_NS6detail17trampoline_kernelINS0_14default_configENS1_21merge_config_selectorINS0_5tupleIJttEEENS0_10empty_typeEEEZNS1_10merge_implIS3_NS0_12zip_iteratorINS5_IJN6thrust23THRUST_200600_302600_NS6detail15normal_iteratorINSC_10device_ptrIKtEEEESI_EEEEESK_NSA_INS5_IJNSC_16discard_iteratorINSC_11use_defaultEEESN_EEEEEPS7_SQ_SQ_NSC_11hip_rocprim7__merge17predicate_wrapperIttNSC_4lessItEEEEEE10hipError_tPvRmT0_T1_T2_T3_T4_T5_mmT6_P12ihipStream_tbEUlT_E0_NS1_11comp_targetILNS1_3genE0ELNS1_11target_archE4294967295ELNS1_3gpuE0ELNS1_3repE0EEENS1_30default_config_static_selectorELNS0_4arch9wavefront6targetE0EEEvS11_: ; @_ZN7rocprim17ROCPRIM_400000_NS6detail17trampoline_kernelINS0_14default_configENS1_21merge_config_selectorINS0_5tupleIJttEEENS0_10empty_typeEEEZNS1_10merge_implIS3_NS0_12zip_iteratorINS5_IJN6thrust23THRUST_200600_302600_NS6detail15normal_iteratorINSC_10device_ptrIKtEEEESI_EEEEESK_NSA_INS5_IJNSC_16discard_iteratorINSC_11use_defaultEEESN_EEEEEPS7_SQ_SQ_NSC_11hip_rocprim7__merge17predicate_wrapperIttNSC_4lessItEEEEEE10hipError_tPvRmT0_T1_T2_T3_T4_T5_mmT6_P12ihipStream_tbEUlT_E0_NS1_11comp_targetILNS1_3genE0ELNS1_11target_archE4294967295ELNS1_3gpuE0ELNS1_3repE0EEENS1_30default_config_static_selectorELNS0_4arch9wavefront6targetE0EEEvS11_
; %bb.0:
	.section	.rodata,"a",@progbits
	.p2align	6, 0x0
	.amdhsa_kernel _ZN7rocprim17ROCPRIM_400000_NS6detail17trampoline_kernelINS0_14default_configENS1_21merge_config_selectorINS0_5tupleIJttEEENS0_10empty_typeEEEZNS1_10merge_implIS3_NS0_12zip_iteratorINS5_IJN6thrust23THRUST_200600_302600_NS6detail15normal_iteratorINSC_10device_ptrIKtEEEESI_EEEEESK_NSA_INS5_IJNSC_16discard_iteratorINSC_11use_defaultEEESN_EEEEEPS7_SQ_SQ_NSC_11hip_rocprim7__merge17predicate_wrapperIttNSC_4lessItEEEEEE10hipError_tPvRmT0_T1_T2_T3_T4_T5_mmT6_P12ihipStream_tbEUlT_E0_NS1_11comp_targetILNS1_3genE0ELNS1_11target_archE4294967295ELNS1_3gpuE0ELNS1_3repE0EEENS1_30default_config_static_selectorELNS0_4arch9wavefront6targetE0EEEvS11_
		.amdhsa_group_segment_fixed_size 0
		.amdhsa_private_segment_fixed_size 0
		.amdhsa_kernarg_size 128
		.amdhsa_user_sgpr_count 6
		.amdhsa_user_sgpr_private_segment_buffer 1
		.amdhsa_user_sgpr_dispatch_ptr 0
		.amdhsa_user_sgpr_queue_ptr 0
		.amdhsa_user_sgpr_kernarg_segment_ptr 1
		.amdhsa_user_sgpr_dispatch_id 0
		.amdhsa_user_sgpr_flat_scratch_init 0
		.amdhsa_user_sgpr_private_segment_size 0
		.amdhsa_wavefront_size32 1
		.amdhsa_uses_dynamic_stack 0
		.amdhsa_system_sgpr_private_segment_wavefront_offset 0
		.amdhsa_system_sgpr_workgroup_id_x 1
		.amdhsa_system_sgpr_workgroup_id_y 0
		.amdhsa_system_sgpr_workgroup_id_z 0
		.amdhsa_system_sgpr_workgroup_info 0
		.amdhsa_system_vgpr_workitem_id 0
		.amdhsa_next_free_vgpr 1
		.amdhsa_next_free_sgpr 1
		.amdhsa_reserve_vcc 0
		.amdhsa_reserve_flat_scratch 0
		.amdhsa_float_round_mode_32 0
		.amdhsa_float_round_mode_16_64 0
		.amdhsa_float_denorm_mode_32 3
		.amdhsa_float_denorm_mode_16_64 3
		.amdhsa_dx10_clamp 1
		.amdhsa_ieee_mode 1
		.amdhsa_fp16_overflow 0
		.amdhsa_workgroup_processor_mode 1
		.amdhsa_memory_ordered 1
		.amdhsa_forward_progress 1
		.amdhsa_shared_vgpr_count 0
		.amdhsa_exception_fp_ieee_invalid_op 0
		.amdhsa_exception_fp_denorm_src 0
		.amdhsa_exception_fp_ieee_div_zero 0
		.amdhsa_exception_fp_ieee_overflow 0
		.amdhsa_exception_fp_ieee_underflow 0
		.amdhsa_exception_fp_ieee_inexact 0
		.amdhsa_exception_int_div_zero 0
	.end_amdhsa_kernel
	.section	.text._ZN7rocprim17ROCPRIM_400000_NS6detail17trampoline_kernelINS0_14default_configENS1_21merge_config_selectorINS0_5tupleIJttEEENS0_10empty_typeEEEZNS1_10merge_implIS3_NS0_12zip_iteratorINS5_IJN6thrust23THRUST_200600_302600_NS6detail15normal_iteratorINSC_10device_ptrIKtEEEESI_EEEEESK_NSA_INS5_IJNSC_16discard_iteratorINSC_11use_defaultEEESN_EEEEEPS7_SQ_SQ_NSC_11hip_rocprim7__merge17predicate_wrapperIttNSC_4lessItEEEEEE10hipError_tPvRmT0_T1_T2_T3_T4_T5_mmT6_P12ihipStream_tbEUlT_E0_NS1_11comp_targetILNS1_3genE0ELNS1_11target_archE4294967295ELNS1_3gpuE0ELNS1_3repE0EEENS1_30default_config_static_selectorELNS0_4arch9wavefront6targetE0EEEvS11_,"axG",@progbits,_ZN7rocprim17ROCPRIM_400000_NS6detail17trampoline_kernelINS0_14default_configENS1_21merge_config_selectorINS0_5tupleIJttEEENS0_10empty_typeEEEZNS1_10merge_implIS3_NS0_12zip_iteratorINS5_IJN6thrust23THRUST_200600_302600_NS6detail15normal_iteratorINSC_10device_ptrIKtEEEESI_EEEEESK_NSA_INS5_IJNSC_16discard_iteratorINSC_11use_defaultEEESN_EEEEEPS7_SQ_SQ_NSC_11hip_rocprim7__merge17predicate_wrapperIttNSC_4lessItEEEEEE10hipError_tPvRmT0_T1_T2_T3_T4_T5_mmT6_P12ihipStream_tbEUlT_E0_NS1_11comp_targetILNS1_3genE0ELNS1_11target_archE4294967295ELNS1_3gpuE0ELNS1_3repE0EEENS1_30default_config_static_selectorELNS0_4arch9wavefront6targetE0EEEvS11_,comdat
.Lfunc_end560:
	.size	_ZN7rocprim17ROCPRIM_400000_NS6detail17trampoline_kernelINS0_14default_configENS1_21merge_config_selectorINS0_5tupleIJttEEENS0_10empty_typeEEEZNS1_10merge_implIS3_NS0_12zip_iteratorINS5_IJN6thrust23THRUST_200600_302600_NS6detail15normal_iteratorINSC_10device_ptrIKtEEEESI_EEEEESK_NSA_INS5_IJNSC_16discard_iteratorINSC_11use_defaultEEESN_EEEEEPS7_SQ_SQ_NSC_11hip_rocprim7__merge17predicate_wrapperIttNSC_4lessItEEEEEE10hipError_tPvRmT0_T1_T2_T3_T4_T5_mmT6_P12ihipStream_tbEUlT_E0_NS1_11comp_targetILNS1_3genE0ELNS1_11target_archE4294967295ELNS1_3gpuE0ELNS1_3repE0EEENS1_30default_config_static_selectorELNS0_4arch9wavefront6targetE0EEEvS11_, .Lfunc_end560-_ZN7rocprim17ROCPRIM_400000_NS6detail17trampoline_kernelINS0_14default_configENS1_21merge_config_selectorINS0_5tupleIJttEEENS0_10empty_typeEEEZNS1_10merge_implIS3_NS0_12zip_iteratorINS5_IJN6thrust23THRUST_200600_302600_NS6detail15normal_iteratorINSC_10device_ptrIKtEEEESI_EEEEESK_NSA_INS5_IJNSC_16discard_iteratorINSC_11use_defaultEEESN_EEEEEPS7_SQ_SQ_NSC_11hip_rocprim7__merge17predicate_wrapperIttNSC_4lessItEEEEEE10hipError_tPvRmT0_T1_T2_T3_T4_T5_mmT6_P12ihipStream_tbEUlT_E0_NS1_11comp_targetILNS1_3genE0ELNS1_11target_archE4294967295ELNS1_3gpuE0ELNS1_3repE0EEENS1_30default_config_static_selectorELNS0_4arch9wavefront6targetE0EEEvS11_
                                        ; -- End function
	.set _ZN7rocprim17ROCPRIM_400000_NS6detail17trampoline_kernelINS0_14default_configENS1_21merge_config_selectorINS0_5tupleIJttEEENS0_10empty_typeEEEZNS1_10merge_implIS3_NS0_12zip_iteratorINS5_IJN6thrust23THRUST_200600_302600_NS6detail15normal_iteratorINSC_10device_ptrIKtEEEESI_EEEEESK_NSA_INS5_IJNSC_16discard_iteratorINSC_11use_defaultEEESN_EEEEEPS7_SQ_SQ_NSC_11hip_rocprim7__merge17predicate_wrapperIttNSC_4lessItEEEEEE10hipError_tPvRmT0_T1_T2_T3_T4_T5_mmT6_P12ihipStream_tbEUlT_E0_NS1_11comp_targetILNS1_3genE0ELNS1_11target_archE4294967295ELNS1_3gpuE0ELNS1_3repE0EEENS1_30default_config_static_selectorELNS0_4arch9wavefront6targetE0EEEvS11_.num_vgpr, 0
	.set _ZN7rocprim17ROCPRIM_400000_NS6detail17trampoline_kernelINS0_14default_configENS1_21merge_config_selectorINS0_5tupleIJttEEENS0_10empty_typeEEEZNS1_10merge_implIS3_NS0_12zip_iteratorINS5_IJN6thrust23THRUST_200600_302600_NS6detail15normal_iteratorINSC_10device_ptrIKtEEEESI_EEEEESK_NSA_INS5_IJNSC_16discard_iteratorINSC_11use_defaultEEESN_EEEEEPS7_SQ_SQ_NSC_11hip_rocprim7__merge17predicate_wrapperIttNSC_4lessItEEEEEE10hipError_tPvRmT0_T1_T2_T3_T4_T5_mmT6_P12ihipStream_tbEUlT_E0_NS1_11comp_targetILNS1_3genE0ELNS1_11target_archE4294967295ELNS1_3gpuE0ELNS1_3repE0EEENS1_30default_config_static_selectorELNS0_4arch9wavefront6targetE0EEEvS11_.num_agpr, 0
	.set _ZN7rocprim17ROCPRIM_400000_NS6detail17trampoline_kernelINS0_14default_configENS1_21merge_config_selectorINS0_5tupleIJttEEENS0_10empty_typeEEEZNS1_10merge_implIS3_NS0_12zip_iteratorINS5_IJN6thrust23THRUST_200600_302600_NS6detail15normal_iteratorINSC_10device_ptrIKtEEEESI_EEEEESK_NSA_INS5_IJNSC_16discard_iteratorINSC_11use_defaultEEESN_EEEEEPS7_SQ_SQ_NSC_11hip_rocprim7__merge17predicate_wrapperIttNSC_4lessItEEEEEE10hipError_tPvRmT0_T1_T2_T3_T4_T5_mmT6_P12ihipStream_tbEUlT_E0_NS1_11comp_targetILNS1_3genE0ELNS1_11target_archE4294967295ELNS1_3gpuE0ELNS1_3repE0EEENS1_30default_config_static_selectorELNS0_4arch9wavefront6targetE0EEEvS11_.numbered_sgpr, 0
	.set _ZN7rocprim17ROCPRIM_400000_NS6detail17trampoline_kernelINS0_14default_configENS1_21merge_config_selectorINS0_5tupleIJttEEENS0_10empty_typeEEEZNS1_10merge_implIS3_NS0_12zip_iteratorINS5_IJN6thrust23THRUST_200600_302600_NS6detail15normal_iteratorINSC_10device_ptrIKtEEEESI_EEEEESK_NSA_INS5_IJNSC_16discard_iteratorINSC_11use_defaultEEESN_EEEEEPS7_SQ_SQ_NSC_11hip_rocprim7__merge17predicate_wrapperIttNSC_4lessItEEEEEE10hipError_tPvRmT0_T1_T2_T3_T4_T5_mmT6_P12ihipStream_tbEUlT_E0_NS1_11comp_targetILNS1_3genE0ELNS1_11target_archE4294967295ELNS1_3gpuE0ELNS1_3repE0EEENS1_30default_config_static_selectorELNS0_4arch9wavefront6targetE0EEEvS11_.num_named_barrier, 0
	.set _ZN7rocprim17ROCPRIM_400000_NS6detail17trampoline_kernelINS0_14default_configENS1_21merge_config_selectorINS0_5tupleIJttEEENS0_10empty_typeEEEZNS1_10merge_implIS3_NS0_12zip_iteratorINS5_IJN6thrust23THRUST_200600_302600_NS6detail15normal_iteratorINSC_10device_ptrIKtEEEESI_EEEEESK_NSA_INS5_IJNSC_16discard_iteratorINSC_11use_defaultEEESN_EEEEEPS7_SQ_SQ_NSC_11hip_rocprim7__merge17predicate_wrapperIttNSC_4lessItEEEEEE10hipError_tPvRmT0_T1_T2_T3_T4_T5_mmT6_P12ihipStream_tbEUlT_E0_NS1_11comp_targetILNS1_3genE0ELNS1_11target_archE4294967295ELNS1_3gpuE0ELNS1_3repE0EEENS1_30default_config_static_selectorELNS0_4arch9wavefront6targetE0EEEvS11_.private_seg_size, 0
	.set _ZN7rocprim17ROCPRIM_400000_NS6detail17trampoline_kernelINS0_14default_configENS1_21merge_config_selectorINS0_5tupleIJttEEENS0_10empty_typeEEEZNS1_10merge_implIS3_NS0_12zip_iteratorINS5_IJN6thrust23THRUST_200600_302600_NS6detail15normal_iteratorINSC_10device_ptrIKtEEEESI_EEEEESK_NSA_INS5_IJNSC_16discard_iteratorINSC_11use_defaultEEESN_EEEEEPS7_SQ_SQ_NSC_11hip_rocprim7__merge17predicate_wrapperIttNSC_4lessItEEEEEE10hipError_tPvRmT0_T1_T2_T3_T4_T5_mmT6_P12ihipStream_tbEUlT_E0_NS1_11comp_targetILNS1_3genE0ELNS1_11target_archE4294967295ELNS1_3gpuE0ELNS1_3repE0EEENS1_30default_config_static_selectorELNS0_4arch9wavefront6targetE0EEEvS11_.uses_vcc, 0
	.set _ZN7rocprim17ROCPRIM_400000_NS6detail17trampoline_kernelINS0_14default_configENS1_21merge_config_selectorINS0_5tupleIJttEEENS0_10empty_typeEEEZNS1_10merge_implIS3_NS0_12zip_iteratorINS5_IJN6thrust23THRUST_200600_302600_NS6detail15normal_iteratorINSC_10device_ptrIKtEEEESI_EEEEESK_NSA_INS5_IJNSC_16discard_iteratorINSC_11use_defaultEEESN_EEEEEPS7_SQ_SQ_NSC_11hip_rocprim7__merge17predicate_wrapperIttNSC_4lessItEEEEEE10hipError_tPvRmT0_T1_T2_T3_T4_T5_mmT6_P12ihipStream_tbEUlT_E0_NS1_11comp_targetILNS1_3genE0ELNS1_11target_archE4294967295ELNS1_3gpuE0ELNS1_3repE0EEENS1_30default_config_static_selectorELNS0_4arch9wavefront6targetE0EEEvS11_.uses_flat_scratch, 0
	.set _ZN7rocprim17ROCPRIM_400000_NS6detail17trampoline_kernelINS0_14default_configENS1_21merge_config_selectorINS0_5tupleIJttEEENS0_10empty_typeEEEZNS1_10merge_implIS3_NS0_12zip_iteratorINS5_IJN6thrust23THRUST_200600_302600_NS6detail15normal_iteratorINSC_10device_ptrIKtEEEESI_EEEEESK_NSA_INS5_IJNSC_16discard_iteratorINSC_11use_defaultEEESN_EEEEEPS7_SQ_SQ_NSC_11hip_rocprim7__merge17predicate_wrapperIttNSC_4lessItEEEEEE10hipError_tPvRmT0_T1_T2_T3_T4_T5_mmT6_P12ihipStream_tbEUlT_E0_NS1_11comp_targetILNS1_3genE0ELNS1_11target_archE4294967295ELNS1_3gpuE0ELNS1_3repE0EEENS1_30default_config_static_selectorELNS0_4arch9wavefront6targetE0EEEvS11_.has_dyn_sized_stack, 0
	.set _ZN7rocprim17ROCPRIM_400000_NS6detail17trampoline_kernelINS0_14default_configENS1_21merge_config_selectorINS0_5tupleIJttEEENS0_10empty_typeEEEZNS1_10merge_implIS3_NS0_12zip_iteratorINS5_IJN6thrust23THRUST_200600_302600_NS6detail15normal_iteratorINSC_10device_ptrIKtEEEESI_EEEEESK_NSA_INS5_IJNSC_16discard_iteratorINSC_11use_defaultEEESN_EEEEEPS7_SQ_SQ_NSC_11hip_rocprim7__merge17predicate_wrapperIttNSC_4lessItEEEEEE10hipError_tPvRmT0_T1_T2_T3_T4_T5_mmT6_P12ihipStream_tbEUlT_E0_NS1_11comp_targetILNS1_3genE0ELNS1_11target_archE4294967295ELNS1_3gpuE0ELNS1_3repE0EEENS1_30default_config_static_selectorELNS0_4arch9wavefront6targetE0EEEvS11_.has_recursion, 0
	.set _ZN7rocprim17ROCPRIM_400000_NS6detail17trampoline_kernelINS0_14default_configENS1_21merge_config_selectorINS0_5tupleIJttEEENS0_10empty_typeEEEZNS1_10merge_implIS3_NS0_12zip_iteratorINS5_IJN6thrust23THRUST_200600_302600_NS6detail15normal_iteratorINSC_10device_ptrIKtEEEESI_EEEEESK_NSA_INS5_IJNSC_16discard_iteratorINSC_11use_defaultEEESN_EEEEEPS7_SQ_SQ_NSC_11hip_rocprim7__merge17predicate_wrapperIttNSC_4lessItEEEEEE10hipError_tPvRmT0_T1_T2_T3_T4_T5_mmT6_P12ihipStream_tbEUlT_E0_NS1_11comp_targetILNS1_3genE0ELNS1_11target_archE4294967295ELNS1_3gpuE0ELNS1_3repE0EEENS1_30default_config_static_selectorELNS0_4arch9wavefront6targetE0EEEvS11_.has_indirect_call, 0
	.section	.AMDGPU.csdata,"",@progbits
; Kernel info:
; codeLenInByte = 0
; TotalNumSgprs: 0
; NumVgprs: 0
; ScratchSize: 0
; MemoryBound: 0
; FloatMode: 240
; IeeeMode: 1
; LDSByteSize: 0 bytes/workgroup (compile time only)
; SGPRBlocks: 0
; VGPRBlocks: 0
; NumSGPRsForWavesPerEU: 1
; NumVGPRsForWavesPerEU: 1
; Occupancy: 16
; WaveLimiterHint : 0
; COMPUTE_PGM_RSRC2:SCRATCH_EN: 0
; COMPUTE_PGM_RSRC2:USER_SGPR: 6
; COMPUTE_PGM_RSRC2:TRAP_HANDLER: 0
; COMPUTE_PGM_RSRC2:TGID_X_EN: 1
; COMPUTE_PGM_RSRC2:TGID_Y_EN: 0
; COMPUTE_PGM_RSRC2:TGID_Z_EN: 0
; COMPUTE_PGM_RSRC2:TIDIG_COMP_CNT: 0
	.section	.text._ZN7rocprim17ROCPRIM_400000_NS6detail17trampoline_kernelINS0_14default_configENS1_21merge_config_selectorINS0_5tupleIJttEEENS0_10empty_typeEEEZNS1_10merge_implIS3_NS0_12zip_iteratorINS5_IJN6thrust23THRUST_200600_302600_NS6detail15normal_iteratorINSC_10device_ptrIKtEEEESI_EEEEESK_NSA_INS5_IJNSC_16discard_iteratorINSC_11use_defaultEEESN_EEEEEPS7_SQ_SQ_NSC_11hip_rocprim7__merge17predicate_wrapperIttNSC_4lessItEEEEEE10hipError_tPvRmT0_T1_T2_T3_T4_T5_mmT6_P12ihipStream_tbEUlT_E0_NS1_11comp_targetILNS1_3genE5ELNS1_11target_archE942ELNS1_3gpuE9ELNS1_3repE0EEENS1_30default_config_static_selectorELNS0_4arch9wavefront6targetE0EEEvS11_,"axG",@progbits,_ZN7rocprim17ROCPRIM_400000_NS6detail17trampoline_kernelINS0_14default_configENS1_21merge_config_selectorINS0_5tupleIJttEEENS0_10empty_typeEEEZNS1_10merge_implIS3_NS0_12zip_iteratorINS5_IJN6thrust23THRUST_200600_302600_NS6detail15normal_iteratorINSC_10device_ptrIKtEEEESI_EEEEESK_NSA_INS5_IJNSC_16discard_iteratorINSC_11use_defaultEEESN_EEEEEPS7_SQ_SQ_NSC_11hip_rocprim7__merge17predicate_wrapperIttNSC_4lessItEEEEEE10hipError_tPvRmT0_T1_T2_T3_T4_T5_mmT6_P12ihipStream_tbEUlT_E0_NS1_11comp_targetILNS1_3genE5ELNS1_11target_archE942ELNS1_3gpuE9ELNS1_3repE0EEENS1_30default_config_static_selectorELNS0_4arch9wavefront6targetE0EEEvS11_,comdat
	.protected	_ZN7rocprim17ROCPRIM_400000_NS6detail17trampoline_kernelINS0_14default_configENS1_21merge_config_selectorINS0_5tupleIJttEEENS0_10empty_typeEEEZNS1_10merge_implIS3_NS0_12zip_iteratorINS5_IJN6thrust23THRUST_200600_302600_NS6detail15normal_iteratorINSC_10device_ptrIKtEEEESI_EEEEESK_NSA_INS5_IJNSC_16discard_iteratorINSC_11use_defaultEEESN_EEEEEPS7_SQ_SQ_NSC_11hip_rocprim7__merge17predicate_wrapperIttNSC_4lessItEEEEEE10hipError_tPvRmT0_T1_T2_T3_T4_T5_mmT6_P12ihipStream_tbEUlT_E0_NS1_11comp_targetILNS1_3genE5ELNS1_11target_archE942ELNS1_3gpuE9ELNS1_3repE0EEENS1_30default_config_static_selectorELNS0_4arch9wavefront6targetE0EEEvS11_ ; -- Begin function _ZN7rocprim17ROCPRIM_400000_NS6detail17trampoline_kernelINS0_14default_configENS1_21merge_config_selectorINS0_5tupleIJttEEENS0_10empty_typeEEEZNS1_10merge_implIS3_NS0_12zip_iteratorINS5_IJN6thrust23THRUST_200600_302600_NS6detail15normal_iteratorINSC_10device_ptrIKtEEEESI_EEEEESK_NSA_INS5_IJNSC_16discard_iteratorINSC_11use_defaultEEESN_EEEEEPS7_SQ_SQ_NSC_11hip_rocprim7__merge17predicate_wrapperIttNSC_4lessItEEEEEE10hipError_tPvRmT0_T1_T2_T3_T4_T5_mmT6_P12ihipStream_tbEUlT_E0_NS1_11comp_targetILNS1_3genE5ELNS1_11target_archE942ELNS1_3gpuE9ELNS1_3repE0EEENS1_30default_config_static_selectorELNS0_4arch9wavefront6targetE0EEEvS11_
	.globl	_ZN7rocprim17ROCPRIM_400000_NS6detail17trampoline_kernelINS0_14default_configENS1_21merge_config_selectorINS0_5tupleIJttEEENS0_10empty_typeEEEZNS1_10merge_implIS3_NS0_12zip_iteratorINS5_IJN6thrust23THRUST_200600_302600_NS6detail15normal_iteratorINSC_10device_ptrIKtEEEESI_EEEEESK_NSA_INS5_IJNSC_16discard_iteratorINSC_11use_defaultEEESN_EEEEEPS7_SQ_SQ_NSC_11hip_rocprim7__merge17predicate_wrapperIttNSC_4lessItEEEEEE10hipError_tPvRmT0_T1_T2_T3_T4_T5_mmT6_P12ihipStream_tbEUlT_E0_NS1_11comp_targetILNS1_3genE5ELNS1_11target_archE942ELNS1_3gpuE9ELNS1_3repE0EEENS1_30default_config_static_selectorELNS0_4arch9wavefront6targetE0EEEvS11_
	.p2align	8
	.type	_ZN7rocprim17ROCPRIM_400000_NS6detail17trampoline_kernelINS0_14default_configENS1_21merge_config_selectorINS0_5tupleIJttEEENS0_10empty_typeEEEZNS1_10merge_implIS3_NS0_12zip_iteratorINS5_IJN6thrust23THRUST_200600_302600_NS6detail15normal_iteratorINSC_10device_ptrIKtEEEESI_EEEEESK_NSA_INS5_IJNSC_16discard_iteratorINSC_11use_defaultEEESN_EEEEEPS7_SQ_SQ_NSC_11hip_rocprim7__merge17predicate_wrapperIttNSC_4lessItEEEEEE10hipError_tPvRmT0_T1_T2_T3_T4_T5_mmT6_P12ihipStream_tbEUlT_E0_NS1_11comp_targetILNS1_3genE5ELNS1_11target_archE942ELNS1_3gpuE9ELNS1_3repE0EEENS1_30default_config_static_selectorELNS0_4arch9wavefront6targetE0EEEvS11_,@function
_ZN7rocprim17ROCPRIM_400000_NS6detail17trampoline_kernelINS0_14default_configENS1_21merge_config_selectorINS0_5tupleIJttEEENS0_10empty_typeEEEZNS1_10merge_implIS3_NS0_12zip_iteratorINS5_IJN6thrust23THRUST_200600_302600_NS6detail15normal_iteratorINSC_10device_ptrIKtEEEESI_EEEEESK_NSA_INS5_IJNSC_16discard_iteratorINSC_11use_defaultEEESN_EEEEEPS7_SQ_SQ_NSC_11hip_rocprim7__merge17predicate_wrapperIttNSC_4lessItEEEEEE10hipError_tPvRmT0_T1_T2_T3_T4_T5_mmT6_P12ihipStream_tbEUlT_E0_NS1_11comp_targetILNS1_3genE5ELNS1_11target_archE942ELNS1_3gpuE9ELNS1_3repE0EEENS1_30default_config_static_selectorELNS0_4arch9wavefront6targetE0EEEvS11_: ; @_ZN7rocprim17ROCPRIM_400000_NS6detail17trampoline_kernelINS0_14default_configENS1_21merge_config_selectorINS0_5tupleIJttEEENS0_10empty_typeEEEZNS1_10merge_implIS3_NS0_12zip_iteratorINS5_IJN6thrust23THRUST_200600_302600_NS6detail15normal_iteratorINSC_10device_ptrIKtEEEESI_EEEEESK_NSA_INS5_IJNSC_16discard_iteratorINSC_11use_defaultEEESN_EEEEEPS7_SQ_SQ_NSC_11hip_rocprim7__merge17predicate_wrapperIttNSC_4lessItEEEEEE10hipError_tPvRmT0_T1_T2_T3_T4_T5_mmT6_P12ihipStream_tbEUlT_E0_NS1_11comp_targetILNS1_3genE5ELNS1_11target_archE942ELNS1_3gpuE9ELNS1_3repE0EEENS1_30default_config_static_selectorELNS0_4arch9wavefront6targetE0EEEvS11_
; %bb.0:
	.section	.rodata,"a",@progbits
	.p2align	6, 0x0
	.amdhsa_kernel _ZN7rocprim17ROCPRIM_400000_NS6detail17trampoline_kernelINS0_14default_configENS1_21merge_config_selectorINS0_5tupleIJttEEENS0_10empty_typeEEEZNS1_10merge_implIS3_NS0_12zip_iteratorINS5_IJN6thrust23THRUST_200600_302600_NS6detail15normal_iteratorINSC_10device_ptrIKtEEEESI_EEEEESK_NSA_INS5_IJNSC_16discard_iteratorINSC_11use_defaultEEESN_EEEEEPS7_SQ_SQ_NSC_11hip_rocprim7__merge17predicate_wrapperIttNSC_4lessItEEEEEE10hipError_tPvRmT0_T1_T2_T3_T4_T5_mmT6_P12ihipStream_tbEUlT_E0_NS1_11comp_targetILNS1_3genE5ELNS1_11target_archE942ELNS1_3gpuE9ELNS1_3repE0EEENS1_30default_config_static_selectorELNS0_4arch9wavefront6targetE0EEEvS11_
		.amdhsa_group_segment_fixed_size 0
		.amdhsa_private_segment_fixed_size 0
		.amdhsa_kernarg_size 128
		.amdhsa_user_sgpr_count 6
		.amdhsa_user_sgpr_private_segment_buffer 1
		.amdhsa_user_sgpr_dispatch_ptr 0
		.amdhsa_user_sgpr_queue_ptr 0
		.amdhsa_user_sgpr_kernarg_segment_ptr 1
		.amdhsa_user_sgpr_dispatch_id 0
		.amdhsa_user_sgpr_flat_scratch_init 0
		.amdhsa_user_sgpr_private_segment_size 0
		.amdhsa_wavefront_size32 1
		.amdhsa_uses_dynamic_stack 0
		.amdhsa_system_sgpr_private_segment_wavefront_offset 0
		.amdhsa_system_sgpr_workgroup_id_x 1
		.amdhsa_system_sgpr_workgroup_id_y 0
		.amdhsa_system_sgpr_workgroup_id_z 0
		.amdhsa_system_sgpr_workgroup_info 0
		.amdhsa_system_vgpr_workitem_id 0
		.amdhsa_next_free_vgpr 1
		.amdhsa_next_free_sgpr 1
		.amdhsa_reserve_vcc 0
		.amdhsa_reserve_flat_scratch 0
		.amdhsa_float_round_mode_32 0
		.amdhsa_float_round_mode_16_64 0
		.amdhsa_float_denorm_mode_32 3
		.amdhsa_float_denorm_mode_16_64 3
		.amdhsa_dx10_clamp 1
		.amdhsa_ieee_mode 1
		.amdhsa_fp16_overflow 0
		.amdhsa_workgroup_processor_mode 1
		.amdhsa_memory_ordered 1
		.amdhsa_forward_progress 1
		.amdhsa_shared_vgpr_count 0
		.amdhsa_exception_fp_ieee_invalid_op 0
		.amdhsa_exception_fp_denorm_src 0
		.amdhsa_exception_fp_ieee_div_zero 0
		.amdhsa_exception_fp_ieee_overflow 0
		.amdhsa_exception_fp_ieee_underflow 0
		.amdhsa_exception_fp_ieee_inexact 0
		.amdhsa_exception_int_div_zero 0
	.end_amdhsa_kernel
	.section	.text._ZN7rocprim17ROCPRIM_400000_NS6detail17trampoline_kernelINS0_14default_configENS1_21merge_config_selectorINS0_5tupleIJttEEENS0_10empty_typeEEEZNS1_10merge_implIS3_NS0_12zip_iteratorINS5_IJN6thrust23THRUST_200600_302600_NS6detail15normal_iteratorINSC_10device_ptrIKtEEEESI_EEEEESK_NSA_INS5_IJNSC_16discard_iteratorINSC_11use_defaultEEESN_EEEEEPS7_SQ_SQ_NSC_11hip_rocprim7__merge17predicate_wrapperIttNSC_4lessItEEEEEE10hipError_tPvRmT0_T1_T2_T3_T4_T5_mmT6_P12ihipStream_tbEUlT_E0_NS1_11comp_targetILNS1_3genE5ELNS1_11target_archE942ELNS1_3gpuE9ELNS1_3repE0EEENS1_30default_config_static_selectorELNS0_4arch9wavefront6targetE0EEEvS11_,"axG",@progbits,_ZN7rocprim17ROCPRIM_400000_NS6detail17trampoline_kernelINS0_14default_configENS1_21merge_config_selectorINS0_5tupleIJttEEENS0_10empty_typeEEEZNS1_10merge_implIS3_NS0_12zip_iteratorINS5_IJN6thrust23THRUST_200600_302600_NS6detail15normal_iteratorINSC_10device_ptrIKtEEEESI_EEEEESK_NSA_INS5_IJNSC_16discard_iteratorINSC_11use_defaultEEESN_EEEEEPS7_SQ_SQ_NSC_11hip_rocprim7__merge17predicate_wrapperIttNSC_4lessItEEEEEE10hipError_tPvRmT0_T1_T2_T3_T4_T5_mmT6_P12ihipStream_tbEUlT_E0_NS1_11comp_targetILNS1_3genE5ELNS1_11target_archE942ELNS1_3gpuE9ELNS1_3repE0EEENS1_30default_config_static_selectorELNS0_4arch9wavefront6targetE0EEEvS11_,comdat
.Lfunc_end561:
	.size	_ZN7rocprim17ROCPRIM_400000_NS6detail17trampoline_kernelINS0_14default_configENS1_21merge_config_selectorINS0_5tupleIJttEEENS0_10empty_typeEEEZNS1_10merge_implIS3_NS0_12zip_iteratorINS5_IJN6thrust23THRUST_200600_302600_NS6detail15normal_iteratorINSC_10device_ptrIKtEEEESI_EEEEESK_NSA_INS5_IJNSC_16discard_iteratorINSC_11use_defaultEEESN_EEEEEPS7_SQ_SQ_NSC_11hip_rocprim7__merge17predicate_wrapperIttNSC_4lessItEEEEEE10hipError_tPvRmT0_T1_T2_T3_T4_T5_mmT6_P12ihipStream_tbEUlT_E0_NS1_11comp_targetILNS1_3genE5ELNS1_11target_archE942ELNS1_3gpuE9ELNS1_3repE0EEENS1_30default_config_static_selectorELNS0_4arch9wavefront6targetE0EEEvS11_, .Lfunc_end561-_ZN7rocprim17ROCPRIM_400000_NS6detail17trampoline_kernelINS0_14default_configENS1_21merge_config_selectorINS0_5tupleIJttEEENS0_10empty_typeEEEZNS1_10merge_implIS3_NS0_12zip_iteratorINS5_IJN6thrust23THRUST_200600_302600_NS6detail15normal_iteratorINSC_10device_ptrIKtEEEESI_EEEEESK_NSA_INS5_IJNSC_16discard_iteratorINSC_11use_defaultEEESN_EEEEEPS7_SQ_SQ_NSC_11hip_rocprim7__merge17predicate_wrapperIttNSC_4lessItEEEEEE10hipError_tPvRmT0_T1_T2_T3_T4_T5_mmT6_P12ihipStream_tbEUlT_E0_NS1_11comp_targetILNS1_3genE5ELNS1_11target_archE942ELNS1_3gpuE9ELNS1_3repE0EEENS1_30default_config_static_selectorELNS0_4arch9wavefront6targetE0EEEvS11_
                                        ; -- End function
	.set _ZN7rocprim17ROCPRIM_400000_NS6detail17trampoline_kernelINS0_14default_configENS1_21merge_config_selectorINS0_5tupleIJttEEENS0_10empty_typeEEEZNS1_10merge_implIS3_NS0_12zip_iteratorINS5_IJN6thrust23THRUST_200600_302600_NS6detail15normal_iteratorINSC_10device_ptrIKtEEEESI_EEEEESK_NSA_INS5_IJNSC_16discard_iteratorINSC_11use_defaultEEESN_EEEEEPS7_SQ_SQ_NSC_11hip_rocprim7__merge17predicate_wrapperIttNSC_4lessItEEEEEE10hipError_tPvRmT0_T1_T2_T3_T4_T5_mmT6_P12ihipStream_tbEUlT_E0_NS1_11comp_targetILNS1_3genE5ELNS1_11target_archE942ELNS1_3gpuE9ELNS1_3repE0EEENS1_30default_config_static_selectorELNS0_4arch9wavefront6targetE0EEEvS11_.num_vgpr, 0
	.set _ZN7rocprim17ROCPRIM_400000_NS6detail17trampoline_kernelINS0_14default_configENS1_21merge_config_selectorINS0_5tupleIJttEEENS0_10empty_typeEEEZNS1_10merge_implIS3_NS0_12zip_iteratorINS5_IJN6thrust23THRUST_200600_302600_NS6detail15normal_iteratorINSC_10device_ptrIKtEEEESI_EEEEESK_NSA_INS5_IJNSC_16discard_iteratorINSC_11use_defaultEEESN_EEEEEPS7_SQ_SQ_NSC_11hip_rocprim7__merge17predicate_wrapperIttNSC_4lessItEEEEEE10hipError_tPvRmT0_T1_T2_T3_T4_T5_mmT6_P12ihipStream_tbEUlT_E0_NS1_11comp_targetILNS1_3genE5ELNS1_11target_archE942ELNS1_3gpuE9ELNS1_3repE0EEENS1_30default_config_static_selectorELNS0_4arch9wavefront6targetE0EEEvS11_.num_agpr, 0
	.set _ZN7rocprim17ROCPRIM_400000_NS6detail17trampoline_kernelINS0_14default_configENS1_21merge_config_selectorINS0_5tupleIJttEEENS0_10empty_typeEEEZNS1_10merge_implIS3_NS0_12zip_iteratorINS5_IJN6thrust23THRUST_200600_302600_NS6detail15normal_iteratorINSC_10device_ptrIKtEEEESI_EEEEESK_NSA_INS5_IJNSC_16discard_iteratorINSC_11use_defaultEEESN_EEEEEPS7_SQ_SQ_NSC_11hip_rocprim7__merge17predicate_wrapperIttNSC_4lessItEEEEEE10hipError_tPvRmT0_T1_T2_T3_T4_T5_mmT6_P12ihipStream_tbEUlT_E0_NS1_11comp_targetILNS1_3genE5ELNS1_11target_archE942ELNS1_3gpuE9ELNS1_3repE0EEENS1_30default_config_static_selectorELNS0_4arch9wavefront6targetE0EEEvS11_.numbered_sgpr, 0
	.set _ZN7rocprim17ROCPRIM_400000_NS6detail17trampoline_kernelINS0_14default_configENS1_21merge_config_selectorINS0_5tupleIJttEEENS0_10empty_typeEEEZNS1_10merge_implIS3_NS0_12zip_iteratorINS5_IJN6thrust23THRUST_200600_302600_NS6detail15normal_iteratorINSC_10device_ptrIKtEEEESI_EEEEESK_NSA_INS5_IJNSC_16discard_iteratorINSC_11use_defaultEEESN_EEEEEPS7_SQ_SQ_NSC_11hip_rocprim7__merge17predicate_wrapperIttNSC_4lessItEEEEEE10hipError_tPvRmT0_T1_T2_T3_T4_T5_mmT6_P12ihipStream_tbEUlT_E0_NS1_11comp_targetILNS1_3genE5ELNS1_11target_archE942ELNS1_3gpuE9ELNS1_3repE0EEENS1_30default_config_static_selectorELNS0_4arch9wavefront6targetE0EEEvS11_.num_named_barrier, 0
	.set _ZN7rocprim17ROCPRIM_400000_NS6detail17trampoline_kernelINS0_14default_configENS1_21merge_config_selectorINS0_5tupleIJttEEENS0_10empty_typeEEEZNS1_10merge_implIS3_NS0_12zip_iteratorINS5_IJN6thrust23THRUST_200600_302600_NS6detail15normal_iteratorINSC_10device_ptrIKtEEEESI_EEEEESK_NSA_INS5_IJNSC_16discard_iteratorINSC_11use_defaultEEESN_EEEEEPS7_SQ_SQ_NSC_11hip_rocprim7__merge17predicate_wrapperIttNSC_4lessItEEEEEE10hipError_tPvRmT0_T1_T2_T3_T4_T5_mmT6_P12ihipStream_tbEUlT_E0_NS1_11comp_targetILNS1_3genE5ELNS1_11target_archE942ELNS1_3gpuE9ELNS1_3repE0EEENS1_30default_config_static_selectorELNS0_4arch9wavefront6targetE0EEEvS11_.private_seg_size, 0
	.set _ZN7rocprim17ROCPRIM_400000_NS6detail17trampoline_kernelINS0_14default_configENS1_21merge_config_selectorINS0_5tupleIJttEEENS0_10empty_typeEEEZNS1_10merge_implIS3_NS0_12zip_iteratorINS5_IJN6thrust23THRUST_200600_302600_NS6detail15normal_iteratorINSC_10device_ptrIKtEEEESI_EEEEESK_NSA_INS5_IJNSC_16discard_iteratorINSC_11use_defaultEEESN_EEEEEPS7_SQ_SQ_NSC_11hip_rocprim7__merge17predicate_wrapperIttNSC_4lessItEEEEEE10hipError_tPvRmT0_T1_T2_T3_T4_T5_mmT6_P12ihipStream_tbEUlT_E0_NS1_11comp_targetILNS1_3genE5ELNS1_11target_archE942ELNS1_3gpuE9ELNS1_3repE0EEENS1_30default_config_static_selectorELNS0_4arch9wavefront6targetE0EEEvS11_.uses_vcc, 0
	.set _ZN7rocprim17ROCPRIM_400000_NS6detail17trampoline_kernelINS0_14default_configENS1_21merge_config_selectorINS0_5tupleIJttEEENS0_10empty_typeEEEZNS1_10merge_implIS3_NS0_12zip_iteratorINS5_IJN6thrust23THRUST_200600_302600_NS6detail15normal_iteratorINSC_10device_ptrIKtEEEESI_EEEEESK_NSA_INS5_IJNSC_16discard_iteratorINSC_11use_defaultEEESN_EEEEEPS7_SQ_SQ_NSC_11hip_rocprim7__merge17predicate_wrapperIttNSC_4lessItEEEEEE10hipError_tPvRmT0_T1_T2_T3_T4_T5_mmT6_P12ihipStream_tbEUlT_E0_NS1_11comp_targetILNS1_3genE5ELNS1_11target_archE942ELNS1_3gpuE9ELNS1_3repE0EEENS1_30default_config_static_selectorELNS0_4arch9wavefront6targetE0EEEvS11_.uses_flat_scratch, 0
	.set _ZN7rocprim17ROCPRIM_400000_NS6detail17trampoline_kernelINS0_14default_configENS1_21merge_config_selectorINS0_5tupleIJttEEENS0_10empty_typeEEEZNS1_10merge_implIS3_NS0_12zip_iteratorINS5_IJN6thrust23THRUST_200600_302600_NS6detail15normal_iteratorINSC_10device_ptrIKtEEEESI_EEEEESK_NSA_INS5_IJNSC_16discard_iteratorINSC_11use_defaultEEESN_EEEEEPS7_SQ_SQ_NSC_11hip_rocprim7__merge17predicate_wrapperIttNSC_4lessItEEEEEE10hipError_tPvRmT0_T1_T2_T3_T4_T5_mmT6_P12ihipStream_tbEUlT_E0_NS1_11comp_targetILNS1_3genE5ELNS1_11target_archE942ELNS1_3gpuE9ELNS1_3repE0EEENS1_30default_config_static_selectorELNS0_4arch9wavefront6targetE0EEEvS11_.has_dyn_sized_stack, 0
	.set _ZN7rocprim17ROCPRIM_400000_NS6detail17trampoline_kernelINS0_14default_configENS1_21merge_config_selectorINS0_5tupleIJttEEENS0_10empty_typeEEEZNS1_10merge_implIS3_NS0_12zip_iteratorINS5_IJN6thrust23THRUST_200600_302600_NS6detail15normal_iteratorINSC_10device_ptrIKtEEEESI_EEEEESK_NSA_INS5_IJNSC_16discard_iteratorINSC_11use_defaultEEESN_EEEEEPS7_SQ_SQ_NSC_11hip_rocprim7__merge17predicate_wrapperIttNSC_4lessItEEEEEE10hipError_tPvRmT0_T1_T2_T3_T4_T5_mmT6_P12ihipStream_tbEUlT_E0_NS1_11comp_targetILNS1_3genE5ELNS1_11target_archE942ELNS1_3gpuE9ELNS1_3repE0EEENS1_30default_config_static_selectorELNS0_4arch9wavefront6targetE0EEEvS11_.has_recursion, 0
	.set _ZN7rocprim17ROCPRIM_400000_NS6detail17trampoline_kernelINS0_14default_configENS1_21merge_config_selectorINS0_5tupleIJttEEENS0_10empty_typeEEEZNS1_10merge_implIS3_NS0_12zip_iteratorINS5_IJN6thrust23THRUST_200600_302600_NS6detail15normal_iteratorINSC_10device_ptrIKtEEEESI_EEEEESK_NSA_INS5_IJNSC_16discard_iteratorINSC_11use_defaultEEESN_EEEEEPS7_SQ_SQ_NSC_11hip_rocprim7__merge17predicate_wrapperIttNSC_4lessItEEEEEE10hipError_tPvRmT0_T1_T2_T3_T4_T5_mmT6_P12ihipStream_tbEUlT_E0_NS1_11comp_targetILNS1_3genE5ELNS1_11target_archE942ELNS1_3gpuE9ELNS1_3repE0EEENS1_30default_config_static_selectorELNS0_4arch9wavefront6targetE0EEEvS11_.has_indirect_call, 0
	.section	.AMDGPU.csdata,"",@progbits
; Kernel info:
; codeLenInByte = 0
; TotalNumSgprs: 0
; NumVgprs: 0
; ScratchSize: 0
; MemoryBound: 0
; FloatMode: 240
; IeeeMode: 1
; LDSByteSize: 0 bytes/workgroup (compile time only)
; SGPRBlocks: 0
; VGPRBlocks: 0
; NumSGPRsForWavesPerEU: 1
; NumVGPRsForWavesPerEU: 1
; Occupancy: 16
; WaveLimiterHint : 0
; COMPUTE_PGM_RSRC2:SCRATCH_EN: 0
; COMPUTE_PGM_RSRC2:USER_SGPR: 6
; COMPUTE_PGM_RSRC2:TRAP_HANDLER: 0
; COMPUTE_PGM_RSRC2:TGID_X_EN: 1
; COMPUTE_PGM_RSRC2:TGID_Y_EN: 0
; COMPUTE_PGM_RSRC2:TGID_Z_EN: 0
; COMPUTE_PGM_RSRC2:TIDIG_COMP_CNT: 0
	.section	.text._ZN7rocprim17ROCPRIM_400000_NS6detail17trampoline_kernelINS0_14default_configENS1_21merge_config_selectorINS0_5tupleIJttEEENS0_10empty_typeEEEZNS1_10merge_implIS3_NS0_12zip_iteratorINS5_IJN6thrust23THRUST_200600_302600_NS6detail15normal_iteratorINSC_10device_ptrIKtEEEESI_EEEEESK_NSA_INS5_IJNSC_16discard_iteratorINSC_11use_defaultEEESN_EEEEEPS7_SQ_SQ_NSC_11hip_rocprim7__merge17predicate_wrapperIttNSC_4lessItEEEEEE10hipError_tPvRmT0_T1_T2_T3_T4_T5_mmT6_P12ihipStream_tbEUlT_E0_NS1_11comp_targetILNS1_3genE4ELNS1_11target_archE910ELNS1_3gpuE8ELNS1_3repE0EEENS1_30default_config_static_selectorELNS0_4arch9wavefront6targetE0EEEvS11_,"axG",@progbits,_ZN7rocprim17ROCPRIM_400000_NS6detail17trampoline_kernelINS0_14default_configENS1_21merge_config_selectorINS0_5tupleIJttEEENS0_10empty_typeEEEZNS1_10merge_implIS3_NS0_12zip_iteratorINS5_IJN6thrust23THRUST_200600_302600_NS6detail15normal_iteratorINSC_10device_ptrIKtEEEESI_EEEEESK_NSA_INS5_IJNSC_16discard_iteratorINSC_11use_defaultEEESN_EEEEEPS7_SQ_SQ_NSC_11hip_rocprim7__merge17predicate_wrapperIttNSC_4lessItEEEEEE10hipError_tPvRmT0_T1_T2_T3_T4_T5_mmT6_P12ihipStream_tbEUlT_E0_NS1_11comp_targetILNS1_3genE4ELNS1_11target_archE910ELNS1_3gpuE8ELNS1_3repE0EEENS1_30default_config_static_selectorELNS0_4arch9wavefront6targetE0EEEvS11_,comdat
	.protected	_ZN7rocprim17ROCPRIM_400000_NS6detail17trampoline_kernelINS0_14default_configENS1_21merge_config_selectorINS0_5tupleIJttEEENS0_10empty_typeEEEZNS1_10merge_implIS3_NS0_12zip_iteratorINS5_IJN6thrust23THRUST_200600_302600_NS6detail15normal_iteratorINSC_10device_ptrIKtEEEESI_EEEEESK_NSA_INS5_IJNSC_16discard_iteratorINSC_11use_defaultEEESN_EEEEEPS7_SQ_SQ_NSC_11hip_rocprim7__merge17predicate_wrapperIttNSC_4lessItEEEEEE10hipError_tPvRmT0_T1_T2_T3_T4_T5_mmT6_P12ihipStream_tbEUlT_E0_NS1_11comp_targetILNS1_3genE4ELNS1_11target_archE910ELNS1_3gpuE8ELNS1_3repE0EEENS1_30default_config_static_selectorELNS0_4arch9wavefront6targetE0EEEvS11_ ; -- Begin function _ZN7rocprim17ROCPRIM_400000_NS6detail17trampoline_kernelINS0_14default_configENS1_21merge_config_selectorINS0_5tupleIJttEEENS0_10empty_typeEEEZNS1_10merge_implIS3_NS0_12zip_iteratorINS5_IJN6thrust23THRUST_200600_302600_NS6detail15normal_iteratorINSC_10device_ptrIKtEEEESI_EEEEESK_NSA_INS5_IJNSC_16discard_iteratorINSC_11use_defaultEEESN_EEEEEPS7_SQ_SQ_NSC_11hip_rocprim7__merge17predicate_wrapperIttNSC_4lessItEEEEEE10hipError_tPvRmT0_T1_T2_T3_T4_T5_mmT6_P12ihipStream_tbEUlT_E0_NS1_11comp_targetILNS1_3genE4ELNS1_11target_archE910ELNS1_3gpuE8ELNS1_3repE0EEENS1_30default_config_static_selectorELNS0_4arch9wavefront6targetE0EEEvS11_
	.globl	_ZN7rocprim17ROCPRIM_400000_NS6detail17trampoline_kernelINS0_14default_configENS1_21merge_config_selectorINS0_5tupleIJttEEENS0_10empty_typeEEEZNS1_10merge_implIS3_NS0_12zip_iteratorINS5_IJN6thrust23THRUST_200600_302600_NS6detail15normal_iteratorINSC_10device_ptrIKtEEEESI_EEEEESK_NSA_INS5_IJNSC_16discard_iteratorINSC_11use_defaultEEESN_EEEEEPS7_SQ_SQ_NSC_11hip_rocprim7__merge17predicate_wrapperIttNSC_4lessItEEEEEE10hipError_tPvRmT0_T1_T2_T3_T4_T5_mmT6_P12ihipStream_tbEUlT_E0_NS1_11comp_targetILNS1_3genE4ELNS1_11target_archE910ELNS1_3gpuE8ELNS1_3repE0EEENS1_30default_config_static_selectorELNS0_4arch9wavefront6targetE0EEEvS11_
	.p2align	8
	.type	_ZN7rocprim17ROCPRIM_400000_NS6detail17trampoline_kernelINS0_14default_configENS1_21merge_config_selectorINS0_5tupleIJttEEENS0_10empty_typeEEEZNS1_10merge_implIS3_NS0_12zip_iteratorINS5_IJN6thrust23THRUST_200600_302600_NS6detail15normal_iteratorINSC_10device_ptrIKtEEEESI_EEEEESK_NSA_INS5_IJNSC_16discard_iteratorINSC_11use_defaultEEESN_EEEEEPS7_SQ_SQ_NSC_11hip_rocprim7__merge17predicate_wrapperIttNSC_4lessItEEEEEE10hipError_tPvRmT0_T1_T2_T3_T4_T5_mmT6_P12ihipStream_tbEUlT_E0_NS1_11comp_targetILNS1_3genE4ELNS1_11target_archE910ELNS1_3gpuE8ELNS1_3repE0EEENS1_30default_config_static_selectorELNS0_4arch9wavefront6targetE0EEEvS11_,@function
_ZN7rocprim17ROCPRIM_400000_NS6detail17trampoline_kernelINS0_14default_configENS1_21merge_config_selectorINS0_5tupleIJttEEENS0_10empty_typeEEEZNS1_10merge_implIS3_NS0_12zip_iteratorINS5_IJN6thrust23THRUST_200600_302600_NS6detail15normal_iteratorINSC_10device_ptrIKtEEEESI_EEEEESK_NSA_INS5_IJNSC_16discard_iteratorINSC_11use_defaultEEESN_EEEEEPS7_SQ_SQ_NSC_11hip_rocprim7__merge17predicate_wrapperIttNSC_4lessItEEEEEE10hipError_tPvRmT0_T1_T2_T3_T4_T5_mmT6_P12ihipStream_tbEUlT_E0_NS1_11comp_targetILNS1_3genE4ELNS1_11target_archE910ELNS1_3gpuE8ELNS1_3repE0EEENS1_30default_config_static_selectorELNS0_4arch9wavefront6targetE0EEEvS11_: ; @_ZN7rocprim17ROCPRIM_400000_NS6detail17trampoline_kernelINS0_14default_configENS1_21merge_config_selectorINS0_5tupleIJttEEENS0_10empty_typeEEEZNS1_10merge_implIS3_NS0_12zip_iteratorINS5_IJN6thrust23THRUST_200600_302600_NS6detail15normal_iteratorINSC_10device_ptrIKtEEEESI_EEEEESK_NSA_INS5_IJNSC_16discard_iteratorINSC_11use_defaultEEESN_EEEEEPS7_SQ_SQ_NSC_11hip_rocprim7__merge17predicate_wrapperIttNSC_4lessItEEEEEE10hipError_tPvRmT0_T1_T2_T3_T4_T5_mmT6_P12ihipStream_tbEUlT_E0_NS1_11comp_targetILNS1_3genE4ELNS1_11target_archE910ELNS1_3gpuE8ELNS1_3repE0EEENS1_30default_config_static_selectorELNS0_4arch9wavefront6targetE0EEEvS11_
; %bb.0:
	.section	.rodata,"a",@progbits
	.p2align	6, 0x0
	.amdhsa_kernel _ZN7rocprim17ROCPRIM_400000_NS6detail17trampoline_kernelINS0_14default_configENS1_21merge_config_selectorINS0_5tupleIJttEEENS0_10empty_typeEEEZNS1_10merge_implIS3_NS0_12zip_iteratorINS5_IJN6thrust23THRUST_200600_302600_NS6detail15normal_iteratorINSC_10device_ptrIKtEEEESI_EEEEESK_NSA_INS5_IJNSC_16discard_iteratorINSC_11use_defaultEEESN_EEEEEPS7_SQ_SQ_NSC_11hip_rocprim7__merge17predicate_wrapperIttNSC_4lessItEEEEEE10hipError_tPvRmT0_T1_T2_T3_T4_T5_mmT6_P12ihipStream_tbEUlT_E0_NS1_11comp_targetILNS1_3genE4ELNS1_11target_archE910ELNS1_3gpuE8ELNS1_3repE0EEENS1_30default_config_static_selectorELNS0_4arch9wavefront6targetE0EEEvS11_
		.amdhsa_group_segment_fixed_size 0
		.amdhsa_private_segment_fixed_size 0
		.amdhsa_kernarg_size 128
		.amdhsa_user_sgpr_count 6
		.amdhsa_user_sgpr_private_segment_buffer 1
		.amdhsa_user_sgpr_dispatch_ptr 0
		.amdhsa_user_sgpr_queue_ptr 0
		.amdhsa_user_sgpr_kernarg_segment_ptr 1
		.amdhsa_user_sgpr_dispatch_id 0
		.amdhsa_user_sgpr_flat_scratch_init 0
		.amdhsa_user_sgpr_private_segment_size 0
		.amdhsa_wavefront_size32 1
		.amdhsa_uses_dynamic_stack 0
		.amdhsa_system_sgpr_private_segment_wavefront_offset 0
		.amdhsa_system_sgpr_workgroup_id_x 1
		.amdhsa_system_sgpr_workgroup_id_y 0
		.amdhsa_system_sgpr_workgroup_id_z 0
		.amdhsa_system_sgpr_workgroup_info 0
		.amdhsa_system_vgpr_workitem_id 0
		.amdhsa_next_free_vgpr 1
		.amdhsa_next_free_sgpr 1
		.amdhsa_reserve_vcc 0
		.amdhsa_reserve_flat_scratch 0
		.amdhsa_float_round_mode_32 0
		.amdhsa_float_round_mode_16_64 0
		.amdhsa_float_denorm_mode_32 3
		.amdhsa_float_denorm_mode_16_64 3
		.amdhsa_dx10_clamp 1
		.amdhsa_ieee_mode 1
		.amdhsa_fp16_overflow 0
		.amdhsa_workgroup_processor_mode 1
		.amdhsa_memory_ordered 1
		.amdhsa_forward_progress 1
		.amdhsa_shared_vgpr_count 0
		.amdhsa_exception_fp_ieee_invalid_op 0
		.amdhsa_exception_fp_denorm_src 0
		.amdhsa_exception_fp_ieee_div_zero 0
		.amdhsa_exception_fp_ieee_overflow 0
		.amdhsa_exception_fp_ieee_underflow 0
		.amdhsa_exception_fp_ieee_inexact 0
		.amdhsa_exception_int_div_zero 0
	.end_amdhsa_kernel
	.section	.text._ZN7rocprim17ROCPRIM_400000_NS6detail17trampoline_kernelINS0_14default_configENS1_21merge_config_selectorINS0_5tupleIJttEEENS0_10empty_typeEEEZNS1_10merge_implIS3_NS0_12zip_iteratorINS5_IJN6thrust23THRUST_200600_302600_NS6detail15normal_iteratorINSC_10device_ptrIKtEEEESI_EEEEESK_NSA_INS5_IJNSC_16discard_iteratorINSC_11use_defaultEEESN_EEEEEPS7_SQ_SQ_NSC_11hip_rocprim7__merge17predicate_wrapperIttNSC_4lessItEEEEEE10hipError_tPvRmT0_T1_T2_T3_T4_T5_mmT6_P12ihipStream_tbEUlT_E0_NS1_11comp_targetILNS1_3genE4ELNS1_11target_archE910ELNS1_3gpuE8ELNS1_3repE0EEENS1_30default_config_static_selectorELNS0_4arch9wavefront6targetE0EEEvS11_,"axG",@progbits,_ZN7rocprim17ROCPRIM_400000_NS6detail17trampoline_kernelINS0_14default_configENS1_21merge_config_selectorINS0_5tupleIJttEEENS0_10empty_typeEEEZNS1_10merge_implIS3_NS0_12zip_iteratorINS5_IJN6thrust23THRUST_200600_302600_NS6detail15normal_iteratorINSC_10device_ptrIKtEEEESI_EEEEESK_NSA_INS5_IJNSC_16discard_iteratorINSC_11use_defaultEEESN_EEEEEPS7_SQ_SQ_NSC_11hip_rocprim7__merge17predicate_wrapperIttNSC_4lessItEEEEEE10hipError_tPvRmT0_T1_T2_T3_T4_T5_mmT6_P12ihipStream_tbEUlT_E0_NS1_11comp_targetILNS1_3genE4ELNS1_11target_archE910ELNS1_3gpuE8ELNS1_3repE0EEENS1_30default_config_static_selectorELNS0_4arch9wavefront6targetE0EEEvS11_,comdat
.Lfunc_end562:
	.size	_ZN7rocprim17ROCPRIM_400000_NS6detail17trampoline_kernelINS0_14default_configENS1_21merge_config_selectorINS0_5tupleIJttEEENS0_10empty_typeEEEZNS1_10merge_implIS3_NS0_12zip_iteratorINS5_IJN6thrust23THRUST_200600_302600_NS6detail15normal_iteratorINSC_10device_ptrIKtEEEESI_EEEEESK_NSA_INS5_IJNSC_16discard_iteratorINSC_11use_defaultEEESN_EEEEEPS7_SQ_SQ_NSC_11hip_rocprim7__merge17predicate_wrapperIttNSC_4lessItEEEEEE10hipError_tPvRmT0_T1_T2_T3_T4_T5_mmT6_P12ihipStream_tbEUlT_E0_NS1_11comp_targetILNS1_3genE4ELNS1_11target_archE910ELNS1_3gpuE8ELNS1_3repE0EEENS1_30default_config_static_selectorELNS0_4arch9wavefront6targetE0EEEvS11_, .Lfunc_end562-_ZN7rocprim17ROCPRIM_400000_NS6detail17trampoline_kernelINS0_14default_configENS1_21merge_config_selectorINS0_5tupleIJttEEENS0_10empty_typeEEEZNS1_10merge_implIS3_NS0_12zip_iteratorINS5_IJN6thrust23THRUST_200600_302600_NS6detail15normal_iteratorINSC_10device_ptrIKtEEEESI_EEEEESK_NSA_INS5_IJNSC_16discard_iteratorINSC_11use_defaultEEESN_EEEEEPS7_SQ_SQ_NSC_11hip_rocprim7__merge17predicate_wrapperIttNSC_4lessItEEEEEE10hipError_tPvRmT0_T1_T2_T3_T4_T5_mmT6_P12ihipStream_tbEUlT_E0_NS1_11comp_targetILNS1_3genE4ELNS1_11target_archE910ELNS1_3gpuE8ELNS1_3repE0EEENS1_30default_config_static_selectorELNS0_4arch9wavefront6targetE0EEEvS11_
                                        ; -- End function
	.set _ZN7rocprim17ROCPRIM_400000_NS6detail17trampoline_kernelINS0_14default_configENS1_21merge_config_selectorINS0_5tupleIJttEEENS0_10empty_typeEEEZNS1_10merge_implIS3_NS0_12zip_iteratorINS5_IJN6thrust23THRUST_200600_302600_NS6detail15normal_iteratorINSC_10device_ptrIKtEEEESI_EEEEESK_NSA_INS5_IJNSC_16discard_iteratorINSC_11use_defaultEEESN_EEEEEPS7_SQ_SQ_NSC_11hip_rocprim7__merge17predicate_wrapperIttNSC_4lessItEEEEEE10hipError_tPvRmT0_T1_T2_T3_T4_T5_mmT6_P12ihipStream_tbEUlT_E0_NS1_11comp_targetILNS1_3genE4ELNS1_11target_archE910ELNS1_3gpuE8ELNS1_3repE0EEENS1_30default_config_static_selectorELNS0_4arch9wavefront6targetE0EEEvS11_.num_vgpr, 0
	.set _ZN7rocprim17ROCPRIM_400000_NS6detail17trampoline_kernelINS0_14default_configENS1_21merge_config_selectorINS0_5tupleIJttEEENS0_10empty_typeEEEZNS1_10merge_implIS3_NS0_12zip_iteratorINS5_IJN6thrust23THRUST_200600_302600_NS6detail15normal_iteratorINSC_10device_ptrIKtEEEESI_EEEEESK_NSA_INS5_IJNSC_16discard_iteratorINSC_11use_defaultEEESN_EEEEEPS7_SQ_SQ_NSC_11hip_rocprim7__merge17predicate_wrapperIttNSC_4lessItEEEEEE10hipError_tPvRmT0_T1_T2_T3_T4_T5_mmT6_P12ihipStream_tbEUlT_E0_NS1_11comp_targetILNS1_3genE4ELNS1_11target_archE910ELNS1_3gpuE8ELNS1_3repE0EEENS1_30default_config_static_selectorELNS0_4arch9wavefront6targetE0EEEvS11_.num_agpr, 0
	.set _ZN7rocprim17ROCPRIM_400000_NS6detail17trampoline_kernelINS0_14default_configENS1_21merge_config_selectorINS0_5tupleIJttEEENS0_10empty_typeEEEZNS1_10merge_implIS3_NS0_12zip_iteratorINS5_IJN6thrust23THRUST_200600_302600_NS6detail15normal_iteratorINSC_10device_ptrIKtEEEESI_EEEEESK_NSA_INS5_IJNSC_16discard_iteratorINSC_11use_defaultEEESN_EEEEEPS7_SQ_SQ_NSC_11hip_rocprim7__merge17predicate_wrapperIttNSC_4lessItEEEEEE10hipError_tPvRmT0_T1_T2_T3_T4_T5_mmT6_P12ihipStream_tbEUlT_E0_NS1_11comp_targetILNS1_3genE4ELNS1_11target_archE910ELNS1_3gpuE8ELNS1_3repE0EEENS1_30default_config_static_selectorELNS0_4arch9wavefront6targetE0EEEvS11_.numbered_sgpr, 0
	.set _ZN7rocprim17ROCPRIM_400000_NS6detail17trampoline_kernelINS0_14default_configENS1_21merge_config_selectorINS0_5tupleIJttEEENS0_10empty_typeEEEZNS1_10merge_implIS3_NS0_12zip_iteratorINS5_IJN6thrust23THRUST_200600_302600_NS6detail15normal_iteratorINSC_10device_ptrIKtEEEESI_EEEEESK_NSA_INS5_IJNSC_16discard_iteratorINSC_11use_defaultEEESN_EEEEEPS7_SQ_SQ_NSC_11hip_rocprim7__merge17predicate_wrapperIttNSC_4lessItEEEEEE10hipError_tPvRmT0_T1_T2_T3_T4_T5_mmT6_P12ihipStream_tbEUlT_E0_NS1_11comp_targetILNS1_3genE4ELNS1_11target_archE910ELNS1_3gpuE8ELNS1_3repE0EEENS1_30default_config_static_selectorELNS0_4arch9wavefront6targetE0EEEvS11_.num_named_barrier, 0
	.set _ZN7rocprim17ROCPRIM_400000_NS6detail17trampoline_kernelINS0_14default_configENS1_21merge_config_selectorINS0_5tupleIJttEEENS0_10empty_typeEEEZNS1_10merge_implIS3_NS0_12zip_iteratorINS5_IJN6thrust23THRUST_200600_302600_NS6detail15normal_iteratorINSC_10device_ptrIKtEEEESI_EEEEESK_NSA_INS5_IJNSC_16discard_iteratorINSC_11use_defaultEEESN_EEEEEPS7_SQ_SQ_NSC_11hip_rocprim7__merge17predicate_wrapperIttNSC_4lessItEEEEEE10hipError_tPvRmT0_T1_T2_T3_T4_T5_mmT6_P12ihipStream_tbEUlT_E0_NS1_11comp_targetILNS1_3genE4ELNS1_11target_archE910ELNS1_3gpuE8ELNS1_3repE0EEENS1_30default_config_static_selectorELNS0_4arch9wavefront6targetE0EEEvS11_.private_seg_size, 0
	.set _ZN7rocprim17ROCPRIM_400000_NS6detail17trampoline_kernelINS0_14default_configENS1_21merge_config_selectorINS0_5tupleIJttEEENS0_10empty_typeEEEZNS1_10merge_implIS3_NS0_12zip_iteratorINS5_IJN6thrust23THRUST_200600_302600_NS6detail15normal_iteratorINSC_10device_ptrIKtEEEESI_EEEEESK_NSA_INS5_IJNSC_16discard_iteratorINSC_11use_defaultEEESN_EEEEEPS7_SQ_SQ_NSC_11hip_rocprim7__merge17predicate_wrapperIttNSC_4lessItEEEEEE10hipError_tPvRmT0_T1_T2_T3_T4_T5_mmT6_P12ihipStream_tbEUlT_E0_NS1_11comp_targetILNS1_3genE4ELNS1_11target_archE910ELNS1_3gpuE8ELNS1_3repE0EEENS1_30default_config_static_selectorELNS0_4arch9wavefront6targetE0EEEvS11_.uses_vcc, 0
	.set _ZN7rocprim17ROCPRIM_400000_NS6detail17trampoline_kernelINS0_14default_configENS1_21merge_config_selectorINS0_5tupleIJttEEENS0_10empty_typeEEEZNS1_10merge_implIS3_NS0_12zip_iteratorINS5_IJN6thrust23THRUST_200600_302600_NS6detail15normal_iteratorINSC_10device_ptrIKtEEEESI_EEEEESK_NSA_INS5_IJNSC_16discard_iteratorINSC_11use_defaultEEESN_EEEEEPS7_SQ_SQ_NSC_11hip_rocprim7__merge17predicate_wrapperIttNSC_4lessItEEEEEE10hipError_tPvRmT0_T1_T2_T3_T4_T5_mmT6_P12ihipStream_tbEUlT_E0_NS1_11comp_targetILNS1_3genE4ELNS1_11target_archE910ELNS1_3gpuE8ELNS1_3repE0EEENS1_30default_config_static_selectorELNS0_4arch9wavefront6targetE0EEEvS11_.uses_flat_scratch, 0
	.set _ZN7rocprim17ROCPRIM_400000_NS6detail17trampoline_kernelINS0_14default_configENS1_21merge_config_selectorINS0_5tupleIJttEEENS0_10empty_typeEEEZNS1_10merge_implIS3_NS0_12zip_iteratorINS5_IJN6thrust23THRUST_200600_302600_NS6detail15normal_iteratorINSC_10device_ptrIKtEEEESI_EEEEESK_NSA_INS5_IJNSC_16discard_iteratorINSC_11use_defaultEEESN_EEEEEPS7_SQ_SQ_NSC_11hip_rocprim7__merge17predicate_wrapperIttNSC_4lessItEEEEEE10hipError_tPvRmT0_T1_T2_T3_T4_T5_mmT6_P12ihipStream_tbEUlT_E0_NS1_11comp_targetILNS1_3genE4ELNS1_11target_archE910ELNS1_3gpuE8ELNS1_3repE0EEENS1_30default_config_static_selectorELNS0_4arch9wavefront6targetE0EEEvS11_.has_dyn_sized_stack, 0
	.set _ZN7rocprim17ROCPRIM_400000_NS6detail17trampoline_kernelINS0_14default_configENS1_21merge_config_selectorINS0_5tupleIJttEEENS0_10empty_typeEEEZNS1_10merge_implIS3_NS0_12zip_iteratorINS5_IJN6thrust23THRUST_200600_302600_NS6detail15normal_iteratorINSC_10device_ptrIKtEEEESI_EEEEESK_NSA_INS5_IJNSC_16discard_iteratorINSC_11use_defaultEEESN_EEEEEPS7_SQ_SQ_NSC_11hip_rocprim7__merge17predicate_wrapperIttNSC_4lessItEEEEEE10hipError_tPvRmT0_T1_T2_T3_T4_T5_mmT6_P12ihipStream_tbEUlT_E0_NS1_11comp_targetILNS1_3genE4ELNS1_11target_archE910ELNS1_3gpuE8ELNS1_3repE0EEENS1_30default_config_static_selectorELNS0_4arch9wavefront6targetE0EEEvS11_.has_recursion, 0
	.set _ZN7rocprim17ROCPRIM_400000_NS6detail17trampoline_kernelINS0_14default_configENS1_21merge_config_selectorINS0_5tupleIJttEEENS0_10empty_typeEEEZNS1_10merge_implIS3_NS0_12zip_iteratorINS5_IJN6thrust23THRUST_200600_302600_NS6detail15normal_iteratorINSC_10device_ptrIKtEEEESI_EEEEESK_NSA_INS5_IJNSC_16discard_iteratorINSC_11use_defaultEEESN_EEEEEPS7_SQ_SQ_NSC_11hip_rocprim7__merge17predicate_wrapperIttNSC_4lessItEEEEEE10hipError_tPvRmT0_T1_T2_T3_T4_T5_mmT6_P12ihipStream_tbEUlT_E0_NS1_11comp_targetILNS1_3genE4ELNS1_11target_archE910ELNS1_3gpuE8ELNS1_3repE0EEENS1_30default_config_static_selectorELNS0_4arch9wavefront6targetE0EEEvS11_.has_indirect_call, 0
	.section	.AMDGPU.csdata,"",@progbits
; Kernel info:
; codeLenInByte = 0
; TotalNumSgprs: 0
; NumVgprs: 0
; ScratchSize: 0
; MemoryBound: 0
; FloatMode: 240
; IeeeMode: 1
; LDSByteSize: 0 bytes/workgroup (compile time only)
; SGPRBlocks: 0
; VGPRBlocks: 0
; NumSGPRsForWavesPerEU: 1
; NumVGPRsForWavesPerEU: 1
; Occupancy: 16
; WaveLimiterHint : 0
; COMPUTE_PGM_RSRC2:SCRATCH_EN: 0
; COMPUTE_PGM_RSRC2:USER_SGPR: 6
; COMPUTE_PGM_RSRC2:TRAP_HANDLER: 0
; COMPUTE_PGM_RSRC2:TGID_X_EN: 1
; COMPUTE_PGM_RSRC2:TGID_Y_EN: 0
; COMPUTE_PGM_RSRC2:TGID_Z_EN: 0
; COMPUTE_PGM_RSRC2:TIDIG_COMP_CNT: 0
	.section	.text._ZN7rocprim17ROCPRIM_400000_NS6detail17trampoline_kernelINS0_14default_configENS1_21merge_config_selectorINS0_5tupleIJttEEENS0_10empty_typeEEEZNS1_10merge_implIS3_NS0_12zip_iteratorINS5_IJN6thrust23THRUST_200600_302600_NS6detail15normal_iteratorINSC_10device_ptrIKtEEEESI_EEEEESK_NSA_INS5_IJNSC_16discard_iteratorINSC_11use_defaultEEESN_EEEEEPS7_SQ_SQ_NSC_11hip_rocprim7__merge17predicate_wrapperIttNSC_4lessItEEEEEE10hipError_tPvRmT0_T1_T2_T3_T4_T5_mmT6_P12ihipStream_tbEUlT_E0_NS1_11comp_targetILNS1_3genE3ELNS1_11target_archE908ELNS1_3gpuE7ELNS1_3repE0EEENS1_30default_config_static_selectorELNS0_4arch9wavefront6targetE0EEEvS11_,"axG",@progbits,_ZN7rocprim17ROCPRIM_400000_NS6detail17trampoline_kernelINS0_14default_configENS1_21merge_config_selectorINS0_5tupleIJttEEENS0_10empty_typeEEEZNS1_10merge_implIS3_NS0_12zip_iteratorINS5_IJN6thrust23THRUST_200600_302600_NS6detail15normal_iteratorINSC_10device_ptrIKtEEEESI_EEEEESK_NSA_INS5_IJNSC_16discard_iteratorINSC_11use_defaultEEESN_EEEEEPS7_SQ_SQ_NSC_11hip_rocprim7__merge17predicate_wrapperIttNSC_4lessItEEEEEE10hipError_tPvRmT0_T1_T2_T3_T4_T5_mmT6_P12ihipStream_tbEUlT_E0_NS1_11comp_targetILNS1_3genE3ELNS1_11target_archE908ELNS1_3gpuE7ELNS1_3repE0EEENS1_30default_config_static_selectorELNS0_4arch9wavefront6targetE0EEEvS11_,comdat
	.protected	_ZN7rocprim17ROCPRIM_400000_NS6detail17trampoline_kernelINS0_14default_configENS1_21merge_config_selectorINS0_5tupleIJttEEENS0_10empty_typeEEEZNS1_10merge_implIS3_NS0_12zip_iteratorINS5_IJN6thrust23THRUST_200600_302600_NS6detail15normal_iteratorINSC_10device_ptrIKtEEEESI_EEEEESK_NSA_INS5_IJNSC_16discard_iteratorINSC_11use_defaultEEESN_EEEEEPS7_SQ_SQ_NSC_11hip_rocprim7__merge17predicate_wrapperIttNSC_4lessItEEEEEE10hipError_tPvRmT0_T1_T2_T3_T4_T5_mmT6_P12ihipStream_tbEUlT_E0_NS1_11comp_targetILNS1_3genE3ELNS1_11target_archE908ELNS1_3gpuE7ELNS1_3repE0EEENS1_30default_config_static_selectorELNS0_4arch9wavefront6targetE0EEEvS11_ ; -- Begin function _ZN7rocprim17ROCPRIM_400000_NS6detail17trampoline_kernelINS0_14default_configENS1_21merge_config_selectorINS0_5tupleIJttEEENS0_10empty_typeEEEZNS1_10merge_implIS3_NS0_12zip_iteratorINS5_IJN6thrust23THRUST_200600_302600_NS6detail15normal_iteratorINSC_10device_ptrIKtEEEESI_EEEEESK_NSA_INS5_IJNSC_16discard_iteratorINSC_11use_defaultEEESN_EEEEEPS7_SQ_SQ_NSC_11hip_rocprim7__merge17predicate_wrapperIttNSC_4lessItEEEEEE10hipError_tPvRmT0_T1_T2_T3_T4_T5_mmT6_P12ihipStream_tbEUlT_E0_NS1_11comp_targetILNS1_3genE3ELNS1_11target_archE908ELNS1_3gpuE7ELNS1_3repE0EEENS1_30default_config_static_selectorELNS0_4arch9wavefront6targetE0EEEvS11_
	.globl	_ZN7rocprim17ROCPRIM_400000_NS6detail17trampoline_kernelINS0_14default_configENS1_21merge_config_selectorINS0_5tupleIJttEEENS0_10empty_typeEEEZNS1_10merge_implIS3_NS0_12zip_iteratorINS5_IJN6thrust23THRUST_200600_302600_NS6detail15normal_iteratorINSC_10device_ptrIKtEEEESI_EEEEESK_NSA_INS5_IJNSC_16discard_iteratorINSC_11use_defaultEEESN_EEEEEPS7_SQ_SQ_NSC_11hip_rocprim7__merge17predicate_wrapperIttNSC_4lessItEEEEEE10hipError_tPvRmT0_T1_T2_T3_T4_T5_mmT6_P12ihipStream_tbEUlT_E0_NS1_11comp_targetILNS1_3genE3ELNS1_11target_archE908ELNS1_3gpuE7ELNS1_3repE0EEENS1_30default_config_static_selectorELNS0_4arch9wavefront6targetE0EEEvS11_
	.p2align	8
	.type	_ZN7rocprim17ROCPRIM_400000_NS6detail17trampoline_kernelINS0_14default_configENS1_21merge_config_selectorINS0_5tupleIJttEEENS0_10empty_typeEEEZNS1_10merge_implIS3_NS0_12zip_iteratorINS5_IJN6thrust23THRUST_200600_302600_NS6detail15normal_iteratorINSC_10device_ptrIKtEEEESI_EEEEESK_NSA_INS5_IJNSC_16discard_iteratorINSC_11use_defaultEEESN_EEEEEPS7_SQ_SQ_NSC_11hip_rocprim7__merge17predicate_wrapperIttNSC_4lessItEEEEEE10hipError_tPvRmT0_T1_T2_T3_T4_T5_mmT6_P12ihipStream_tbEUlT_E0_NS1_11comp_targetILNS1_3genE3ELNS1_11target_archE908ELNS1_3gpuE7ELNS1_3repE0EEENS1_30default_config_static_selectorELNS0_4arch9wavefront6targetE0EEEvS11_,@function
_ZN7rocprim17ROCPRIM_400000_NS6detail17trampoline_kernelINS0_14default_configENS1_21merge_config_selectorINS0_5tupleIJttEEENS0_10empty_typeEEEZNS1_10merge_implIS3_NS0_12zip_iteratorINS5_IJN6thrust23THRUST_200600_302600_NS6detail15normal_iteratorINSC_10device_ptrIKtEEEESI_EEEEESK_NSA_INS5_IJNSC_16discard_iteratorINSC_11use_defaultEEESN_EEEEEPS7_SQ_SQ_NSC_11hip_rocprim7__merge17predicate_wrapperIttNSC_4lessItEEEEEE10hipError_tPvRmT0_T1_T2_T3_T4_T5_mmT6_P12ihipStream_tbEUlT_E0_NS1_11comp_targetILNS1_3genE3ELNS1_11target_archE908ELNS1_3gpuE7ELNS1_3repE0EEENS1_30default_config_static_selectorELNS0_4arch9wavefront6targetE0EEEvS11_: ; @_ZN7rocprim17ROCPRIM_400000_NS6detail17trampoline_kernelINS0_14default_configENS1_21merge_config_selectorINS0_5tupleIJttEEENS0_10empty_typeEEEZNS1_10merge_implIS3_NS0_12zip_iteratorINS5_IJN6thrust23THRUST_200600_302600_NS6detail15normal_iteratorINSC_10device_ptrIKtEEEESI_EEEEESK_NSA_INS5_IJNSC_16discard_iteratorINSC_11use_defaultEEESN_EEEEEPS7_SQ_SQ_NSC_11hip_rocprim7__merge17predicate_wrapperIttNSC_4lessItEEEEEE10hipError_tPvRmT0_T1_T2_T3_T4_T5_mmT6_P12ihipStream_tbEUlT_E0_NS1_11comp_targetILNS1_3genE3ELNS1_11target_archE908ELNS1_3gpuE7ELNS1_3repE0EEENS1_30default_config_static_selectorELNS0_4arch9wavefront6targetE0EEEvS11_
; %bb.0:
	.section	.rodata,"a",@progbits
	.p2align	6, 0x0
	.amdhsa_kernel _ZN7rocprim17ROCPRIM_400000_NS6detail17trampoline_kernelINS0_14default_configENS1_21merge_config_selectorINS0_5tupleIJttEEENS0_10empty_typeEEEZNS1_10merge_implIS3_NS0_12zip_iteratorINS5_IJN6thrust23THRUST_200600_302600_NS6detail15normal_iteratorINSC_10device_ptrIKtEEEESI_EEEEESK_NSA_INS5_IJNSC_16discard_iteratorINSC_11use_defaultEEESN_EEEEEPS7_SQ_SQ_NSC_11hip_rocprim7__merge17predicate_wrapperIttNSC_4lessItEEEEEE10hipError_tPvRmT0_T1_T2_T3_T4_T5_mmT6_P12ihipStream_tbEUlT_E0_NS1_11comp_targetILNS1_3genE3ELNS1_11target_archE908ELNS1_3gpuE7ELNS1_3repE0EEENS1_30default_config_static_selectorELNS0_4arch9wavefront6targetE0EEEvS11_
		.amdhsa_group_segment_fixed_size 0
		.amdhsa_private_segment_fixed_size 0
		.amdhsa_kernarg_size 128
		.amdhsa_user_sgpr_count 6
		.amdhsa_user_sgpr_private_segment_buffer 1
		.amdhsa_user_sgpr_dispatch_ptr 0
		.amdhsa_user_sgpr_queue_ptr 0
		.amdhsa_user_sgpr_kernarg_segment_ptr 1
		.amdhsa_user_sgpr_dispatch_id 0
		.amdhsa_user_sgpr_flat_scratch_init 0
		.amdhsa_user_sgpr_private_segment_size 0
		.amdhsa_wavefront_size32 1
		.amdhsa_uses_dynamic_stack 0
		.amdhsa_system_sgpr_private_segment_wavefront_offset 0
		.amdhsa_system_sgpr_workgroup_id_x 1
		.amdhsa_system_sgpr_workgroup_id_y 0
		.amdhsa_system_sgpr_workgroup_id_z 0
		.amdhsa_system_sgpr_workgroup_info 0
		.amdhsa_system_vgpr_workitem_id 0
		.amdhsa_next_free_vgpr 1
		.amdhsa_next_free_sgpr 1
		.amdhsa_reserve_vcc 0
		.amdhsa_reserve_flat_scratch 0
		.amdhsa_float_round_mode_32 0
		.amdhsa_float_round_mode_16_64 0
		.amdhsa_float_denorm_mode_32 3
		.amdhsa_float_denorm_mode_16_64 3
		.amdhsa_dx10_clamp 1
		.amdhsa_ieee_mode 1
		.amdhsa_fp16_overflow 0
		.amdhsa_workgroup_processor_mode 1
		.amdhsa_memory_ordered 1
		.amdhsa_forward_progress 1
		.amdhsa_shared_vgpr_count 0
		.amdhsa_exception_fp_ieee_invalid_op 0
		.amdhsa_exception_fp_denorm_src 0
		.amdhsa_exception_fp_ieee_div_zero 0
		.amdhsa_exception_fp_ieee_overflow 0
		.amdhsa_exception_fp_ieee_underflow 0
		.amdhsa_exception_fp_ieee_inexact 0
		.amdhsa_exception_int_div_zero 0
	.end_amdhsa_kernel
	.section	.text._ZN7rocprim17ROCPRIM_400000_NS6detail17trampoline_kernelINS0_14default_configENS1_21merge_config_selectorINS0_5tupleIJttEEENS0_10empty_typeEEEZNS1_10merge_implIS3_NS0_12zip_iteratorINS5_IJN6thrust23THRUST_200600_302600_NS6detail15normal_iteratorINSC_10device_ptrIKtEEEESI_EEEEESK_NSA_INS5_IJNSC_16discard_iteratorINSC_11use_defaultEEESN_EEEEEPS7_SQ_SQ_NSC_11hip_rocprim7__merge17predicate_wrapperIttNSC_4lessItEEEEEE10hipError_tPvRmT0_T1_T2_T3_T4_T5_mmT6_P12ihipStream_tbEUlT_E0_NS1_11comp_targetILNS1_3genE3ELNS1_11target_archE908ELNS1_3gpuE7ELNS1_3repE0EEENS1_30default_config_static_selectorELNS0_4arch9wavefront6targetE0EEEvS11_,"axG",@progbits,_ZN7rocprim17ROCPRIM_400000_NS6detail17trampoline_kernelINS0_14default_configENS1_21merge_config_selectorINS0_5tupleIJttEEENS0_10empty_typeEEEZNS1_10merge_implIS3_NS0_12zip_iteratorINS5_IJN6thrust23THRUST_200600_302600_NS6detail15normal_iteratorINSC_10device_ptrIKtEEEESI_EEEEESK_NSA_INS5_IJNSC_16discard_iteratorINSC_11use_defaultEEESN_EEEEEPS7_SQ_SQ_NSC_11hip_rocprim7__merge17predicate_wrapperIttNSC_4lessItEEEEEE10hipError_tPvRmT0_T1_T2_T3_T4_T5_mmT6_P12ihipStream_tbEUlT_E0_NS1_11comp_targetILNS1_3genE3ELNS1_11target_archE908ELNS1_3gpuE7ELNS1_3repE0EEENS1_30default_config_static_selectorELNS0_4arch9wavefront6targetE0EEEvS11_,comdat
.Lfunc_end563:
	.size	_ZN7rocprim17ROCPRIM_400000_NS6detail17trampoline_kernelINS0_14default_configENS1_21merge_config_selectorINS0_5tupleIJttEEENS0_10empty_typeEEEZNS1_10merge_implIS3_NS0_12zip_iteratorINS5_IJN6thrust23THRUST_200600_302600_NS6detail15normal_iteratorINSC_10device_ptrIKtEEEESI_EEEEESK_NSA_INS5_IJNSC_16discard_iteratorINSC_11use_defaultEEESN_EEEEEPS7_SQ_SQ_NSC_11hip_rocprim7__merge17predicate_wrapperIttNSC_4lessItEEEEEE10hipError_tPvRmT0_T1_T2_T3_T4_T5_mmT6_P12ihipStream_tbEUlT_E0_NS1_11comp_targetILNS1_3genE3ELNS1_11target_archE908ELNS1_3gpuE7ELNS1_3repE0EEENS1_30default_config_static_selectorELNS0_4arch9wavefront6targetE0EEEvS11_, .Lfunc_end563-_ZN7rocprim17ROCPRIM_400000_NS6detail17trampoline_kernelINS0_14default_configENS1_21merge_config_selectorINS0_5tupleIJttEEENS0_10empty_typeEEEZNS1_10merge_implIS3_NS0_12zip_iteratorINS5_IJN6thrust23THRUST_200600_302600_NS6detail15normal_iteratorINSC_10device_ptrIKtEEEESI_EEEEESK_NSA_INS5_IJNSC_16discard_iteratorINSC_11use_defaultEEESN_EEEEEPS7_SQ_SQ_NSC_11hip_rocprim7__merge17predicate_wrapperIttNSC_4lessItEEEEEE10hipError_tPvRmT0_T1_T2_T3_T4_T5_mmT6_P12ihipStream_tbEUlT_E0_NS1_11comp_targetILNS1_3genE3ELNS1_11target_archE908ELNS1_3gpuE7ELNS1_3repE0EEENS1_30default_config_static_selectorELNS0_4arch9wavefront6targetE0EEEvS11_
                                        ; -- End function
	.set _ZN7rocprim17ROCPRIM_400000_NS6detail17trampoline_kernelINS0_14default_configENS1_21merge_config_selectorINS0_5tupleIJttEEENS0_10empty_typeEEEZNS1_10merge_implIS3_NS0_12zip_iteratorINS5_IJN6thrust23THRUST_200600_302600_NS6detail15normal_iteratorINSC_10device_ptrIKtEEEESI_EEEEESK_NSA_INS5_IJNSC_16discard_iteratorINSC_11use_defaultEEESN_EEEEEPS7_SQ_SQ_NSC_11hip_rocprim7__merge17predicate_wrapperIttNSC_4lessItEEEEEE10hipError_tPvRmT0_T1_T2_T3_T4_T5_mmT6_P12ihipStream_tbEUlT_E0_NS1_11comp_targetILNS1_3genE3ELNS1_11target_archE908ELNS1_3gpuE7ELNS1_3repE0EEENS1_30default_config_static_selectorELNS0_4arch9wavefront6targetE0EEEvS11_.num_vgpr, 0
	.set _ZN7rocprim17ROCPRIM_400000_NS6detail17trampoline_kernelINS0_14default_configENS1_21merge_config_selectorINS0_5tupleIJttEEENS0_10empty_typeEEEZNS1_10merge_implIS3_NS0_12zip_iteratorINS5_IJN6thrust23THRUST_200600_302600_NS6detail15normal_iteratorINSC_10device_ptrIKtEEEESI_EEEEESK_NSA_INS5_IJNSC_16discard_iteratorINSC_11use_defaultEEESN_EEEEEPS7_SQ_SQ_NSC_11hip_rocprim7__merge17predicate_wrapperIttNSC_4lessItEEEEEE10hipError_tPvRmT0_T1_T2_T3_T4_T5_mmT6_P12ihipStream_tbEUlT_E0_NS1_11comp_targetILNS1_3genE3ELNS1_11target_archE908ELNS1_3gpuE7ELNS1_3repE0EEENS1_30default_config_static_selectorELNS0_4arch9wavefront6targetE0EEEvS11_.num_agpr, 0
	.set _ZN7rocprim17ROCPRIM_400000_NS6detail17trampoline_kernelINS0_14default_configENS1_21merge_config_selectorINS0_5tupleIJttEEENS0_10empty_typeEEEZNS1_10merge_implIS3_NS0_12zip_iteratorINS5_IJN6thrust23THRUST_200600_302600_NS6detail15normal_iteratorINSC_10device_ptrIKtEEEESI_EEEEESK_NSA_INS5_IJNSC_16discard_iteratorINSC_11use_defaultEEESN_EEEEEPS7_SQ_SQ_NSC_11hip_rocprim7__merge17predicate_wrapperIttNSC_4lessItEEEEEE10hipError_tPvRmT0_T1_T2_T3_T4_T5_mmT6_P12ihipStream_tbEUlT_E0_NS1_11comp_targetILNS1_3genE3ELNS1_11target_archE908ELNS1_3gpuE7ELNS1_3repE0EEENS1_30default_config_static_selectorELNS0_4arch9wavefront6targetE0EEEvS11_.numbered_sgpr, 0
	.set _ZN7rocprim17ROCPRIM_400000_NS6detail17trampoline_kernelINS0_14default_configENS1_21merge_config_selectorINS0_5tupleIJttEEENS0_10empty_typeEEEZNS1_10merge_implIS3_NS0_12zip_iteratorINS5_IJN6thrust23THRUST_200600_302600_NS6detail15normal_iteratorINSC_10device_ptrIKtEEEESI_EEEEESK_NSA_INS5_IJNSC_16discard_iteratorINSC_11use_defaultEEESN_EEEEEPS7_SQ_SQ_NSC_11hip_rocprim7__merge17predicate_wrapperIttNSC_4lessItEEEEEE10hipError_tPvRmT0_T1_T2_T3_T4_T5_mmT6_P12ihipStream_tbEUlT_E0_NS1_11comp_targetILNS1_3genE3ELNS1_11target_archE908ELNS1_3gpuE7ELNS1_3repE0EEENS1_30default_config_static_selectorELNS0_4arch9wavefront6targetE0EEEvS11_.num_named_barrier, 0
	.set _ZN7rocprim17ROCPRIM_400000_NS6detail17trampoline_kernelINS0_14default_configENS1_21merge_config_selectorINS0_5tupleIJttEEENS0_10empty_typeEEEZNS1_10merge_implIS3_NS0_12zip_iteratorINS5_IJN6thrust23THRUST_200600_302600_NS6detail15normal_iteratorINSC_10device_ptrIKtEEEESI_EEEEESK_NSA_INS5_IJNSC_16discard_iteratorINSC_11use_defaultEEESN_EEEEEPS7_SQ_SQ_NSC_11hip_rocprim7__merge17predicate_wrapperIttNSC_4lessItEEEEEE10hipError_tPvRmT0_T1_T2_T3_T4_T5_mmT6_P12ihipStream_tbEUlT_E0_NS1_11comp_targetILNS1_3genE3ELNS1_11target_archE908ELNS1_3gpuE7ELNS1_3repE0EEENS1_30default_config_static_selectorELNS0_4arch9wavefront6targetE0EEEvS11_.private_seg_size, 0
	.set _ZN7rocprim17ROCPRIM_400000_NS6detail17trampoline_kernelINS0_14default_configENS1_21merge_config_selectorINS0_5tupleIJttEEENS0_10empty_typeEEEZNS1_10merge_implIS3_NS0_12zip_iteratorINS5_IJN6thrust23THRUST_200600_302600_NS6detail15normal_iteratorINSC_10device_ptrIKtEEEESI_EEEEESK_NSA_INS5_IJNSC_16discard_iteratorINSC_11use_defaultEEESN_EEEEEPS7_SQ_SQ_NSC_11hip_rocprim7__merge17predicate_wrapperIttNSC_4lessItEEEEEE10hipError_tPvRmT0_T1_T2_T3_T4_T5_mmT6_P12ihipStream_tbEUlT_E0_NS1_11comp_targetILNS1_3genE3ELNS1_11target_archE908ELNS1_3gpuE7ELNS1_3repE0EEENS1_30default_config_static_selectorELNS0_4arch9wavefront6targetE0EEEvS11_.uses_vcc, 0
	.set _ZN7rocprim17ROCPRIM_400000_NS6detail17trampoline_kernelINS0_14default_configENS1_21merge_config_selectorINS0_5tupleIJttEEENS0_10empty_typeEEEZNS1_10merge_implIS3_NS0_12zip_iteratorINS5_IJN6thrust23THRUST_200600_302600_NS6detail15normal_iteratorINSC_10device_ptrIKtEEEESI_EEEEESK_NSA_INS5_IJNSC_16discard_iteratorINSC_11use_defaultEEESN_EEEEEPS7_SQ_SQ_NSC_11hip_rocprim7__merge17predicate_wrapperIttNSC_4lessItEEEEEE10hipError_tPvRmT0_T1_T2_T3_T4_T5_mmT6_P12ihipStream_tbEUlT_E0_NS1_11comp_targetILNS1_3genE3ELNS1_11target_archE908ELNS1_3gpuE7ELNS1_3repE0EEENS1_30default_config_static_selectorELNS0_4arch9wavefront6targetE0EEEvS11_.uses_flat_scratch, 0
	.set _ZN7rocprim17ROCPRIM_400000_NS6detail17trampoline_kernelINS0_14default_configENS1_21merge_config_selectorINS0_5tupleIJttEEENS0_10empty_typeEEEZNS1_10merge_implIS3_NS0_12zip_iteratorINS5_IJN6thrust23THRUST_200600_302600_NS6detail15normal_iteratorINSC_10device_ptrIKtEEEESI_EEEEESK_NSA_INS5_IJNSC_16discard_iteratorINSC_11use_defaultEEESN_EEEEEPS7_SQ_SQ_NSC_11hip_rocprim7__merge17predicate_wrapperIttNSC_4lessItEEEEEE10hipError_tPvRmT0_T1_T2_T3_T4_T5_mmT6_P12ihipStream_tbEUlT_E0_NS1_11comp_targetILNS1_3genE3ELNS1_11target_archE908ELNS1_3gpuE7ELNS1_3repE0EEENS1_30default_config_static_selectorELNS0_4arch9wavefront6targetE0EEEvS11_.has_dyn_sized_stack, 0
	.set _ZN7rocprim17ROCPRIM_400000_NS6detail17trampoline_kernelINS0_14default_configENS1_21merge_config_selectorINS0_5tupleIJttEEENS0_10empty_typeEEEZNS1_10merge_implIS3_NS0_12zip_iteratorINS5_IJN6thrust23THRUST_200600_302600_NS6detail15normal_iteratorINSC_10device_ptrIKtEEEESI_EEEEESK_NSA_INS5_IJNSC_16discard_iteratorINSC_11use_defaultEEESN_EEEEEPS7_SQ_SQ_NSC_11hip_rocprim7__merge17predicate_wrapperIttNSC_4lessItEEEEEE10hipError_tPvRmT0_T1_T2_T3_T4_T5_mmT6_P12ihipStream_tbEUlT_E0_NS1_11comp_targetILNS1_3genE3ELNS1_11target_archE908ELNS1_3gpuE7ELNS1_3repE0EEENS1_30default_config_static_selectorELNS0_4arch9wavefront6targetE0EEEvS11_.has_recursion, 0
	.set _ZN7rocprim17ROCPRIM_400000_NS6detail17trampoline_kernelINS0_14default_configENS1_21merge_config_selectorINS0_5tupleIJttEEENS0_10empty_typeEEEZNS1_10merge_implIS3_NS0_12zip_iteratorINS5_IJN6thrust23THRUST_200600_302600_NS6detail15normal_iteratorINSC_10device_ptrIKtEEEESI_EEEEESK_NSA_INS5_IJNSC_16discard_iteratorINSC_11use_defaultEEESN_EEEEEPS7_SQ_SQ_NSC_11hip_rocprim7__merge17predicate_wrapperIttNSC_4lessItEEEEEE10hipError_tPvRmT0_T1_T2_T3_T4_T5_mmT6_P12ihipStream_tbEUlT_E0_NS1_11comp_targetILNS1_3genE3ELNS1_11target_archE908ELNS1_3gpuE7ELNS1_3repE0EEENS1_30default_config_static_selectorELNS0_4arch9wavefront6targetE0EEEvS11_.has_indirect_call, 0
	.section	.AMDGPU.csdata,"",@progbits
; Kernel info:
; codeLenInByte = 0
; TotalNumSgprs: 0
; NumVgprs: 0
; ScratchSize: 0
; MemoryBound: 0
; FloatMode: 240
; IeeeMode: 1
; LDSByteSize: 0 bytes/workgroup (compile time only)
; SGPRBlocks: 0
; VGPRBlocks: 0
; NumSGPRsForWavesPerEU: 1
; NumVGPRsForWavesPerEU: 1
; Occupancy: 16
; WaveLimiterHint : 0
; COMPUTE_PGM_RSRC2:SCRATCH_EN: 0
; COMPUTE_PGM_RSRC2:USER_SGPR: 6
; COMPUTE_PGM_RSRC2:TRAP_HANDLER: 0
; COMPUTE_PGM_RSRC2:TGID_X_EN: 1
; COMPUTE_PGM_RSRC2:TGID_Y_EN: 0
; COMPUTE_PGM_RSRC2:TGID_Z_EN: 0
; COMPUTE_PGM_RSRC2:TIDIG_COMP_CNT: 0
	.section	.text._ZN7rocprim17ROCPRIM_400000_NS6detail17trampoline_kernelINS0_14default_configENS1_21merge_config_selectorINS0_5tupleIJttEEENS0_10empty_typeEEEZNS1_10merge_implIS3_NS0_12zip_iteratorINS5_IJN6thrust23THRUST_200600_302600_NS6detail15normal_iteratorINSC_10device_ptrIKtEEEESI_EEEEESK_NSA_INS5_IJNSC_16discard_iteratorINSC_11use_defaultEEESN_EEEEEPS7_SQ_SQ_NSC_11hip_rocprim7__merge17predicate_wrapperIttNSC_4lessItEEEEEE10hipError_tPvRmT0_T1_T2_T3_T4_T5_mmT6_P12ihipStream_tbEUlT_E0_NS1_11comp_targetILNS1_3genE2ELNS1_11target_archE906ELNS1_3gpuE6ELNS1_3repE0EEENS1_30default_config_static_selectorELNS0_4arch9wavefront6targetE0EEEvS11_,"axG",@progbits,_ZN7rocprim17ROCPRIM_400000_NS6detail17trampoline_kernelINS0_14default_configENS1_21merge_config_selectorINS0_5tupleIJttEEENS0_10empty_typeEEEZNS1_10merge_implIS3_NS0_12zip_iteratorINS5_IJN6thrust23THRUST_200600_302600_NS6detail15normal_iteratorINSC_10device_ptrIKtEEEESI_EEEEESK_NSA_INS5_IJNSC_16discard_iteratorINSC_11use_defaultEEESN_EEEEEPS7_SQ_SQ_NSC_11hip_rocprim7__merge17predicate_wrapperIttNSC_4lessItEEEEEE10hipError_tPvRmT0_T1_T2_T3_T4_T5_mmT6_P12ihipStream_tbEUlT_E0_NS1_11comp_targetILNS1_3genE2ELNS1_11target_archE906ELNS1_3gpuE6ELNS1_3repE0EEENS1_30default_config_static_selectorELNS0_4arch9wavefront6targetE0EEEvS11_,comdat
	.protected	_ZN7rocprim17ROCPRIM_400000_NS6detail17trampoline_kernelINS0_14default_configENS1_21merge_config_selectorINS0_5tupleIJttEEENS0_10empty_typeEEEZNS1_10merge_implIS3_NS0_12zip_iteratorINS5_IJN6thrust23THRUST_200600_302600_NS6detail15normal_iteratorINSC_10device_ptrIKtEEEESI_EEEEESK_NSA_INS5_IJNSC_16discard_iteratorINSC_11use_defaultEEESN_EEEEEPS7_SQ_SQ_NSC_11hip_rocprim7__merge17predicate_wrapperIttNSC_4lessItEEEEEE10hipError_tPvRmT0_T1_T2_T3_T4_T5_mmT6_P12ihipStream_tbEUlT_E0_NS1_11comp_targetILNS1_3genE2ELNS1_11target_archE906ELNS1_3gpuE6ELNS1_3repE0EEENS1_30default_config_static_selectorELNS0_4arch9wavefront6targetE0EEEvS11_ ; -- Begin function _ZN7rocprim17ROCPRIM_400000_NS6detail17trampoline_kernelINS0_14default_configENS1_21merge_config_selectorINS0_5tupleIJttEEENS0_10empty_typeEEEZNS1_10merge_implIS3_NS0_12zip_iteratorINS5_IJN6thrust23THRUST_200600_302600_NS6detail15normal_iteratorINSC_10device_ptrIKtEEEESI_EEEEESK_NSA_INS5_IJNSC_16discard_iteratorINSC_11use_defaultEEESN_EEEEEPS7_SQ_SQ_NSC_11hip_rocprim7__merge17predicate_wrapperIttNSC_4lessItEEEEEE10hipError_tPvRmT0_T1_T2_T3_T4_T5_mmT6_P12ihipStream_tbEUlT_E0_NS1_11comp_targetILNS1_3genE2ELNS1_11target_archE906ELNS1_3gpuE6ELNS1_3repE0EEENS1_30default_config_static_selectorELNS0_4arch9wavefront6targetE0EEEvS11_
	.globl	_ZN7rocprim17ROCPRIM_400000_NS6detail17trampoline_kernelINS0_14default_configENS1_21merge_config_selectorINS0_5tupleIJttEEENS0_10empty_typeEEEZNS1_10merge_implIS3_NS0_12zip_iteratorINS5_IJN6thrust23THRUST_200600_302600_NS6detail15normal_iteratorINSC_10device_ptrIKtEEEESI_EEEEESK_NSA_INS5_IJNSC_16discard_iteratorINSC_11use_defaultEEESN_EEEEEPS7_SQ_SQ_NSC_11hip_rocprim7__merge17predicate_wrapperIttNSC_4lessItEEEEEE10hipError_tPvRmT0_T1_T2_T3_T4_T5_mmT6_P12ihipStream_tbEUlT_E0_NS1_11comp_targetILNS1_3genE2ELNS1_11target_archE906ELNS1_3gpuE6ELNS1_3repE0EEENS1_30default_config_static_selectorELNS0_4arch9wavefront6targetE0EEEvS11_
	.p2align	8
	.type	_ZN7rocprim17ROCPRIM_400000_NS6detail17trampoline_kernelINS0_14default_configENS1_21merge_config_selectorINS0_5tupleIJttEEENS0_10empty_typeEEEZNS1_10merge_implIS3_NS0_12zip_iteratorINS5_IJN6thrust23THRUST_200600_302600_NS6detail15normal_iteratorINSC_10device_ptrIKtEEEESI_EEEEESK_NSA_INS5_IJNSC_16discard_iteratorINSC_11use_defaultEEESN_EEEEEPS7_SQ_SQ_NSC_11hip_rocprim7__merge17predicate_wrapperIttNSC_4lessItEEEEEE10hipError_tPvRmT0_T1_T2_T3_T4_T5_mmT6_P12ihipStream_tbEUlT_E0_NS1_11comp_targetILNS1_3genE2ELNS1_11target_archE906ELNS1_3gpuE6ELNS1_3repE0EEENS1_30default_config_static_selectorELNS0_4arch9wavefront6targetE0EEEvS11_,@function
_ZN7rocprim17ROCPRIM_400000_NS6detail17trampoline_kernelINS0_14default_configENS1_21merge_config_selectorINS0_5tupleIJttEEENS0_10empty_typeEEEZNS1_10merge_implIS3_NS0_12zip_iteratorINS5_IJN6thrust23THRUST_200600_302600_NS6detail15normal_iteratorINSC_10device_ptrIKtEEEESI_EEEEESK_NSA_INS5_IJNSC_16discard_iteratorINSC_11use_defaultEEESN_EEEEEPS7_SQ_SQ_NSC_11hip_rocprim7__merge17predicate_wrapperIttNSC_4lessItEEEEEE10hipError_tPvRmT0_T1_T2_T3_T4_T5_mmT6_P12ihipStream_tbEUlT_E0_NS1_11comp_targetILNS1_3genE2ELNS1_11target_archE906ELNS1_3gpuE6ELNS1_3repE0EEENS1_30default_config_static_selectorELNS0_4arch9wavefront6targetE0EEEvS11_: ; @_ZN7rocprim17ROCPRIM_400000_NS6detail17trampoline_kernelINS0_14default_configENS1_21merge_config_selectorINS0_5tupleIJttEEENS0_10empty_typeEEEZNS1_10merge_implIS3_NS0_12zip_iteratorINS5_IJN6thrust23THRUST_200600_302600_NS6detail15normal_iteratorINSC_10device_ptrIKtEEEESI_EEEEESK_NSA_INS5_IJNSC_16discard_iteratorINSC_11use_defaultEEESN_EEEEEPS7_SQ_SQ_NSC_11hip_rocprim7__merge17predicate_wrapperIttNSC_4lessItEEEEEE10hipError_tPvRmT0_T1_T2_T3_T4_T5_mmT6_P12ihipStream_tbEUlT_E0_NS1_11comp_targetILNS1_3genE2ELNS1_11target_archE906ELNS1_3gpuE6ELNS1_3repE0EEENS1_30default_config_static_selectorELNS0_4arch9wavefront6targetE0EEEvS11_
; %bb.0:
	.section	.rodata,"a",@progbits
	.p2align	6, 0x0
	.amdhsa_kernel _ZN7rocprim17ROCPRIM_400000_NS6detail17trampoline_kernelINS0_14default_configENS1_21merge_config_selectorINS0_5tupleIJttEEENS0_10empty_typeEEEZNS1_10merge_implIS3_NS0_12zip_iteratorINS5_IJN6thrust23THRUST_200600_302600_NS6detail15normal_iteratorINSC_10device_ptrIKtEEEESI_EEEEESK_NSA_INS5_IJNSC_16discard_iteratorINSC_11use_defaultEEESN_EEEEEPS7_SQ_SQ_NSC_11hip_rocprim7__merge17predicate_wrapperIttNSC_4lessItEEEEEE10hipError_tPvRmT0_T1_T2_T3_T4_T5_mmT6_P12ihipStream_tbEUlT_E0_NS1_11comp_targetILNS1_3genE2ELNS1_11target_archE906ELNS1_3gpuE6ELNS1_3repE0EEENS1_30default_config_static_selectorELNS0_4arch9wavefront6targetE0EEEvS11_
		.amdhsa_group_segment_fixed_size 0
		.amdhsa_private_segment_fixed_size 0
		.amdhsa_kernarg_size 128
		.amdhsa_user_sgpr_count 6
		.amdhsa_user_sgpr_private_segment_buffer 1
		.amdhsa_user_sgpr_dispatch_ptr 0
		.amdhsa_user_sgpr_queue_ptr 0
		.amdhsa_user_sgpr_kernarg_segment_ptr 1
		.amdhsa_user_sgpr_dispatch_id 0
		.amdhsa_user_sgpr_flat_scratch_init 0
		.amdhsa_user_sgpr_private_segment_size 0
		.amdhsa_wavefront_size32 1
		.amdhsa_uses_dynamic_stack 0
		.amdhsa_system_sgpr_private_segment_wavefront_offset 0
		.amdhsa_system_sgpr_workgroup_id_x 1
		.amdhsa_system_sgpr_workgroup_id_y 0
		.amdhsa_system_sgpr_workgroup_id_z 0
		.amdhsa_system_sgpr_workgroup_info 0
		.amdhsa_system_vgpr_workitem_id 0
		.amdhsa_next_free_vgpr 1
		.amdhsa_next_free_sgpr 1
		.amdhsa_reserve_vcc 0
		.amdhsa_reserve_flat_scratch 0
		.amdhsa_float_round_mode_32 0
		.amdhsa_float_round_mode_16_64 0
		.amdhsa_float_denorm_mode_32 3
		.amdhsa_float_denorm_mode_16_64 3
		.amdhsa_dx10_clamp 1
		.amdhsa_ieee_mode 1
		.amdhsa_fp16_overflow 0
		.amdhsa_workgroup_processor_mode 1
		.amdhsa_memory_ordered 1
		.amdhsa_forward_progress 1
		.amdhsa_shared_vgpr_count 0
		.amdhsa_exception_fp_ieee_invalid_op 0
		.amdhsa_exception_fp_denorm_src 0
		.amdhsa_exception_fp_ieee_div_zero 0
		.amdhsa_exception_fp_ieee_overflow 0
		.amdhsa_exception_fp_ieee_underflow 0
		.amdhsa_exception_fp_ieee_inexact 0
		.amdhsa_exception_int_div_zero 0
	.end_amdhsa_kernel
	.section	.text._ZN7rocprim17ROCPRIM_400000_NS6detail17trampoline_kernelINS0_14default_configENS1_21merge_config_selectorINS0_5tupleIJttEEENS0_10empty_typeEEEZNS1_10merge_implIS3_NS0_12zip_iteratorINS5_IJN6thrust23THRUST_200600_302600_NS6detail15normal_iteratorINSC_10device_ptrIKtEEEESI_EEEEESK_NSA_INS5_IJNSC_16discard_iteratorINSC_11use_defaultEEESN_EEEEEPS7_SQ_SQ_NSC_11hip_rocprim7__merge17predicate_wrapperIttNSC_4lessItEEEEEE10hipError_tPvRmT0_T1_T2_T3_T4_T5_mmT6_P12ihipStream_tbEUlT_E0_NS1_11comp_targetILNS1_3genE2ELNS1_11target_archE906ELNS1_3gpuE6ELNS1_3repE0EEENS1_30default_config_static_selectorELNS0_4arch9wavefront6targetE0EEEvS11_,"axG",@progbits,_ZN7rocprim17ROCPRIM_400000_NS6detail17trampoline_kernelINS0_14default_configENS1_21merge_config_selectorINS0_5tupleIJttEEENS0_10empty_typeEEEZNS1_10merge_implIS3_NS0_12zip_iteratorINS5_IJN6thrust23THRUST_200600_302600_NS6detail15normal_iteratorINSC_10device_ptrIKtEEEESI_EEEEESK_NSA_INS5_IJNSC_16discard_iteratorINSC_11use_defaultEEESN_EEEEEPS7_SQ_SQ_NSC_11hip_rocprim7__merge17predicate_wrapperIttNSC_4lessItEEEEEE10hipError_tPvRmT0_T1_T2_T3_T4_T5_mmT6_P12ihipStream_tbEUlT_E0_NS1_11comp_targetILNS1_3genE2ELNS1_11target_archE906ELNS1_3gpuE6ELNS1_3repE0EEENS1_30default_config_static_selectorELNS0_4arch9wavefront6targetE0EEEvS11_,comdat
.Lfunc_end564:
	.size	_ZN7rocprim17ROCPRIM_400000_NS6detail17trampoline_kernelINS0_14default_configENS1_21merge_config_selectorINS0_5tupleIJttEEENS0_10empty_typeEEEZNS1_10merge_implIS3_NS0_12zip_iteratorINS5_IJN6thrust23THRUST_200600_302600_NS6detail15normal_iteratorINSC_10device_ptrIKtEEEESI_EEEEESK_NSA_INS5_IJNSC_16discard_iteratorINSC_11use_defaultEEESN_EEEEEPS7_SQ_SQ_NSC_11hip_rocprim7__merge17predicate_wrapperIttNSC_4lessItEEEEEE10hipError_tPvRmT0_T1_T2_T3_T4_T5_mmT6_P12ihipStream_tbEUlT_E0_NS1_11comp_targetILNS1_3genE2ELNS1_11target_archE906ELNS1_3gpuE6ELNS1_3repE0EEENS1_30default_config_static_selectorELNS0_4arch9wavefront6targetE0EEEvS11_, .Lfunc_end564-_ZN7rocprim17ROCPRIM_400000_NS6detail17trampoline_kernelINS0_14default_configENS1_21merge_config_selectorINS0_5tupleIJttEEENS0_10empty_typeEEEZNS1_10merge_implIS3_NS0_12zip_iteratorINS5_IJN6thrust23THRUST_200600_302600_NS6detail15normal_iteratorINSC_10device_ptrIKtEEEESI_EEEEESK_NSA_INS5_IJNSC_16discard_iteratorINSC_11use_defaultEEESN_EEEEEPS7_SQ_SQ_NSC_11hip_rocprim7__merge17predicate_wrapperIttNSC_4lessItEEEEEE10hipError_tPvRmT0_T1_T2_T3_T4_T5_mmT6_P12ihipStream_tbEUlT_E0_NS1_11comp_targetILNS1_3genE2ELNS1_11target_archE906ELNS1_3gpuE6ELNS1_3repE0EEENS1_30default_config_static_selectorELNS0_4arch9wavefront6targetE0EEEvS11_
                                        ; -- End function
	.set _ZN7rocprim17ROCPRIM_400000_NS6detail17trampoline_kernelINS0_14default_configENS1_21merge_config_selectorINS0_5tupleIJttEEENS0_10empty_typeEEEZNS1_10merge_implIS3_NS0_12zip_iteratorINS5_IJN6thrust23THRUST_200600_302600_NS6detail15normal_iteratorINSC_10device_ptrIKtEEEESI_EEEEESK_NSA_INS5_IJNSC_16discard_iteratorINSC_11use_defaultEEESN_EEEEEPS7_SQ_SQ_NSC_11hip_rocprim7__merge17predicate_wrapperIttNSC_4lessItEEEEEE10hipError_tPvRmT0_T1_T2_T3_T4_T5_mmT6_P12ihipStream_tbEUlT_E0_NS1_11comp_targetILNS1_3genE2ELNS1_11target_archE906ELNS1_3gpuE6ELNS1_3repE0EEENS1_30default_config_static_selectorELNS0_4arch9wavefront6targetE0EEEvS11_.num_vgpr, 0
	.set _ZN7rocprim17ROCPRIM_400000_NS6detail17trampoline_kernelINS0_14default_configENS1_21merge_config_selectorINS0_5tupleIJttEEENS0_10empty_typeEEEZNS1_10merge_implIS3_NS0_12zip_iteratorINS5_IJN6thrust23THRUST_200600_302600_NS6detail15normal_iteratorINSC_10device_ptrIKtEEEESI_EEEEESK_NSA_INS5_IJNSC_16discard_iteratorINSC_11use_defaultEEESN_EEEEEPS7_SQ_SQ_NSC_11hip_rocprim7__merge17predicate_wrapperIttNSC_4lessItEEEEEE10hipError_tPvRmT0_T1_T2_T3_T4_T5_mmT6_P12ihipStream_tbEUlT_E0_NS1_11comp_targetILNS1_3genE2ELNS1_11target_archE906ELNS1_3gpuE6ELNS1_3repE0EEENS1_30default_config_static_selectorELNS0_4arch9wavefront6targetE0EEEvS11_.num_agpr, 0
	.set _ZN7rocprim17ROCPRIM_400000_NS6detail17trampoline_kernelINS0_14default_configENS1_21merge_config_selectorINS0_5tupleIJttEEENS0_10empty_typeEEEZNS1_10merge_implIS3_NS0_12zip_iteratorINS5_IJN6thrust23THRUST_200600_302600_NS6detail15normal_iteratorINSC_10device_ptrIKtEEEESI_EEEEESK_NSA_INS5_IJNSC_16discard_iteratorINSC_11use_defaultEEESN_EEEEEPS7_SQ_SQ_NSC_11hip_rocprim7__merge17predicate_wrapperIttNSC_4lessItEEEEEE10hipError_tPvRmT0_T1_T2_T3_T4_T5_mmT6_P12ihipStream_tbEUlT_E0_NS1_11comp_targetILNS1_3genE2ELNS1_11target_archE906ELNS1_3gpuE6ELNS1_3repE0EEENS1_30default_config_static_selectorELNS0_4arch9wavefront6targetE0EEEvS11_.numbered_sgpr, 0
	.set _ZN7rocprim17ROCPRIM_400000_NS6detail17trampoline_kernelINS0_14default_configENS1_21merge_config_selectorINS0_5tupleIJttEEENS0_10empty_typeEEEZNS1_10merge_implIS3_NS0_12zip_iteratorINS5_IJN6thrust23THRUST_200600_302600_NS6detail15normal_iteratorINSC_10device_ptrIKtEEEESI_EEEEESK_NSA_INS5_IJNSC_16discard_iteratorINSC_11use_defaultEEESN_EEEEEPS7_SQ_SQ_NSC_11hip_rocprim7__merge17predicate_wrapperIttNSC_4lessItEEEEEE10hipError_tPvRmT0_T1_T2_T3_T4_T5_mmT6_P12ihipStream_tbEUlT_E0_NS1_11comp_targetILNS1_3genE2ELNS1_11target_archE906ELNS1_3gpuE6ELNS1_3repE0EEENS1_30default_config_static_selectorELNS0_4arch9wavefront6targetE0EEEvS11_.num_named_barrier, 0
	.set _ZN7rocprim17ROCPRIM_400000_NS6detail17trampoline_kernelINS0_14default_configENS1_21merge_config_selectorINS0_5tupleIJttEEENS0_10empty_typeEEEZNS1_10merge_implIS3_NS0_12zip_iteratorINS5_IJN6thrust23THRUST_200600_302600_NS6detail15normal_iteratorINSC_10device_ptrIKtEEEESI_EEEEESK_NSA_INS5_IJNSC_16discard_iteratorINSC_11use_defaultEEESN_EEEEEPS7_SQ_SQ_NSC_11hip_rocprim7__merge17predicate_wrapperIttNSC_4lessItEEEEEE10hipError_tPvRmT0_T1_T2_T3_T4_T5_mmT6_P12ihipStream_tbEUlT_E0_NS1_11comp_targetILNS1_3genE2ELNS1_11target_archE906ELNS1_3gpuE6ELNS1_3repE0EEENS1_30default_config_static_selectorELNS0_4arch9wavefront6targetE0EEEvS11_.private_seg_size, 0
	.set _ZN7rocprim17ROCPRIM_400000_NS6detail17trampoline_kernelINS0_14default_configENS1_21merge_config_selectorINS0_5tupleIJttEEENS0_10empty_typeEEEZNS1_10merge_implIS3_NS0_12zip_iteratorINS5_IJN6thrust23THRUST_200600_302600_NS6detail15normal_iteratorINSC_10device_ptrIKtEEEESI_EEEEESK_NSA_INS5_IJNSC_16discard_iteratorINSC_11use_defaultEEESN_EEEEEPS7_SQ_SQ_NSC_11hip_rocprim7__merge17predicate_wrapperIttNSC_4lessItEEEEEE10hipError_tPvRmT0_T1_T2_T3_T4_T5_mmT6_P12ihipStream_tbEUlT_E0_NS1_11comp_targetILNS1_3genE2ELNS1_11target_archE906ELNS1_3gpuE6ELNS1_3repE0EEENS1_30default_config_static_selectorELNS0_4arch9wavefront6targetE0EEEvS11_.uses_vcc, 0
	.set _ZN7rocprim17ROCPRIM_400000_NS6detail17trampoline_kernelINS0_14default_configENS1_21merge_config_selectorINS0_5tupleIJttEEENS0_10empty_typeEEEZNS1_10merge_implIS3_NS0_12zip_iteratorINS5_IJN6thrust23THRUST_200600_302600_NS6detail15normal_iteratorINSC_10device_ptrIKtEEEESI_EEEEESK_NSA_INS5_IJNSC_16discard_iteratorINSC_11use_defaultEEESN_EEEEEPS7_SQ_SQ_NSC_11hip_rocprim7__merge17predicate_wrapperIttNSC_4lessItEEEEEE10hipError_tPvRmT0_T1_T2_T3_T4_T5_mmT6_P12ihipStream_tbEUlT_E0_NS1_11comp_targetILNS1_3genE2ELNS1_11target_archE906ELNS1_3gpuE6ELNS1_3repE0EEENS1_30default_config_static_selectorELNS0_4arch9wavefront6targetE0EEEvS11_.uses_flat_scratch, 0
	.set _ZN7rocprim17ROCPRIM_400000_NS6detail17trampoline_kernelINS0_14default_configENS1_21merge_config_selectorINS0_5tupleIJttEEENS0_10empty_typeEEEZNS1_10merge_implIS3_NS0_12zip_iteratorINS5_IJN6thrust23THRUST_200600_302600_NS6detail15normal_iteratorINSC_10device_ptrIKtEEEESI_EEEEESK_NSA_INS5_IJNSC_16discard_iteratorINSC_11use_defaultEEESN_EEEEEPS7_SQ_SQ_NSC_11hip_rocprim7__merge17predicate_wrapperIttNSC_4lessItEEEEEE10hipError_tPvRmT0_T1_T2_T3_T4_T5_mmT6_P12ihipStream_tbEUlT_E0_NS1_11comp_targetILNS1_3genE2ELNS1_11target_archE906ELNS1_3gpuE6ELNS1_3repE0EEENS1_30default_config_static_selectorELNS0_4arch9wavefront6targetE0EEEvS11_.has_dyn_sized_stack, 0
	.set _ZN7rocprim17ROCPRIM_400000_NS6detail17trampoline_kernelINS0_14default_configENS1_21merge_config_selectorINS0_5tupleIJttEEENS0_10empty_typeEEEZNS1_10merge_implIS3_NS0_12zip_iteratorINS5_IJN6thrust23THRUST_200600_302600_NS6detail15normal_iteratorINSC_10device_ptrIKtEEEESI_EEEEESK_NSA_INS5_IJNSC_16discard_iteratorINSC_11use_defaultEEESN_EEEEEPS7_SQ_SQ_NSC_11hip_rocprim7__merge17predicate_wrapperIttNSC_4lessItEEEEEE10hipError_tPvRmT0_T1_T2_T3_T4_T5_mmT6_P12ihipStream_tbEUlT_E0_NS1_11comp_targetILNS1_3genE2ELNS1_11target_archE906ELNS1_3gpuE6ELNS1_3repE0EEENS1_30default_config_static_selectorELNS0_4arch9wavefront6targetE0EEEvS11_.has_recursion, 0
	.set _ZN7rocprim17ROCPRIM_400000_NS6detail17trampoline_kernelINS0_14default_configENS1_21merge_config_selectorINS0_5tupleIJttEEENS0_10empty_typeEEEZNS1_10merge_implIS3_NS0_12zip_iteratorINS5_IJN6thrust23THRUST_200600_302600_NS6detail15normal_iteratorINSC_10device_ptrIKtEEEESI_EEEEESK_NSA_INS5_IJNSC_16discard_iteratorINSC_11use_defaultEEESN_EEEEEPS7_SQ_SQ_NSC_11hip_rocprim7__merge17predicate_wrapperIttNSC_4lessItEEEEEE10hipError_tPvRmT0_T1_T2_T3_T4_T5_mmT6_P12ihipStream_tbEUlT_E0_NS1_11comp_targetILNS1_3genE2ELNS1_11target_archE906ELNS1_3gpuE6ELNS1_3repE0EEENS1_30default_config_static_selectorELNS0_4arch9wavefront6targetE0EEEvS11_.has_indirect_call, 0
	.section	.AMDGPU.csdata,"",@progbits
; Kernel info:
; codeLenInByte = 0
; TotalNumSgprs: 0
; NumVgprs: 0
; ScratchSize: 0
; MemoryBound: 0
; FloatMode: 240
; IeeeMode: 1
; LDSByteSize: 0 bytes/workgroup (compile time only)
; SGPRBlocks: 0
; VGPRBlocks: 0
; NumSGPRsForWavesPerEU: 1
; NumVGPRsForWavesPerEU: 1
; Occupancy: 16
; WaveLimiterHint : 0
; COMPUTE_PGM_RSRC2:SCRATCH_EN: 0
; COMPUTE_PGM_RSRC2:USER_SGPR: 6
; COMPUTE_PGM_RSRC2:TRAP_HANDLER: 0
; COMPUTE_PGM_RSRC2:TGID_X_EN: 1
; COMPUTE_PGM_RSRC2:TGID_Y_EN: 0
; COMPUTE_PGM_RSRC2:TGID_Z_EN: 0
; COMPUTE_PGM_RSRC2:TIDIG_COMP_CNT: 0
	.section	.text._ZN7rocprim17ROCPRIM_400000_NS6detail17trampoline_kernelINS0_14default_configENS1_21merge_config_selectorINS0_5tupleIJttEEENS0_10empty_typeEEEZNS1_10merge_implIS3_NS0_12zip_iteratorINS5_IJN6thrust23THRUST_200600_302600_NS6detail15normal_iteratorINSC_10device_ptrIKtEEEESI_EEEEESK_NSA_INS5_IJNSC_16discard_iteratorINSC_11use_defaultEEESN_EEEEEPS7_SQ_SQ_NSC_11hip_rocprim7__merge17predicate_wrapperIttNSC_4lessItEEEEEE10hipError_tPvRmT0_T1_T2_T3_T4_T5_mmT6_P12ihipStream_tbEUlT_E0_NS1_11comp_targetILNS1_3genE10ELNS1_11target_archE1201ELNS1_3gpuE5ELNS1_3repE0EEENS1_30default_config_static_selectorELNS0_4arch9wavefront6targetE0EEEvS11_,"axG",@progbits,_ZN7rocprim17ROCPRIM_400000_NS6detail17trampoline_kernelINS0_14default_configENS1_21merge_config_selectorINS0_5tupleIJttEEENS0_10empty_typeEEEZNS1_10merge_implIS3_NS0_12zip_iteratorINS5_IJN6thrust23THRUST_200600_302600_NS6detail15normal_iteratorINSC_10device_ptrIKtEEEESI_EEEEESK_NSA_INS5_IJNSC_16discard_iteratorINSC_11use_defaultEEESN_EEEEEPS7_SQ_SQ_NSC_11hip_rocprim7__merge17predicate_wrapperIttNSC_4lessItEEEEEE10hipError_tPvRmT0_T1_T2_T3_T4_T5_mmT6_P12ihipStream_tbEUlT_E0_NS1_11comp_targetILNS1_3genE10ELNS1_11target_archE1201ELNS1_3gpuE5ELNS1_3repE0EEENS1_30default_config_static_selectorELNS0_4arch9wavefront6targetE0EEEvS11_,comdat
	.protected	_ZN7rocprim17ROCPRIM_400000_NS6detail17trampoline_kernelINS0_14default_configENS1_21merge_config_selectorINS0_5tupleIJttEEENS0_10empty_typeEEEZNS1_10merge_implIS3_NS0_12zip_iteratorINS5_IJN6thrust23THRUST_200600_302600_NS6detail15normal_iteratorINSC_10device_ptrIKtEEEESI_EEEEESK_NSA_INS5_IJNSC_16discard_iteratorINSC_11use_defaultEEESN_EEEEEPS7_SQ_SQ_NSC_11hip_rocprim7__merge17predicate_wrapperIttNSC_4lessItEEEEEE10hipError_tPvRmT0_T1_T2_T3_T4_T5_mmT6_P12ihipStream_tbEUlT_E0_NS1_11comp_targetILNS1_3genE10ELNS1_11target_archE1201ELNS1_3gpuE5ELNS1_3repE0EEENS1_30default_config_static_selectorELNS0_4arch9wavefront6targetE0EEEvS11_ ; -- Begin function _ZN7rocprim17ROCPRIM_400000_NS6detail17trampoline_kernelINS0_14default_configENS1_21merge_config_selectorINS0_5tupleIJttEEENS0_10empty_typeEEEZNS1_10merge_implIS3_NS0_12zip_iteratorINS5_IJN6thrust23THRUST_200600_302600_NS6detail15normal_iteratorINSC_10device_ptrIKtEEEESI_EEEEESK_NSA_INS5_IJNSC_16discard_iteratorINSC_11use_defaultEEESN_EEEEEPS7_SQ_SQ_NSC_11hip_rocprim7__merge17predicate_wrapperIttNSC_4lessItEEEEEE10hipError_tPvRmT0_T1_T2_T3_T4_T5_mmT6_P12ihipStream_tbEUlT_E0_NS1_11comp_targetILNS1_3genE10ELNS1_11target_archE1201ELNS1_3gpuE5ELNS1_3repE0EEENS1_30default_config_static_selectorELNS0_4arch9wavefront6targetE0EEEvS11_
	.globl	_ZN7rocprim17ROCPRIM_400000_NS6detail17trampoline_kernelINS0_14default_configENS1_21merge_config_selectorINS0_5tupleIJttEEENS0_10empty_typeEEEZNS1_10merge_implIS3_NS0_12zip_iteratorINS5_IJN6thrust23THRUST_200600_302600_NS6detail15normal_iteratorINSC_10device_ptrIKtEEEESI_EEEEESK_NSA_INS5_IJNSC_16discard_iteratorINSC_11use_defaultEEESN_EEEEEPS7_SQ_SQ_NSC_11hip_rocprim7__merge17predicate_wrapperIttNSC_4lessItEEEEEE10hipError_tPvRmT0_T1_T2_T3_T4_T5_mmT6_P12ihipStream_tbEUlT_E0_NS1_11comp_targetILNS1_3genE10ELNS1_11target_archE1201ELNS1_3gpuE5ELNS1_3repE0EEENS1_30default_config_static_selectorELNS0_4arch9wavefront6targetE0EEEvS11_
	.p2align	8
	.type	_ZN7rocprim17ROCPRIM_400000_NS6detail17trampoline_kernelINS0_14default_configENS1_21merge_config_selectorINS0_5tupleIJttEEENS0_10empty_typeEEEZNS1_10merge_implIS3_NS0_12zip_iteratorINS5_IJN6thrust23THRUST_200600_302600_NS6detail15normal_iteratorINSC_10device_ptrIKtEEEESI_EEEEESK_NSA_INS5_IJNSC_16discard_iteratorINSC_11use_defaultEEESN_EEEEEPS7_SQ_SQ_NSC_11hip_rocprim7__merge17predicate_wrapperIttNSC_4lessItEEEEEE10hipError_tPvRmT0_T1_T2_T3_T4_T5_mmT6_P12ihipStream_tbEUlT_E0_NS1_11comp_targetILNS1_3genE10ELNS1_11target_archE1201ELNS1_3gpuE5ELNS1_3repE0EEENS1_30default_config_static_selectorELNS0_4arch9wavefront6targetE0EEEvS11_,@function
_ZN7rocprim17ROCPRIM_400000_NS6detail17trampoline_kernelINS0_14default_configENS1_21merge_config_selectorINS0_5tupleIJttEEENS0_10empty_typeEEEZNS1_10merge_implIS3_NS0_12zip_iteratorINS5_IJN6thrust23THRUST_200600_302600_NS6detail15normal_iteratorINSC_10device_ptrIKtEEEESI_EEEEESK_NSA_INS5_IJNSC_16discard_iteratorINSC_11use_defaultEEESN_EEEEEPS7_SQ_SQ_NSC_11hip_rocprim7__merge17predicate_wrapperIttNSC_4lessItEEEEEE10hipError_tPvRmT0_T1_T2_T3_T4_T5_mmT6_P12ihipStream_tbEUlT_E0_NS1_11comp_targetILNS1_3genE10ELNS1_11target_archE1201ELNS1_3gpuE5ELNS1_3repE0EEENS1_30default_config_static_selectorELNS0_4arch9wavefront6targetE0EEEvS11_: ; @_ZN7rocprim17ROCPRIM_400000_NS6detail17trampoline_kernelINS0_14default_configENS1_21merge_config_selectorINS0_5tupleIJttEEENS0_10empty_typeEEEZNS1_10merge_implIS3_NS0_12zip_iteratorINS5_IJN6thrust23THRUST_200600_302600_NS6detail15normal_iteratorINSC_10device_ptrIKtEEEESI_EEEEESK_NSA_INS5_IJNSC_16discard_iteratorINSC_11use_defaultEEESN_EEEEEPS7_SQ_SQ_NSC_11hip_rocprim7__merge17predicate_wrapperIttNSC_4lessItEEEEEE10hipError_tPvRmT0_T1_T2_T3_T4_T5_mmT6_P12ihipStream_tbEUlT_E0_NS1_11comp_targetILNS1_3genE10ELNS1_11target_archE1201ELNS1_3gpuE5ELNS1_3repE0EEENS1_30default_config_static_selectorELNS0_4arch9wavefront6targetE0EEEvS11_
; %bb.0:
	.section	.rodata,"a",@progbits
	.p2align	6, 0x0
	.amdhsa_kernel _ZN7rocprim17ROCPRIM_400000_NS6detail17trampoline_kernelINS0_14default_configENS1_21merge_config_selectorINS0_5tupleIJttEEENS0_10empty_typeEEEZNS1_10merge_implIS3_NS0_12zip_iteratorINS5_IJN6thrust23THRUST_200600_302600_NS6detail15normal_iteratorINSC_10device_ptrIKtEEEESI_EEEEESK_NSA_INS5_IJNSC_16discard_iteratorINSC_11use_defaultEEESN_EEEEEPS7_SQ_SQ_NSC_11hip_rocprim7__merge17predicate_wrapperIttNSC_4lessItEEEEEE10hipError_tPvRmT0_T1_T2_T3_T4_T5_mmT6_P12ihipStream_tbEUlT_E0_NS1_11comp_targetILNS1_3genE10ELNS1_11target_archE1201ELNS1_3gpuE5ELNS1_3repE0EEENS1_30default_config_static_selectorELNS0_4arch9wavefront6targetE0EEEvS11_
		.amdhsa_group_segment_fixed_size 0
		.amdhsa_private_segment_fixed_size 0
		.amdhsa_kernarg_size 128
		.amdhsa_user_sgpr_count 6
		.amdhsa_user_sgpr_private_segment_buffer 1
		.amdhsa_user_sgpr_dispatch_ptr 0
		.amdhsa_user_sgpr_queue_ptr 0
		.amdhsa_user_sgpr_kernarg_segment_ptr 1
		.amdhsa_user_sgpr_dispatch_id 0
		.amdhsa_user_sgpr_flat_scratch_init 0
		.amdhsa_user_sgpr_private_segment_size 0
		.amdhsa_wavefront_size32 1
		.amdhsa_uses_dynamic_stack 0
		.amdhsa_system_sgpr_private_segment_wavefront_offset 0
		.amdhsa_system_sgpr_workgroup_id_x 1
		.amdhsa_system_sgpr_workgroup_id_y 0
		.amdhsa_system_sgpr_workgroup_id_z 0
		.amdhsa_system_sgpr_workgroup_info 0
		.amdhsa_system_vgpr_workitem_id 0
		.amdhsa_next_free_vgpr 1
		.amdhsa_next_free_sgpr 1
		.amdhsa_reserve_vcc 0
		.amdhsa_reserve_flat_scratch 0
		.amdhsa_float_round_mode_32 0
		.amdhsa_float_round_mode_16_64 0
		.amdhsa_float_denorm_mode_32 3
		.amdhsa_float_denorm_mode_16_64 3
		.amdhsa_dx10_clamp 1
		.amdhsa_ieee_mode 1
		.amdhsa_fp16_overflow 0
		.amdhsa_workgroup_processor_mode 1
		.amdhsa_memory_ordered 1
		.amdhsa_forward_progress 1
		.amdhsa_shared_vgpr_count 0
		.amdhsa_exception_fp_ieee_invalid_op 0
		.amdhsa_exception_fp_denorm_src 0
		.amdhsa_exception_fp_ieee_div_zero 0
		.amdhsa_exception_fp_ieee_overflow 0
		.amdhsa_exception_fp_ieee_underflow 0
		.amdhsa_exception_fp_ieee_inexact 0
		.amdhsa_exception_int_div_zero 0
	.end_amdhsa_kernel
	.section	.text._ZN7rocprim17ROCPRIM_400000_NS6detail17trampoline_kernelINS0_14default_configENS1_21merge_config_selectorINS0_5tupleIJttEEENS0_10empty_typeEEEZNS1_10merge_implIS3_NS0_12zip_iteratorINS5_IJN6thrust23THRUST_200600_302600_NS6detail15normal_iteratorINSC_10device_ptrIKtEEEESI_EEEEESK_NSA_INS5_IJNSC_16discard_iteratorINSC_11use_defaultEEESN_EEEEEPS7_SQ_SQ_NSC_11hip_rocprim7__merge17predicate_wrapperIttNSC_4lessItEEEEEE10hipError_tPvRmT0_T1_T2_T3_T4_T5_mmT6_P12ihipStream_tbEUlT_E0_NS1_11comp_targetILNS1_3genE10ELNS1_11target_archE1201ELNS1_3gpuE5ELNS1_3repE0EEENS1_30default_config_static_selectorELNS0_4arch9wavefront6targetE0EEEvS11_,"axG",@progbits,_ZN7rocprim17ROCPRIM_400000_NS6detail17trampoline_kernelINS0_14default_configENS1_21merge_config_selectorINS0_5tupleIJttEEENS0_10empty_typeEEEZNS1_10merge_implIS3_NS0_12zip_iteratorINS5_IJN6thrust23THRUST_200600_302600_NS6detail15normal_iteratorINSC_10device_ptrIKtEEEESI_EEEEESK_NSA_INS5_IJNSC_16discard_iteratorINSC_11use_defaultEEESN_EEEEEPS7_SQ_SQ_NSC_11hip_rocprim7__merge17predicate_wrapperIttNSC_4lessItEEEEEE10hipError_tPvRmT0_T1_T2_T3_T4_T5_mmT6_P12ihipStream_tbEUlT_E0_NS1_11comp_targetILNS1_3genE10ELNS1_11target_archE1201ELNS1_3gpuE5ELNS1_3repE0EEENS1_30default_config_static_selectorELNS0_4arch9wavefront6targetE0EEEvS11_,comdat
.Lfunc_end565:
	.size	_ZN7rocprim17ROCPRIM_400000_NS6detail17trampoline_kernelINS0_14default_configENS1_21merge_config_selectorINS0_5tupleIJttEEENS0_10empty_typeEEEZNS1_10merge_implIS3_NS0_12zip_iteratorINS5_IJN6thrust23THRUST_200600_302600_NS6detail15normal_iteratorINSC_10device_ptrIKtEEEESI_EEEEESK_NSA_INS5_IJNSC_16discard_iteratorINSC_11use_defaultEEESN_EEEEEPS7_SQ_SQ_NSC_11hip_rocprim7__merge17predicate_wrapperIttNSC_4lessItEEEEEE10hipError_tPvRmT0_T1_T2_T3_T4_T5_mmT6_P12ihipStream_tbEUlT_E0_NS1_11comp_targetILNS1_3genE10ELNS1_11target_archE1201ELNS1_3gpuE5ELNS1_3repE0EEENS1_30default_config_static_selectorELNS0_4arch9wavefront6targetE0EEEvS11_, .Lfunc_end565-_ZN7rocprim17ROCPRIM_400000_NS6detail17trampoline_kernelINS0_14default_configENS1_21merge_config_selectorINS0_5tupleIJttEEENS0_10empty_typeEEEZNS1_10merge_implIS3_NS0_12zip_iteratorINS5_IJN6thrust23THRUST_200600_302600_NS6detail15normal_iteratorINSC_10device_ptrIKtEEEESI_EEEEESK_NSA_INS5_IJNSC_16discard_iteratorINSC_11use_defaultEEESN_EEEEEPS7_SQ_SQ_NSC_11hip_rocprim7__merge17predicate_wrapperIttNSC_4lessItEEEEEE10hipError_tPvRmT0_T1_T2_T3_T4_T5_mmT6_P12ihipStream_tbEUlT_E0_NS1_11comp_targetILNS1_3genE10ELNS1_11target_archE1201ELNS1_3gpuE5ELNS1_3repE0EEENS1_30default_config_static_selectorELNS0_4arch9wavefront6targetE0EEEvS11_
                                        ; -- End function
	.set _ZN7rocprim17ROCPRIM_400000_NS6detail17trampoline_kernelINS0_14default_configENS1_21merge_config_selectorINS0_5tupleIJttEEENS0_10empty_typeEEEZNS1_10merge_implIS3_NS0_12zip_iteratorINS5_IJN6thrust23THRUST_200600_302600_NS6detail15normal_iteratorINSC_10device_ptrIKtEEEESI_EEEEESK_NSA_INS5_IJNSC_16discard_iteratorINSC_11use_defaultEEESN_EEEEEPS7_SQ_SQ_NSC_11hip_rocprim7__merge17predicate_wrapperIttNSC_4lessItEEEEEE10hipError_tPvRmT0_T1_T2_T3_T4_T5_mmT6_P12ihipStream_tbEUlT_E0_NS1_11comp_targetILNS1_3genE10ELNS1_11target_archE1201ELNS1_3gpuE5ELNS1_3repE0EEENS1_30default_config_static_selectorELNS0_4arch9wavefront6targetE0EEEvS11_.num_vgpr, 0
	.set _ZN7rocprim17ROCPRIM_400000_NS6detail17trampoline_kernelINS0_14default_configENS1_21merge_config_selectorINS0_5tupleIJttEEENS0_10empty_typeEEEZNS1_10merge_implIS3_NS0_12zip_iteratorINS5_IJN6thrust23THRUST_200600_302600_NS6detail15normal_iteratorINSC_10device_ptrIKtEEEESI_EEEEESK_NSA_INS5_IJNSC_16discard_iteratorINSC_11use_defaultEEESN_EEEEEPS7_SQ_SQ_NSC_11hip_rocprim7__merge17predicate_wrapperIttNSC_4lessItEEEEEE10hipError_tPvRmT0_T1_T2_T3_T4_T5_mmT6_P12ihipStream_tbEUlT_E0_NS1_11comp_targetILNS1_3genE10ELNS1_11target_archE1201ELNS1_3gpuE5ELNS1_3repE0EEENS1_30default_config_static_selectorELNS0_4arch9wavefront6targetE0EEEvS11_.num_agpr, 0
	.set _ZN7rocprim17ROCPRIM_400000_NS6detail17trampoline_kernelINS0_14default_configENS1_21merge_config_selectorINS0_5tupleIJttEEENS0_10empty_typeEEEZNS1_10merge_implIS3_NS0_12zip_iteratorINS5_IJN6thrust23THRUST_200600_302600_NS6detail15normal_iteratorINSC_10device_ptrIKtEEEESI_EEEEESK_NSA_INS5_IJNSC_16discard_iteratorINSC_11use_defaultEEESN_EEEEEPS7_SQ_SQ_NSC_11hip_rocprim7__merge17predicate_wrapperIttNSC_4lessItEEEEEE10hipError_tPvRmT0_T1_T2_T3_T4_T5_mmT6_P12ihipStream_tbEUlT_E0_NS1_11comp_targetILNS1_3genE10ELNS1_11target_archE1201ELNS1_3gpuE5ELNS1_3repE0EEENS1_30default_config_static_selectorELNS0_4arch9wavefront6targetE0EEEvS11_.numbered_sgpr, 0
	.set _ZN7rocprim17ROCPRIM_400000_NS6detail17trampoline_kernelINS0_14default_configENS1_21merge_config_selectorINS0_5tupleIJttEEENS0_10empty_typeEEEZNS1_10merge_implIS3_NS0_12zip_iteratorINS5_IJN6thrust23THRUST_200600_302600_NS6detail15normal_iteratorINSC_10device_ptrIKtEEEESI_EEEEESK_NSA_INS5_IJNSC_16discard_iteratorINSC_11use_defaultEEESN_EEEEEPS7_SQ_SQ_NSC_11hip_rocprim7__merge17predicate_wrapperIttNSC_4lessItEEEEEE10hipError_tPvRmT0_T1_T2_T3_T4_T5_mmT6_P12ihipStream_tbEUlT_E0_NS1_11comp_targetILNS1_3genE10ELNS1_11target_archE1201ELNS1_3gpuE5ELNS1_3repE0EEENS1_30default_config_static_selectorELNS0_4arch9wavefront6targetE0EEEvS11_.num_named_barrier, 0
	.set _ZN7rocprim17ROCPRIM_400000_NS6detail17trampoline_kernelINS0_14default_configENS1_21merge_config_selectorINS0_5tupleIJttEEENS0_10empty_typeEEEZNS1_10merge_implIS3_NS0_12zip_iteratorINS5_IJN6thrust23THRUST_200600_302600_NS6detail15normal_iteratorINSC_10device_ptrIKtEEEESI_EEEEESK_NSA_INS5_IJNSC_16discard_iteratorINSC_11use_defaultEEESN_EEEEEPS7_SQ_SQ_NSC_11hip_rocprim7__merge17predicate_wrapperIttNSC_4lessItEEEEEE10hipError_tPvRmT0_T1_T2_T3_T4_T5_mmT6_P12ihipStream_tbEUlT_E0_NS1_11comp_targetILNS1_3genE10ELNS1_11target_archE1201ELNS1_3gpuE5ELNS1_3repE0EEENS1_30default_config_static_selectorELNS0_4arch9wavefront6targetE0EEEvS11_.private_seg_size, 0
	.set _ZN7rocprim17ROCPRIM_400000_NS6detail17trampoline_kernelINS0_14default_configENS1_21merge_config_selectorINS0_5tupleIJttEEENS0_10empty_typeEEEZNS1_10merge_implIS3_NS0_12zip_iteratorINS5_IJN6thrust23THRUST_200600_302600_NS6detail15normal_iteratorINSC_10device_ptrIKtEEEESI_EEEEESK_NSA_INS5_IJNSC_16discard_iteratorINSC_11use_defaultEEESN_EEEEEPS7_SQ_SQ_NSC_11hip_rocprim7__merge17predicate_wrapperIttNSC_4lessItEEEEEE10hipError_tPvRmT0_T1_T2_T3_T4_T5_mmT6_P12ihipStream_tbEUlT_E0_NS1_11comp_targetILNS1_3genE10ELNS1_11target_archE1201ELNS1_3gpuE5ELNS1_3repE0EEENS1_30default_config_static_selectorELNS0_4arch9wavefront6targetE0EEEvS11_.uses_vcc, 0
	.set _ZN7rocprim17ROCPRIM_400000_NS6detail17trampoline_kernelINS0_14default_configENS1_21merge_config_selectorINS0_5tupleIJttEEENS0_10empty_typeEEEZNS1_10merge_implIS3_NS0_12zip_iteratorINS5_IJN6thrust23THRUST_200600_302600_NS6detail15normal_iteratorINSC_10device_ptrIKtEEEESI_EEEEESK_NSA_INS5_IJNSC_16discard_iteratorINSC_11use_defaultEEESN_EEEEEPS7_SQ_SQ_NSC_11hip_rocprim7__merge17predicate_wrapperIttNSC_4lessItEEEEEE10hipError_tPvRmT0_T1_T2_T3_T4_T5_mmT6_P12ihipStream_tbEUlT_E0_NS1_11comp_targetILNS1_3genE10ELNS1_11target_archE1201ELNS1_3gpuE5ELNS1_3repE0EEENS1_30default_config_static_selectorELNS0_4arch9wavefront6targetE0EEEvS11_.uses_flat_scratch, 0
	.set _ZN7rocprim17ROCPRIM_400000_NS6detail17trampoline_kernelINS0_14default_configENS1_21merge_config_selectorINS0_5tupleIJttEEENS0_10empty_typeEEEZNS1_10merge_implIS3_NS0_12zip_iteratorINS5_IJN6thrust23THRUST_200600_302600_NS6detail15normal_iteratorINSC_10device_ptrIKtEEEESI_EEEEESK_NSA_INS5_IJNSC_16discard_iteratorINSC_11use_defaultEEESN_EEEEEPS7_SQ_SQ_NSC_11hip_rocprim7__merge17predicate_wrapperIttNSC_4lessItEEEEEE10hipError_tPvRmT0_T1_T2_T3_T4_T5_mmT6_P12ihipStream_tbEUlT_E0_NS1_11comp_targetILNS1_3genE10ELNS1_11target_archE1201ELNS1_3gpuE5ELNS1_3repE0EEENS1_30default_config_static_selectorELNS0_4arch9wavefront6targetE0EEEvS11_.has_dyn_sized_stack, 0
	.set _ZN7rocprim17ROCPRIM_400000_NS6detail17trampoline_kernelINS0_14default_configENS1_21merge_config_selectorINS0_5tupleIJttEEENS0_10empty_typeEEEZNS1_10merge_implIS3_NS0_12zip_iteratorINS5_IJN6thrust23THRUST_200600_302600_NS6detail15normal_iteratorINSC_10device_ptrIKtEEEESI_EEEEESK_NSA_INS5_IJNSC_16discard_iteratorINSC_11use_defaultEEESN_EEEEEPS7_SQ_SQ_NSC_11hip_rocprim7__merge17predicate_wrapperIttNSC_4lessItEEEEEE10hipError_tPvRmT0_T1_T2_T3_T4_T5_mmT6_P12ihipStream_tbEUlT_E0_NS1_11comp_targetILNS1_3genE10ELNS1_11target_archE1201ELNS1_3gpuE5ELNS1_3repE0EEENS1_30default_config_static_selectorELNS0_4arch9wavefront6targetE0EEEvS11_.has_recursion, 0
	.set _ZN7rocprim17ROCPRIM_400000_NS6detail17trampoline_kernelINS0_14default_configENS1_21merge_config_selectorINS0_5tupleIJttEEENS0_10empty_typeEEEZNS1_10merge_implIS3_NS0_12zip_iteratorINS5_IJN6thrust23THRUST_200600_302600_NS6detail15normal_iteratorINSC_10device_ptrIKtEEEESI_EEEEESK_NSA_INS5_IJNSC_16discard_iteratorINSC_11use_defaultEEESN_EEEEEPS7_SQ_SQ_NSC_11hip_rocprim7__merge17predicate_wrapperIttNSC_4lessItEEEEEE10hipError_tPvRmT0_T1_T2_T3_T4_T5_mmT6_P12ihipStream_tbEUlT_E0_NS1_11comp_targetILNS1_3genE10ELNS1_11target_archE1201ELNS1_3gpuE5ELNS1_3repE0EEENS1_30default_config_static_selectorELNS0_4arch9wavefront6targetE0EEEvS11_.has_indirect_call, 0
	.section	.AMDGPU.csdata,"",@progbits
; Kernel info:
; codeLenInByte = 0
; TotalNumSgprs: 0
; NumVgprs: 0
; ScratchSize: 0
; MemoryBound: 0
; FloatMode: 240
; IeeeMode: 1
; LDSByteSize: 0 bytes/workgroup (compile time only)
; SGPRBlocks: 0
; VGPRBlocks: 0
; NumSGPRsForWavesPerEU: 1
; NumVGPRsForWavesPerEU: 1
; Occupancy: 16
; WaveLimiterHint : 0
; COMPUTE_PGM_RSRC2:SCRATCH_EN: 0
; COMPUTE_PGM_RSRC2:USER_SGPR: 6
; COMPUTE_PGM_RSRC2:TRAP_HANDLER: 0
; COMPUTE_PGM_RSRC2:TGID_X_EN: 1
; COMPUTE_PGM_RSRC2:TGID_Y_EN: 0
; COMPUTE_PGM_RSRC2:TGID_Z_EN: 0
; COMPUTE_PGM_RSRC2:TIDIG_COMP_CNT: 0
	.section	.text._ZN7rocprim17ROCPRIM_400000_NS6detail17trampoline_kernelINS0_14default_configENS1_21merge_config_selectorINS0_5tupleIJttEEENS0_10empty_typeEEEZNS1_10merge_implIS3_NS0_12zip_iteratorINS5_IJN6thrust23THRUST_200600_302600_NS6detail15normal_iteratorINSC_10device_ptrIKtEEEESI_EEEEESK_NSA_INS5_IJNSC_16discard_iteratorINSC_11use_defaultEEESN_EEEEEPS7_SQ_SQ_NSC_11hip_rocprim7__merge17predicate_wrapperIttNSC_4lessItEEEEEE10hipError_tPvRmT0_T1_T2_T3_T4_T5_mmT6_P12ihipStream_tbEUlT_E0_NS1_11comp_targetILNS1_3genE10ELNS1_11target_archE1200ELNS1_3gpuE4ELNS1_3repE0EEENS1_30default_config_static_selectorELNS0_4arch9wavefront6targetE0EEEvS11_,"axG",@progbits,_ZN7rocprim17ROCPRIM_400000_NS6detail17trampoline_kernelINS0_14default_configENS1_21merge_config_selectorINS0_5tupleIJttEEENS0_10empty_typeEEEZNS1_10merge_implIS3_NS0_12zip_iteratorINS5_IJN6thrust23THRUST_200600_302600_NS6detail15normal_iteratorINSC_10device_ptrIKtEEEESI_EEEEESK_NSA_INS5_IJNSC_16discard_iteratorINSC_11use_defaultEEESN_EEEEEPS7_SQ_SQ_NSC_11hip_rocprim7__merge17predicate_wrapperIttNSC_4lessItEEEEEE10hipError_tPvRmT0_T1_T2_T3_T4_T5_mmT6_P12ihipStream_tbEUlT_E0_NS1_11comp_targetILNS1_3genE10ELNS1_11target_archE1200ELNS1_3gpuE4ELNS1_3repE0EEENS1_30default_config_static_selectorELNS0_4arch9wavefront6targetE0EEEvS11_,comdat
	.protected	_ZN7rocprim17ROCPRIM_400000_NS6detail17trampoline_kernelINS0_14default_configENS1_21merge_config_selectorINS0_5tupleIJttEEENS0_10empty_typeEEEZNS1_10merge_implIS3_NS0_12zip_iteratorINS5_IJN6thrust23THRUST_200600_302600_NS6detail15normal_iteratorINSC_10device_ptrIKtEEEESI_EEEEESK_NSA_INS5_IJNSC_16discard_iteratorINSC_11use_defaultEEESN_EEEEEPS7_SQ_SQ_NSC_11hip_rocprim7__merge17predicate_wrapperIttNSC_4lessItEEEEEE10hipError_tPvRmT0_T1_T2_T3_T4_T5_mmT6_P12ihipStream_tbEUlT_E0_NS1_11comp_targetILNS1_3genE10ELNS1_11target_archE1200ELNS1_3gpuE4ELNS1_3repE0EEENS1_30default_config_static_selectorELNS0_4arch9wavefront6targetE0EEEvS11_ ; -- Begin function _ZN7rocprim17ROCPRIM_400000_NS6detail17trampoline_kernelINS0_14default_configENS1_21merge_config_selectorINS0_5tupleIJttEEENS0_10empty_typeEEEZNS1_10merge_implIS3_NS0_12zip_iteratorINS5_IJN6thrust23THRUST_200600_302600_NS6detail15normal_iteratorINSC_10device_ptrIKtEEEESI_EEEEESK_NSA_INS5_IJNSC_16discard_iteratorINSC_11use_defaultEEESN_EEEEEPS7_SQ_SQ_NSC_11hip_rocprim7__merge17predicate_wrapperIttNSC_4lessItEEEEEE10hipError_tPvRmT0_T1_T2_T3_T4_T5_mmT6_P12ihipStream_tbEUlT_E0_NS1_11comp_targetILNS1_3genE10ELNS1_11target_archE1200ELNS1_3gpuE4ELNS1_3repE0EEENS1_30default_config_static_selectorELNS0_4arch9wavefront6targetE0EEEvS11_
	.globl	_ZN7rocprim17ROCPRIM_400000_NS6detail17trampoline_kernelINS0_14default_configENS1_21merge_config_selectorINS0_5tupleIJttEEENS0_10empty_typeEEEZNS1_10merge_implIS3_NS0_12zip_iteratorINS5_IJN6thrust23THRUST_200600_302600_NS6detail15normal_iteratorINSC_10device_ptrIKtEEEESI_EEEEESK_NSA_INS5_IJNSC_16discard_iteratorINSC_11use_defaultEEESN_EEEEEPS7_SQ_SQ_NSC_11hip_rocprim7__merge17predicate_wrapperIttNSC_4lessItEEEEEE10hipError_tPvRmT0_T1_T2_T3_T4_T5_mmT6_P12ihipStream_tbEUlT_E0_NS1_11comp_targetILNS1_3genE10ELNS1_11target_archE1200ELNS1_3gpuE4ELNS1_3repE0EEENS1_30default_config_static_selectorELNS0_4arch9wavefront6targetE0EEEvS11_
	.p2align	8
	.type	_ZN7rocprim17ROCPRIM_400000_NS6detail17trampoline_kernelINS0_14default_configENS1_21merge_config_selectorINS0_5tupleIJttEEENS0_10empty_typeEEEZNS1_10merge_implIS3_NS0_12zip_iteratorINS5_IJN6thrust23THRUST_200600_302600_NS6detail15normal_iteratorINSC_10device_ptrIKtEEEESI_EEEEESK_NSA_INS5_IJNSC_16discard_iteratorINSC_11use_defaultEEESN_EEEEEPS7_SQ_SQ_NSC_11hip_rocprim7__merge17predicate_wrapperIttNSC_4lessItEEEEEE10hipError_tPvRmT0_T1_T2_T3_T4_T5_mmT6_P12ihipStream_tbEUlT_E0_NS1_11comp_targetILNS1_3genE10ELNS1_11target_archE1200ELNS1_3gpuE4ELNS1_3repE0EEENS1_30default_config_static_selectorELNS0_4arch9wavefront6targetE0EEEvS11_,@function
_ZN7rocprim17ROCPRIM_400000_NS6detail17trampoline_kernelINS0_14default_configENS1_21merge_config_selectorINS0_5tupleIJttEEENS0_10empty_typeEEEZNS1_10merge_implIS3_NS0_12zip_iteratorINS5_IJN6thrust23THRUST_200600_302600_NS6detail15normal_iteratorINSC_10device_ptrIKtEEEESI_EEEEESK_NSA_INS5_IJNSC_16discard_iteratorINSC_11use_defaultEEESN_EEEEEPS7_SQ_SQ_NSC_11hip_rocprim7__merge17predicate_wrapperIttNSC_4lessItEEEEEE10hipError_tPvRmT0_T1_T2_T3_T4_T5_mmT6_P12ihipStream_tbEUlT_E0_NS1_11comp_targetILNS1_3genE10ELNS1_11target_archE1200ELNS1_3gpuE4ELNS1_3repE0EEENS1_30default_config_static_selectorELNS0_4arch9wavefront6targetE0EEEvS11_: ; @_ZN7rocprim17ROCPRIM_400000_NS6detail17trampoline_kernelINS0_14default_configENS1_21merge_config_selectorINS0_5tupleIJttEEENS0_10empty_typeEEEZNS1_10merge_implIS3_NS0_12zip_iteratorINS5_IJN6thrust23THRUST_200600_302600_NS6detail15normal_iteratorINSC_10device_ptrIKtEEEESI_EEEEESK_NSA_INS5_IJNSC_16discard_iteratorINSC_11use_defaultEEESN_EEEEEPS7_SQ_SQ_NSC_11hip_rocprim7__merge17predicate_wrapperIttNSC_4lessItEEEEEE10hipError_tPvRmT0_T1_T2_T3_T4_T5_mmT6_P12ihipStream_tbEUlT_E0_NS1_11comp_targetILNS1_3genE10ELNS1_11target_archE1200ELNS1_3gpuE4ELNS1_3repE0EEENS1_30default_config_static_selectorELNS0_4arch9wavefront6targetE0EEEvS11_
; %bb.0:
	.section	.rodata,"a",@progbits
	.p2align	6, 0x0
	.amdhsa_kernel _ZN7rocprim17ROCPRIM_400000_NS6detail17trampoline_kernelINS0_14default_configENS1_21merge_config_selectorINS0_5tupleIJttEEENS0_10empty_typeEEEZNS1_10merge_implIS3_NS0_12zip_iteratorINS5_IJN6thrust23THRUST_200600_302600_NS6detail15normal_iteratorINSC_10device_ptrIKtEEEESI_EEEEESK_NSA_INS5_IJNSC_16discard_iteratorINSC_11use_defaultEEESN_EEEEEPS7_SQ_SQ_NSC_11hip_rocprim7__merge17predicate_wrapperIttNSC_4lessItEEEEEE10hipError_tPvRmT0_T1_T2_T3_T4_T5_mmT6_P12ihipStream_tbEUlT_E0_NS1_11comp_targetILNS1_3genE10ELNS1_11target_archE1200ELNS1_3gpuE4ELNS1_3repE0EEENS1_30default_config_static_selectorELNS0_4arch9wavefront6targetE0EEEvS11_
		.amdhsa_group_segment_fixed_size 0
		.amdhsa_private_segment_fixed_size 0
		.amdhsa_kernarg_size 128
		.amdhsa_user_sgpr_count 6
		.amdhsa_user_sgpr_private_segment_buffer 1
		.amdhsa_user_sgpr_dispatch_ptr 0
		.amdhsa_user_sgpr_queue_ptr 0
		.amdhsa_user_sgpr_kernarg_segment_ptr 1
		.amdhsa_user_sgpr_dispatch_id 0
		.amdhsa_user_sgpr_flat_scratch_init 0
		.amdhsa_user_sgpr_private_segment_size 0
		.amdhsa_wavefront_size32 1
		.amdhsa_uses_dynamic_stack 0
		.amdhsa_system_sgpr_private_segment_wavefront_offset 0
		.amdhsa_system_sgpr_workgroup_id_x 1
		.amdhsa_system_sgpr_workgroup_id_y 0
		.amdhsa_system_sgpr_workgroup_id_z 0
		.amdhsa_system_sgpr_workgroup_info 0
		.amdhsa_system_vgpr_workitem_id 0
		.amdhsa_next_free_vgpr 1
		.amdhsa_next_free_sgpr 1
		.amdhsa_reserve_vcc 0
		.amdhsa_reserve_flat_scratch 0
		.amdhsa_float_round_mode_32 0
		.amdhsa_float_round_mode_16_64 0
		.amdhsa_float_denorm_mode_32 3
		.amdhsa_float_denorm_mode_16_64 3
		.amdhsa_dx10_clamp 1
		.amdhsa_ieee_mode 1
		.amdhsa_fp16_overflow 0
		.amdhsa_workgroup_processor_mode 1
		.amdhsa_memory_ordered 1
		.amdhsa_forward_progress 1
		.amdhsa_shared_vgpr_count 0
		.amdhsa_exception_fp_ieee_invalid_op 0
		.amdhsa_exception_fp_denorm_src 0
		.amdhsa_exception_fp_ieee_div_zero 0
		.amdhsa_exception_fp_ieee_overflow 0
		.amdhsa_exception_fp_ieee_underflow 0
		.amdhsa_exception_fp_ieee_inexact 0
		.amdhsa_exception_int_div_zero 0
	.end_amdhsa_kernel
	.section	.text._ZN7rocprim17ROCPRIM_400000_NS6detail17trampoline_kernelINS0_14default_configENS1_21merge_config_selectorINS0_5tupleIJttEEENS0_10empty_typeEEEZNS1_10merge_implIS3_NS0_12zip_iteratorINS5_IJN6thrust23THRUST_200600_302600_NS6detail15normal_iteratorINSC_10device_ptrIKtEEEESI_EEEEESK_NSA_INS5_IJNSC_16discard_iteratorINSC_11use_defaultEEESN_EEEEEPS7_SQ_SQ_NSC_11hip_rocprim7__merge17predicate_wrapperIttNSC_4lessItEEEEEE10hipError_tPvRmT0_T1_T2_T3_T4_T5_mmT6_P12ihipStream_tbEUlT_E0_NS1_11comp_targetILNS1_3genE10ELNS1_11target_archE1200ELNS1_3gpuE4ELNS1_3repE0EEENS1_30default_config_static_selectorELNS0_4arch9wavefront6targetE0EEEvS11_,"axG",@progbits,_ZN7rocprim17ROCPRIM_400000_NS6detail17trampoline_kernelINS0_14default_configENS1_21merge_config_selectorINS0_5tupleIJttEEENS0_10empty_typeEEEZNS1_10merge_implIS3_NS0_12zip_iteratorINS5_IJN6thrust23THRUST_200600_302600_NS6detail15normal_iteratorINSC_10device_ptrIKtEEEESI_EEEEESK_NSA_INS5_IJNSC_16discard_iteratorINSC_11use_defaultEEESN_EEEEEPS7_SQ_SQ_NSC_11hip_rocprim7__merge17predicate_wrapperIttNSC_4lessItEEEEEE10hipError_tPvRmT0_T1_T2_T3_T4_T5_mmT6_P12ihipStream_tbEUlT_E0_NS1_11comp_targetILNS1_3genE10ELNS1_11target_archE1200ELNS1_3gpuE4ELNS1_3repE0EEENS1_30default_config_static_selectorELNS0_4arch9wavefront6targetE0EEEvS11_,comdat
.Lfunc_end566:
	.size	_ZN7rocprim17ROCPRIM_400000_NS6detail17trampoline_kernelINS0_14default_configENS1_21merge_config_selectorINS0_5tupleIJttEEENS0_10empty_typeEEEZNS1_10merge_implIS3_NS0_12zip_iteratorINS5_IJN6thrust23THRUST_200600_302600_NS6detail15normal_iteratorINSC_10device_ptrIKtEEEESI_EEEEESK_NSA_INS5_IJNSC_16discard_iteratorINSC_11use_defaultEEESN_EEEEEPS7_SQ_SQ_NSC_11hip_rocprim7__merge17predicate_wrapperIttNSC_4lessItEEEEEE10hipError_tPvRmT0_T1_T2_T3_T4_T5_mmT6_P12ihipStream_tbEUlT_E0_NS1_11comp_targetILNS1_3genE10ELNS1_11target_archE1200ELNS1_3gpuE4ELNS1_3repE0EEENS1_30default_config_static_selectorELNS0_4arch9wavefront6targetE0EEEvS11_, .Lfunc_end566-_ZN7rocprim17ROCPRIM_400000_NS6detail17trampoline_kernelINS0_14default_configENS1_21merge_config_selectorINS0_5tupleIJttEEENS0_10empty_typeEEEZNS1_10merge_implIS3_NS0_12zip_iteratorINS5_IJN6thrust23THRUST_200600_302600_NS6detail15normal_iteratorINSC_10device_ptrIKtEEEESI_EEEEESK_NSA_INS5_IJNSC_16discard_iteratorINSC_11use_defaultEEESN_EEEEEPS7_SQ_SQ_NSC_11hip_rocprim7__merge17predicate_wrapperIttNSC_4lessItEEEEEE10hipError_tPvRmT0_T1_T2_T3_T4_T5_mmT6_P12ihipStream_tbEUlT_E0_NS1_11comp_targetILNS1_3genE10ELNS1_11target_archE1200ELNS1_3gpuE4ELNS1_3repE0EEENS1_30default_config_static_selectorELNS0_4arch9wavefront6targetE0EEEvS11_
                                        ; -- End function
	.set _ZN7rocprim17ROCPRIM_400000_NS6detail17trampoline_kernelINS0_14default_configENS1_21merge_config_selectorINS0_5tupleIJttEEENS0_10empty_typeEEEZNS1_10merge_implIS3_NS0_12zip_iteratorINS5_IJN6thrust23THRUST_200600_302600_NS6detail15normal_iteratorINSC_10device_ptrIKtEEEESI_EEEEESK_NSA_INS5_IJNSC_16discard_iteratorINSC_11use_defaultEEESN_EEEEEPS7_SQ_SQ_NSC_11hip_rocprim7__merge17predicate_wrapperIttNSC_4lessItEEEEEE10hipError_tPvRmT0_T1_T2_T3_T4_T5_mmT6_P12ihipStream_tbEUlT_E0_NS1_11comp_targetILNS1_3genE10ELNS1_11target_archE1200ELNS1_3gpuE4ELNS1_3repE0EEENS1_30default_config_static_selectorELNS0_4arch9wavefront6targetE0EEEvS11_.num_vgpr, 0
	.set _ZN7rocprim17ROCPRIM_400000_NS6detail17trampoline_kernelINS0_14default_configENS1_21merge_config_selectorINS0_5tupleIJttEEENS0_10empty_typeEEEZNS1_10merge_implIS3_NS0_12zip_iteratorINS5_IJN6thrust23THRUST_200600_302600_NS6detail15normal_iteratorINSC_10device_ptrIKtEEEESI_EEEEESK_NSA_INS5_IJNSC_16discard_iteratorINSC_11use_defaultEEESN_EEEEEPS7_SQ_SQ_NSC_11hip_rocprim7__merge17predicate_wrapperIttNSC_4lessItEEEEEE10hipError_tPvRmT0_T1_T2_T3_T4_T5_mmT6_P12ihipStream_tbEUlT_E0_NS1_11comp_targetILNS1_3genE10ELNS1_11target_archE1200ELNS1_3gpuE4ELNS1_3repE0EEENS1_30default_config_static_selectorELNS0_4arch9wavefront6targetE0EEEvS11_.num_agpr, 0
	.set _ZN7rocprim17ROCPRIM_400000_NS6detail17trampoline_kernelINS0_14default_configENS1_21merge_config_selectorINS0_5tupleIJttEEENS0_10empty_typeEEEZNS1_10merge_implIS3_NS0_12zip_iteratorINS5_IJN6thrust23THRUST_200600_302600_NS6detail15normal_iteratorINSC_10device_ptrIKtEEEESI_EEEEESK_NSA_INS5_IJNSC_16discard_iteratorINSC_11use_defaultEEESN_EEEEEPS7_SQ_SQ_NSC_11hip_rocprim7__merge17predicate_wrapperIttNSC_4lessItEEEEEE10hipError_tPvRmT0_T1_T2_T3_T4_T5_mmT6_P12ihipStream_tbEUlT_E0_NS1_11comp_targetILNS1_3genE10ELNS1_11target_archE1200ELNS1_3gpuE4ELNS1_3repE0EEENS1_30default_config_static_selectorELNS0_4arch9wavefront6targetE0EEEvS11_.numbered_sgpr, 0
	.set _ZN7rocprim17ROCPRIM_400000_NS6detail17trampoline_kernelINS0_14default_configENS1_21merge_config_selectorINS0_5tupleIJttEEENS0_10empty_typeEEEZNS1_10merge_implIS3_NS0_12zip_iteratorINS5_IJN6thrust23THRUST_200600_302600_NS6detail15normal_iteratorINSC_10device_ptrIKtEEEESI_EEEEESK_NSA_INS5_IJNSC_16discard_iteratorINSC_11use_defaultEEESN_EEEEEPS7_SQ_SQ_NSC_11hip_rocprim7__merge17predicate_wrapperIttNSC_4lessItEEEEEE10hipError_tPvRmT0_T1_T2_T3_T4_T5_mmT6_P12ihipStream_tbEUlT_E0_NS1_11comp_targetILNS1_3genE10ELNS1_11target_archE1200ELNS1_3gpuE4ELNS1_3repE0EEENS1_30default_config_static_selectorELNS0_4arch9wavefront6targetE0EEEvS11_.num_named_barrier, 0
	.set _ZN7rocprim17ROCPRIM_400000_NS6detail17trampoline_kernelINS0_14default_configENS1_21merge_config_selectorINS0_5tupleIJttEEENS0_10empty_typeEEEZNS1_10merge_implIS3_NS0_12zip_iteratorINS5_IJN6thrust23THRUST_200600_302600_NS6detail15normal_iteratorINSC_10device_ptrIKtEEEESI_EEEEESK_NSA_INS5_IJNSC_16discard_iteratorINSC_11use_defaultEEESN_EEEEEPS7_SQ_SQ_NSC_11hip_rocprim7__merge17predicate_wrapperIttNSC_4lessItEEEEEE10hipError_tPvRmT0_T1_T2_T3_T4_T5_mmT6_P12ihipStream_tbEUlT_E0_NS1_11comp_targetILNS1_3genE10ELNS1_11target_archE1200ELNS1_3gpuE4ELNS1_3repE0EEENS1_30default_config_static_selectorELNS0_4arch9wavefront6targetE0EEEvS11_.private_seg_size, 0
	.set _ZN7rocprim17ROCPRIM_400000_NS6detail17trampoline_kernelINS0_14default_configENS1_21merge_config_selectorINS0_5tupleIJttEEENS0_10empty_typeEEEZNS1_10merge_implIS3_NS0_12zip_iteratorINS5_IJN6thrust23THRUST_200600_302600_NS6detail15normal_iteratorINSC_10device_ptrIKtEEEESI_EEEEESK_NSA_INS5_IJNSC_16discard_iteratorINSC_11use_defaultEEESN_EEEEEPS7_SQ_SQ_NSC_11hip_rocprim7__merge17predicate_wrapperIttNSC_4lessItEEEEEE10hipError_tPvRmT0_T1_T2_T3_T4_T5_mmT6_P12ihipStream_tbEUlT_E0_NS1_11comp_targetILNS1_3genE10ELNS1_11target_archE1200ELNS1_3gpuE4ELNS1_3repE0EEENS1_30default_config_static_selectorELNS0_4arch9wavefront6targetE0EEEvS11_.uses_vcc, 0
	.set _ZN7rocprim17ROCPRIM_400000_NS6detail17trampoline_kernelINS0_14default_configENS1_21merge_config_selectorINS0_5tupleIJttEEENS0_10empty_typeEEEZNS1_10merge_implIS3_NS0_12zip_iteratorINS5_IJN6thrust23THRUST_200600_302600_NS6detail15normal_iteratorINSC_10device_ptrIKtEEEESI_EEEEESK_NSA_INS5_IJNSC_16discard_iteratorINSC_11use_defaultEEESN_EEEEEPS7_SQ_SQ_NSC_11hip_rocprim7__merge17predicate_wrapperIttNSC_4lessItEEEEEE10hipError_tPvRmT0_T1_T2_T3_T4_T5_mmT6_P12ihipStream_tbEUlT_E0_NS1_11comp_targetILNS1_3genE10ELNS1_11target_archE1200ELNS1_3gpuE4ELNS1_3repE0EEENS1_30default_config_static_selectorELNS0_4arch9wavefront6targetE0EEEvS11_.uses_flat_scratch, 0
	.set _ZN7rocprim17ROCPRIM_400000_NS6detail17trampoline_kernelINS0_14default_configENS1_21merge_config_selectorINS0_5tupleIJttEEENS0_10empty_typeEEEZNS1_10merge_implIS3_NS0_12zip_iteratorINS5_IJN6thrust23THRUST_200600_302600_NS6detail15normal_iteratorINSC_10device_ptrIKtEEEESI_EEEEESK_NSA_INS5_IJNSC_16discard_iteratorINSC_11use_defaultEEESN_EEEEEPS7_SQ_SQ_NSC_11hip_rocprim7__merge17predicate_wrapperIttNSC_4lessItEEEEEE10hipError_tPvRmT0_T1_T2_T3_T4_T5_mmT6_P12ihipStream_tbEUlT_E0_NS1_11comp_targetILNS1_3genE10ELNS1_11target_archE1200ELNS1_3gpuE4ELNS1_3repE0EEENS1_30default_config_static_selectorELNS0_4arch9wavefront6targetE0EEEvS11_.has_dyn_sized_stack, 0
	.set _ZN7rocprim17ROCPRIM_400000_NS6detail17trampoline_kernelINS0_14default_configENS1_21merge_config_selectorINS0_5tupleIJttEEENS0_10empty_typeEEEZNS1_10merge_implIS3_NS0_12zip_iteratorINS5_IJN6thrust23THRUST_200600_302600_NS6detail15normal_iteratorINSC_10device_ptrIKtEEEESI_EEEEESK_NSA_INS5_IJNSC_16discard_iteratorINSC_11use_defaultEEESN_EEEEEPS7_SQ_SQ_NSC_11hip_rocprim7__merge17predicate_wrapperIttNSC_4lessItEEEEEE10hipError_tPvRmT0_T1_T2_T3_T4_T5_mmT6_P12ihipStream_tbEUlT_E0_NS1_11comp_targetILNS1_3genE10ELNS1_11target_archE1200ELNS1_3gpuE4ELNS1_3repE0EEENS1_30default_config_static_selectorELNS0_4arch9wavefront6targetE0EEEvS11_.has_recursion, 0
	.set _ZN7rocprim17ROCPRIM_400000_NS6detail17trampoline_kernelINS0_14default_configENS1_21merge_config_selectorINS0_5tupleIJttEEENS0_10empty_typeEEEZNS1_10merge_implIS3_NS0_12zip_iteratorINS5_IJN6thrust23THRUST_200600_302600_NS6detail15normal_iteratorINSC_10device_ptrIKtEEEESI_EEEEESK_NSA_INS5_IJNSC_16discard_iteratorINSC_11use_defaultEEESN_EEEEEPS7_SQ_SQ_NSC_11hip_rocprim7__merge17predicate_wrapperIttNSC_4lessItEEEEEE10hipError_tPvRmT0_T1_T2_T3_T4_T5_mmT6_P12ihipStream_tbEUlT_E0_NS1_11comp_targetILNS1_3genE10ELNS1_11target_archE1200ELNS1_3gpuE4ELNS1_3repE0EEENS1_30default_config_static_selectorELNS0_4arch9wavefront6targetE0EEEvS11_.has_indirect_call, 0
	.section	.AMDGPU.csdata,"",@progbits
; Kernel info:
; codeLenInByte = 0
; TotalNumSgprs: 0
; NumVgprs: 0
; ScratchSize: 0
; MemoryBound: 0
; FloatMode: 240
; IeeeMode: 1
; LDSByteSize: 0 bytes/workgroup (compile time only)
; SGPRBlocks: 0
; VGPRBlocks: 0
; NumSGPRsForWavesPerEU: 1
; NumVGPRsForWavesPerEU: 1
; Occupancy: 16
; WaveLimiterHint : 0
; COMPUTE_PGM_RSRC2:SCRATCH_EN: 0
; COMPUTE_PGM_RSRC2:USER_SGPR: 6
; COMPUTE_PGM_RSRC2:TRAP_HANDLER: 0
; COMPUTE_PGM_RSRC2:TGID_X_EN: 1
; COMPUTE_PGM_RSRC2:TGID_Y_EN: 0
; COMPUTE_PGM_RSRC2:TGID_Z_EN: 0
; COMPUTE_PGM_RSRC2:TIDIG_COMP_CNT: 0
	.section	.text._ZN7rocprim17ROCPRIM_400000_NS6detail17trampoline_kernelINS0_14default_configENS1_21merge_config_selectorINS0_5tupleIJttEEENS0_10empty_typeEEEZNS1_10merge_implIS3_NS0_12zip_iteratorINS5_IJN6thrust23THRUST_200600_302600_NS6detail15normal_iteratorINSC_10device_ptrIKtEEEESI_EEEEESK_NSA_INS5_IJNSC_16discard_iteratorINSC_11use_defaultEEESN_EEEEEPS7_SQ_SQ_NSC_11hip_rocprim7__merge17predicate_wrapperIttNSC_4lessItEEEEEE10hipError_tPvRmT0_T1_T2_T3_T4_T5_mmT6_P12ihipStream_tbEUlT_E0_NS1_11comp_targetILNS1_3genE9ELNS1_11target_archE1100ELNS1_3gpuE3ELNS1_3repE0EEENS1_30default_config_static_selectorELNS0_4arch9wavefront6targetE0EEEvS11_,"axG",@progbits,_ZN7rocprim17ROCPRIM_400000_NS6detail17trampoline_kernelINS0_14default_configENS1_21merge_config_selectorINS0_5tupleIJttEEENS0_10empty_typeEEEZNS1_10merge_implIS3_NS0_12zip_iteratorINS5_IJN6thrust23THRUST_200600_302600_NS6detail15normal_iteratorINSC_10device_ptrIKtEEEESI_EEEEESK_NSA_INS5_IJNSC_16discard_iteratorINSC_11use_defaultEEESN_EEEEEPS7_SQ_SQ_NSC_11hip_rocprim7__merge17predicate_wrapperIttNSC_4lessItEEEEEE10hipError_tPvRmT0_T1_T2_T3_T4_T5_mmT6_P12ihipStream_tbEUlT_E0_NS1_11comp_targetILNS1_3genE9ELNS1_11target_archE1100ELNS1_3gpuE3ELNS1_3repE0EEENS1_30default_config_static_selectorELNS0_4arch9wavefront6targetE0EEEvS11_,comdat
	.protected	_ZN7rocprim17ROCPRIM_400000_NS6detail17trampoline_kernelINS0_14default_configENS1_21merge_config_selectorINS0_5tupleIJttEEENS0_10empty_typeEEEZNS1_10merge_implIS3_NS0_12zip_iteratorINS5_IJN6thrust23THRUST_200600_302600_NS6detail15normal_iteratorINSC_10device_ptrIKtEEEESI_EEEEESK_NSA_INS5_IJNSC_16discard_iteratorINSC_11use_defaultEEESN_EEEEEPS7_SQ_SQ_NSC_11hip_rocprim7__merge17predicate_wrapperIttNSC_4lessItEEEEEE10hipError_tPvRmT0_T1_T2_T3_T4_T5_mmT6_P12ihipStream_tbEUlT_E0_NS1_11comp_targetILNS1_3genE9ELNS1_11target_archE1100ELNS1_3gpuE3ELNS1_3repE0EEENS1_30default_config_static_selectorELNS0_4arch9wavefront6targetE0EEEvS11_ ; -- Begin function _ZN7rocprim17ROCPRIM_400000_NS6detail17trampoline_kernelINS0_14default_configENS1_21merge_config_selectorINS0_5tupleIJttEEENS0_10empty_typeEEEZNS1_10merge_implIS3_NS0_12zip_iteratorINS5_IJN6thrust23THRUST_200600_302600_NS6detail15normal_iteratorINSC_10device_ptrIKtEEEESI_EEEEESK_NSA_INS5_IJNSC_16discard_iteratorINSC_11use_defaultEEESN_EEEEEPS7_SQ_SQ_NSC_11hip_rocprim7__merge17predicate_wrapperIttNSC_4lessItEEEEEE10hipError_tPvRmT0_T1_T2_T3_T4_T5_mmT6_P12ihipStream_tbEUlT_E0_NS1_11comp_targetILNS1_3genE9ELNS1_11target_archE1100ELNS1_3gpuE3ELNS1_3repE0EEENS1_30default_config_static_selectorELNS0_4arch9wavefront6targetE0EEEvS11_
	.globl	_ZN7rocprim17ROCPRIM_400000_NS6detail17trampoline_kernelINS0_14default_configENS1_21merge_config_selectorINS0_5tupleIJttEEENS0_10empty_typeEEEZNS1_10merge_implIS3_NS0_12zip_iteratorINS5_IJN6thrust23THRUST_200600_302600_NS6detail15normal_iteratorINSC_10device_ptrIKtEEEESI_EEEEESK_NSA_INS5_IJNSC_16discard_iteratorINSC_11use_defaultEEESN_EEEEEPS7_SQ_SQ_NSC_11hip_rocprim7__merge17predicate_wrapperIttNSC_4lessItEEEEEE10hipError_tPvRmT0_T1_T2_T3_T4_T5_mmT6_P12ihipStream_tbEUlT_E0_NS1_11comp_targetILNS1_3genE9ELNS1_11target_archE1100ELNS1_3gpuE3ELNS1_3repE0EEENS1_30default_config_static_selectorELNS0_4arch9wavefront6targetE0EEEvS11_
	.p2align	8
	.type	_ZN7rocprim17ROCPRIM_400000_NS6detail17trampoline_kernelINS0_14default_configENS1_21merge_config_selectorINS0_5tupleIJttEEENS0_10empty_typeEEEZNS1_10merge_implIS3_NS0_12zip_iteratorINS5_IJN6thrust23THRUST_200600_302600_NS6detail15normal_iteratorINSC_10device_ptrIKtEEEESI_EEEEESK_NSA_INS5_IJNSC_16discard_iteratorINSC_11use_defaultEEESN_EEEEEPS7_SQ_SQ_NSC_11hip_rocprim7__merge17predicate_wrapperIttNSC_4lessItEEEEEE10hipError_tPvRmT0_T1_T2_T3_T4_T5_mmT6_P12ihipStream_tbEUlT_E0_NS1_11comp_targetILNS1_3genE9ELNS1_11target_archE1100ELNS1_3gpuE3ELNS1_3repE0EEENS1_30default_config_static_selectorELNS0_4arch9wavefront6targetE0EEEvS11_,@function
_ZN7rocprim17ROCPRIM_400000_NS6detail17trampoline_kernelINS0_14default_configENS1_21merge_config_selectorINS0_5tupleIJttEEENS0_10empty_typeEEEZNS1_10merge_implIS3_NS0_12zip_iteratorINS5_IJN6thrust23THRUST_200600_302600_NS6detail15normal_iteratorINSC_10device_ptrIKtEEEESI_EEEEESK_NSA_INS5_IJNSC_16discard_iteratorINSC_11use_defaultEEESN_EEEEEPS7_SQ_SQ_NSC_11hip_rocprim7__merge17predicate_wrapperIttNSC_4lessItEEEEEE10hipError_tPvRmT0_T1_T2_T3_T4_T5_mmT6_P12ihipStream_tbEUlT_E0_NS1_11comp_targetILNS1_3genE9ELNS1_11target_archE1100ELNS1_3gpuE3ELNS1_3repE0EEENS1_30default_config_static_selectorELNS0_4arch9wavefront6targetE0EEEvS11_: ; @_ZN7rocprim17ROCPRIM_400000_NS6detail17trampoline_kernelINS0_14default_configENS1_21merge_config_selectorINS0_5tupleIJttEEENS0_10empty_typeEEEZNS1_10merge_implIS3_NS0_12zip_iteratorINS5_IJN6thrust23THRUST_200600_302600_NS6detail15normal_iteratorINSC_10device_ptrIKtEEEESI_EEEEESK_NSA_INS5_IJNSC_16discard_iteratorINSC_11use_defaultEEESN_EEEEEPS7_SQ_SQ_NSC_11hip_rocprim7__merge17predicate_wrapperIttNSC_4lessItEEEEEE10hipError_tPvRmT0_T1_T2_T3_T4_T5_mmT6_P12ihipStream_tbEUlT_E0_NS1_11comp_targetILNS1_3genE9ELNS1_11target_archE1100ELNS1_3gpuE3ELNS1_3repE0EEENS1_30default_config_static_selectorELNS0_4arch9wavefront6targetE0EEEvS11_
; %bb.0:
	.section	.rodata,"a",@progbits
	.p2align	6, 0x0
	.amdhsa_kernel _ZN7rocprim17ROCPRIM_400000_NS6detail17trampoline_kernelINS0_14default_configENS1_21merge_config_selectorINS0_5tupleIJttEEENS0_10empty_typeEEEZNS1_10merge_implIS3_NS0_12zip_iteratorINS5_IJN6thrust23THRUST_200600_302600_NS6detail15normal_iteratorINSC_10device_ptrIKtEEEESI_EEEEESK_NSA_INS5_IJNSC_16discard_iteratorINSC_11use_defaultEEESN_EEEEEPS7_SQ_SQ_NSC_11hip_rocprim7__merge17predicate_wrapperIttNSC_4lessItEEEEEE10hipError_tPvRmT0_T1_T2_T3_T4_T5_mmT6_P12ihipStream_tbEUlT_E0_NS1_11comp_targetILNS1_3genE9ELNS1_11target_archE1100ELNS1_3gpuE3ELNS1_3repE0EEENS1_30default_config_static_selectorELNS0_4arch9wavefront6targetE0EEEvS11_
		.amdhsa_group_segment_fixed_size 0
		.amdhsa_private_segment_fixed_size 0
		.amdhsa_kernarg_size 128
		.amdhsa_user_sgpr_count 6
		.amdhsa_user_sgpr_private_segment_buffer 1
		.amdhsa_user_sgpr_dispatch_ptr 0
		.amdhsa_user_sgpr_queue_ptr 0
		.amdhsa_user_sgpr_kernarg_segment_ptr 1
		.amdhsa_user_sgpr_dispatch_id 0
		.amdhsa_user_sgpr_flat_scratch_init 0
		.amdhsa_user_sgpr_private_segment_size 0
		.amdhsa_wavefront_size32 1
		.amdhsa_uses_dynamic_stack 0
		.amdhsa_system_sgpr_private_segment_wavefront_offset 0
		.amdhsa_system_sgpr_workgroup_id_x 1
		.amdhsa_system_sgpr_workgroup_id_y 0
		.amdhsa_system_sgpr_workgroup_id_z 0
		.amdhsa_system_sgpr_workgroup_info 0
		.amdhsa_system_vgpr_workitem_id 0
		.amdhsa_next_free_vgpr 1
		.amdhsa_next_free_sgpr 1
		.amdhsa_reserve_vcc 0
		.amdhsa_reserve_flat_scratch 0
		.amdhsa_float_round_mode_32 0
		.amdhsa_float_round_mode_16_64 0
		.amdhsa_float_denorm_mode_32 3
		.amdhsa_float_denorm_mode_16_64 3
		.amdhsa_dx10_clamp 1
		.amdhsa_ieee_mode 1
		.amdhsa_fp16_overflow 0
		.amdhsa_workgroup_processor_mode 1
		.amdhsa_memory_ordered 1
		.amdhsa_forward_progress 1
		.amdhsa_shared_vgpr_count 0
		.amdhsa_exception_fp_ieee_invalid_op 0
		.amdhsa_exception_fp_denorm_src 0
		.amdhsa_exception_fp_ieee_div_zero 0
		.amdhsa_exception_fp_ieee_overflow 0
		.amdhsa_exception_fp_ieee_underflow 0
		.amdhsa_exception_fp_ieee_inexact 0
		.amdhsa_exception_int_div_zero 0
	.end_amdhsa_kernel
	.section	.text._ZN7rocprim17ROCPRIM_400000_NS6detail17trampoline_kernelINS0_14default_configENS1_21merge_config_selectorINS0_5tupleIJttEEENS0_10empty_typeEEEZNS1_10merge_implIS3_NS0_12zip_iteratorINS5_IJN6thrust23THRUST_200600_302600_NS6detail15normal_iteratorINSC_10device_ptrIKtEEEESI_EEEEESK_NSA_INS5_IJNSC_16discard_iteratorINSC_11use_defaultEEESN_EEEEEPS7_SQ_SQ_NSC_11hip_rocprim7__merge17predicate_wrapperIttNSC_4lessItEEEEEE10hipError_tPvRmT0_T1_T2_T3_T4_T5_mmT6_P12ihipStream_tbEUlT_E0_NS1_11comp_targetILNS1_3genE9ELNS1_11target_archE1100ELNS1_3gpuE3ELNS1_3repE0EEENS1_30default_config_static_selectorELNS0_4arch9wavefront6targetE0EEEvS11_,"axG",@progbits,_ZN7rocprim17ROCPRIM_400000_NS6detail17trampoline_kernelINS0_14default_configENS1_21merge_config_selectorINS0_5tupleIJttEEENS0_10empty_typeEEEZNS1_10merge_implIS3_NS0_12zip_iteratorINS5_IJN6thrust23THRUST_200600_302600_NS6detail15normal_iteratorINSC_10device_ptrIKtEEEESI_EEEEESK_NSA_INS5_IJNSC_16discard_iteratorINSC_11use_defaultEEESN_EEEEEPS7_SQ_SQ_NSC_11hip_rocprim7__merge17predicate_wrapperIttNSC_4lessItEEEEEE10hipError_tPvRmT0_T1_T2_T3_T4_T5_mmT6_P12ihipStream_tbEUlT_E0_NS1_11comp_targetILNS1_3genE9ELNS1_11target_archE1100ELNS1_3gpuE3ELNS1_3repE0EEENS1_30default_config_static_selectorELNS0_4arch9wavefront6targetE0EEEvS11_,comdat
.Lfunc_end567:
	.size	_ZN7rocprim17ROCPRIM_400000_NS6detail17trampoline_kernelINS0_14default_configENS1_21merge_config_selectorINS0_5tupleIJttEEENS0_10empty_typeEEEZNS1_10merge_implIS3_NS0_12zip_iteratorINS5_IJN6thrust23THRUST_200600_302600_NS6detail15normal_iteratorINSC_10device_ptrIKtEEEESI_EEEEESK_NSA_INS5_IJNSC_16discard_iteratorINSC_11use_defaultEEESN_EEEEEPS7_SQ_SQ_NSC_11hip_rocprim7__merge17predicate_wrapperIttNSC_4lessItEEEEEE10hipError_tPvRmT0_T1_T2_T3_T4_T5_mmT6_P12ihipStream_tbEUlT_E0_NS1_11comp_targetILNS1_3genE9ELNS1_11target_archE1100ELNS1_3gpuE3ELNS1_3repE0EEENS1_30default_config_static_selectorELNS0_4arch9wavefront6targetE0EEEvS11_, .Lfunc_end567-_ZN7rocprim17ROCPRIM_400000_NS6detail17trampoline_kernelINS0_14default_configENS1_21merge_config_selectorINS0_5tupleIJttEEENS0_10empty_typeEEEZNS1_10merge_implIS3_NS0_12zip_iteratorINS5_IJN6thrust23THRUST_200600_302600_NS6detail15normal_iteratorINSC_10device_ptrIKtEEEESI_EEEEESK_NSA_INS5_IJNSC_16discard_iteratorINSC_11use_defaultEEESN_EEEEEPS7_SQ_SQ_NSC_11hip_rocprim7__merge17predicate_wrapperIttNSC_4lessItEEEEEE10hipError_tPvRmT0_T1_T2_T3_T4_T5_mmT6_P12ihipStream_tbEUlT_E0_NS1_11comp_targetILNS1_3genE9ELNS1_11target_archE1100ELNS1_3gpuE3ELNS1_3repE0EEENS1_30default_config_static_selectorELNS0_4arch9wavefront6targetE0EEEvS11_
                                        ; -- End function
	.set _ZN7rocprim17ROCPRIM_400000_NS6detail17trampoline_kernelINS0_14default_configENS1_21merge_config_selectorINS0_5tupleIJttEEENS0_10empty_typeEEEZNS1_10merge_implIS3_NS0_12zip_iteratorINS5_IJN6thrust23THRUST_200600_302600_NS6detail15normal_iteratorINSC_10device_ptrIKtEEEESI_EEEEESK_NSA_INS5_IJNSC_16discard_iteratorINSC_11use_defaultEEESN_EEEEEPS7_SQ_SQ_NSC_11hip_rocprim7__merge17predicate_wrapperIttNSC_4lessItEEEEEE10hipError_tPvRmT0_T1_T2_T3_T4_T5_mmT6_P12ihipStream_tbEUlT_E0_NS1_11comp_targetILNS1_3genE9ELNS1_11target_archE1100ELNS1_3gpuE3ELNS1_3repE0EEENS1_30default_config_static_selectorELNS0_4arch9wavefront6targetE0EEEvS11_.num_vgpr, 0
	.set _ZN7rocprim17ROCPRIM_400000_NS6detail17trampoline_kernelINS0_14default_configENS1_21merge_config_selectorINS0_5tupleIJttEEENS0_10empty_typeEEEZNS1_10merge_implIS3_NS0_12zip_iteratorINS5_IJN6thrust23THRUST_200600_302600_NS6detail15normal_iteratorINSC_10device_ptrIKtEEEESI_EEEEESK_NSA_INS5_IJNSC_16discard_iteratorINSC_11use_defaultEEESN_EEEEEPS7_SQ_SQ_NSC_11hip_rocprim7__merge17predicate_wrapperIttNSC_4lessItEEEEEE10hipError_tPvRmT0_T1_T2_T3_T4_T5_mmT6_P12ihipStream_tbEUlT_E0_NS1_11comp_targetILNS1_3genE9ELNS1_11target_archE1100ELNS1_3gpuE3ELNS1_3repE0EEENS1_30default_config_static_selectorELNS0_4arch9wavefront6targetE0EEEvS11_.num_agpr, 0
	.set _ZN7rocprim17ROCPRIM_400000_NS6detail17trampoline_kernelINS0_14default_configENS1_21merge_config_selectorINS0_5tupleIJttEEENS0_10empty_typeEEEZNS1_10merge_implIS3_NS0_12zip_iteratorINS5_IJN6thrust23THRUST_200600_302600_NS6detail15normal_iteratorINSC_10device_ptrIKtEEEESI_EEEEESK_NSA_INS5_IJNSC_16discard_iteratorINSC_11use_defaultEEESN_EEEEEPS7_SQ_SQ_NSC_11hip_rocprim7__merge17predicate_wrapperIttNSC_4lessItEEEEEE10hipError_tPvRmT0_T1_T2_T3_T4_T5_mmT6_P12ihipStream_tbEUlT_E0_NS1_11comp_targetILNS1_3genE9ELNS1_11target_archE1100ELNS1_3gpuE3ELNS1_3repE0EEENS1_30default_config_static_selectorELNS0_4arch9wavefront6targetE0EEEvS11_.numbered_sgpr, 0
	.set _ZN7rocprim17ROCPRIM_400000_NS6detail17trampoline_kernelINS0_14default_configENS1_21merge_config_selectorINS0_5tupleIJttEEENS0_10empty_typeEEEZNS1_10merge_implIS3_NS0_12zip_iteratorINS5_IJN6thrust23THRUST_200600_302600_NS6detail15normal_iteratorINSC_10device_ptrIKtEEEESI_EEEEESK_NSA_INS5_IJNSC_16discard_iteratorINSC_11use_defaultEEESN_EEEEEPS7_SQ_SQ_NSC_11hip_rocprim7__merge17predicate_wrapperIttNSC_4lessItEEEEEE10hipError_tPvRmT0_T1_T2_T3_T4_T5_mmT6_P12ihipStream_tbEUlT_E0_NS1_11comp_targetILNS1_3genE9ELNS1_11target_archE1100ELNS1_3gpuE3ELNS1_3repE0EEENS1_30default_config_static_selectorELNS0_4arch9wavefront6targetE0EEEvS11_.num_named_barrier, 0
	.set _ZN7rocprim17ROCPRIM_400000_NS6detail17trampoline_kernelINS0_14default_configENS1_21merge_config_selectorINS0_5tupleIJttEEENS0_10empty_typeEEEZNS1_10merge_implIS3_NS0_12zip_iteratorINS5_IJN6thrust23THRUST_200600_302600_NS6detail15normal_iteratorINSC_10device_ptrIKtEEEESI_EEEEESK_NSA_INS5_IJNSC_16discard_iteratorINSC_11use_defaultEEESN_EEEEEPS7_SQ_SQ_NSC_11hip_rocprim7__merge17predicate_wrapperIttNSC_4lessItEEEEEE10hipError_tPvRmT0_T1_T2_T3_T4_T5_mmT6_P12ihipStream_tbEUlT_E0_NS1_11comp_targetILNS1_3genE9ELNS1_11target_archE1100ELNS1_3gpuE3ELNS1_3repE0EEENS1_30default_config_static_selectorELNS0_4arch9wavefront6targetE0EEEvS11_.private_seg_size, 0
	.set _ZN7rocprim17ROCPRIM_400000_NS6detail17trampoline_kernelINS0_14default_configENS1_21merge_config_selectorINS0_5tupleIJttEEENS0_10empty_typeEEEZNS1_10merge_implIS3_NS0_12zip_iteratorINS5_IJN6thrust23THRUST_200600_302600_NS6detail15normal_iteratorINSC_10device_ptrIKtEEEESI_EEEEESK_NSA_INS5_IJNSC_16discard_iteratorINSC_11use_defaultEEESN_EEEEEPS7_SQ_SQ_NSC_11hip_rocprim7__merge17predicate_wrapperIttNSC_4lessItEEEEEE10hipError_tPvRmT0_T1_T2_T3_T4_T5_mmT6_P12ihipStream_tbEUlT_E0_NS1_11comp_targetILNS1_3genE9ELNS1_11target_archE1100ELNS1_3gpuE3ELNS1_3repE0EEENS1_30default_config_static_selectorELNS0_4arch9wavefront6targetE0EEEvS11_.uses_vcc, 0
	.set _ZN7rocprim17ROCPRIM_400000_NS6detail17trampoline_kernelINS0_14default_configENS1_21merge_config_selectorINS0_5tupleIJttEEENS0_10empty_typeEEEZNS1_10merge_implIS3_NS0_12zip_iteratorINS5_IJN6thrust23THRUST_200600_302600_NS6detail15normal_iteratorINSC_10device_ptrIKtEEEESI_EEEEESK_NSA_INS5_IJNSC_16discard_iteratorINSC_11use_defaultEEESN_EEEEEPS7_SQ_SQ_NSC_11hip_rocprim7__merge17predicate_wrapperIttNSC_4lessItEEEEEE10hipError_tPvRmT0_T1_T2_T3_T4_T5_mmT6_P12ihipStream_tbEUlT_E0_NS1_11comp_targetILNS1_3genE9ELNS1_11target_archE1100ELNS1_3gpuE3ELNS1_3repE0EEENS1_30default_config_static_selectorELNS0_4arch9wavefront6targetE0EEEvS11_.uses_flat_scratch, 0
	.set _ZN7rocprim17ROCPRIM_400000_NS6detail17trampoline_kernelINS0_14default_configENS1_21merge_config_selectorINS0_5tupleIJttEEENS0_10empty_typeEEEZNS1_10merge_implIS3_NS0_12zip_iteratorINS5_IJN6thrust23THRUST_200600_302600_NS6detail15normal_iteratorINSC_10device_ptrIKtEEEESI_EEEEESK_NSA_INS5_IJNSC_16discard_iteratorINSC_11use_defaultEEESN_EEEEEPS7_SQ_SQ_NSC_11hip_rocprim7__merge17predicate_wrapperIttNSC_4lessItEEEEEE10hipError_tPvRmT0_T1_T2_T3_T4_T5_mmT6_P12ihipStream_tbEUlT_E0_NS1_11comp_targetILNS1_3genE9ELNS1_11target_archE1100ELNS1_3gpuE3ELNS1_3repE0EEENS1_30default_config_static_selectorELNS0_4arch9wavefront6targetE0EEEvS11_.has_dyn_sized_stack, 0
	.set _ZN7rocprim17ROCPRIM_400000_NS6detail17trampoline_kernelINS0_14default_configENS1_21merge_config_selectorINS0_5tupleIJttEEENS0_10empty_typeEEEZNS1_10merge_implIS3_NS0_12zip_iteratorINS5_IJN6thrust23THRUST_200600_302600_NS6detail15normal_iteratorINSC_10device_ptrIKtEEEESI_EEEEESK_NSA_INS5_IJNSC_16discard_iteratorINSC_11use_defaultEEESN_EEEEEPS7_SQ_SQ_NSC_11hip_rocprim7__merge17predicate_wrapperIttNSC_4lessItEEEEEE10hipError_tPvRmT0_T1_T2_T3_T4_T5_mmT6_P12ihipStream_tbEUlT_E0_NS1_11comp_targetILNS1_3genE9ELNS1_11target_archE1100ELNS1_3gpuE3ELNS1_3repE0EEENS1_30default_config_static_selectorELNS0_4arch9wavefront6targetE0EEEvS11_.has_recursion, 0
	.set _ZN7rocprim17ROCPRIM_400000_NS6detail17trampoline_kernelINS0_14default_configENS1_21merge_config_selectorINS0_5tupleIJttEEENS0_10empty_typeEEEZNS1_10merge_implIS3_NS0_12zip_iteratorINS5_IJN6thrust23THRUST_200600_302600_NS6detail15normal_iteratorINSC_10device_ptrIKtEEEESI_EEEEESK_NSA_INS5_IJNSC_16discard_iteratorINSC_11use_defaultEEESN_EEEEEPS7_SQ_SQ_NSC_11hip_rocprim7__merge17predicate_wrapperIttNSC_4lessItEEEEEE10hipError_tPvRmT0_T1_T2_T3_T4_T5_mmT6_P12ihipStream_tbEUlT_E0_NS1_11comp_targetILNS1_3genE9ELNS1_11target_archE1100ELNS1_3gpuE3ELNS1_3repE0EEENS1_30default_config_static_selectorELNS0_4arch9wavefront6targetE0EEEvS11_.has_indirect_call, 0
	.section	.AMDGPU.csdata,"",@progbits
; Kernel info:
; codeLenInByte = 0
; TotalNumSgprs: 0
; NumVgprs: 0
; ScratchSize: 0
; MemoryBound: 0
; FloatMode: 240
; IeeeMode: 1
; LDSByteSize: 0 bytes/workgroup (compile time only)
; SGPRBlocks: 0
; VGPRBlocks: 0
; NumSGPRsForWavesPerEU: 1
; NumVGPRsForWavesPerEU: 1
; Occupancy: 16
; WaveLimiterHint : 0
; COMPUTE_PGM_RSRC2:SCRATCH_EN: 0
; COMPUTE_PGM_RSRC2:USER_SGPR: 6
; COMPUTE_PGM_RSRC2:TRAP_HANDLER: 0
; COMPUTE_PGM_RSRC2:TGID_X_EN: 1
; COMPUTE_PGM_RSRC2:TGID_Y_EN: 0
; COMPUTE_PGM_RSRC2:TGID_Z_EN: 0
; COMPUTE_PGM_RSRC2:TIDIG_COMP_CNT: 0
	.section	.text._ZN7rocprim17ROCPRIM_400000_NS6detail17trampoline_kernelINS0_14default_configENS1_21merge_config_selectorINS0_5tupleIJttEEENS0_10empty_typeEEEZNS1_10merge_implIS3_NS0_12zip_iteratorINS5_IJN6thrust23THRUST_200600_302600_NS6detail15normal_iteratorINSC_10device_ptrIKtEEEESI_EEEEESK_NSA_INS5_IJNSC_16discard_iteratorINSC_11use_defaultEEESN_EEEEEPS7_SQ_SQ_NSC_11hip_rocprim7__merge17predicate_wrapperIttNSC_4lessItEEEEEE10hipError_tPvRmT0_T1_T2_T3_T4_T5_mmT6_P12ihipStream_tbEUlT_E0_NS1_11comp_targetILNS1_3genE8ELNS1_11target_archE1030ELNS1_3gpuE2ELNS1_3repE0EEENS1_30default_config_static_selectorELNS0_4arch9wavefront6targetE0EEEvS11_,"axG",@progbits,_ZN7rocprim17ROCPRIM_400000_NS6detail17trampoline_kernelINS0_14default_configENS1_21merge_config_selectorINS0_5tupleIJttEEENS0_10empty_typeEEEZNS1_10merge_implIS3_NS0_12zip_iteratorINS5_IJN6thrust23THRUST_200600_302600_NS6detail15normal_iteratorINSC_10device_ptrIKtEEEESI_EEEEESK_NSA_INS5_IJNSC_16discard_iteratorINSC_11use_defaultEEESN_EEEEEPS7_SQ_SQ_NSC_11hip_rocprim7__merge17predicate_wrapperIttNSC_4lessItEEEEEE10hipError_tPvRmT0_T1_T2_T3_T4_T5_mmT6_P12ihipStream_tbEUlT_E0_NS1_11comp_targetILNS1_3genE8ELNS1_11target_archE1030ELNS1_3gpuE2ELNS1_3repE0EEENS1_30default_config_static_selectorELNS0_4arch9wavefront6targetE0EEEvS11_,comdat
	.protected	_ZN7rocprim17ROCPRIM_400000_NS6detail17trampoline_kernelINS0_14default_configENS1_21merge_config_selectorINS0_5tupleIJttEEENS0_10empty_typeEEEZNS1_10merge_implIS3_NS0_12zip_iteratorINS5_IJN6thrust23THRUST_200600_302600_NS6detail15normal_iteratorINSC_10device_ptrIKtEEEESI_EEEEESK_NSA_INS5_IJNSC_16discard_iteratorINSC_11use_defaultEEESN_EEEEEPS7_SQ_SQ_NSC_11hip_rocprim7__merge17predicate_wrapperIttNSC_4lessItEEEEEE10hipError_tPvRmT0_T1_T2_T3_T4_T5_mmT6_P12ihipStream_tbEUlT_E0_NS1_11comp_targetILNS1_3genE8ELNS1_11target_archE1030ELNS1_3gpuE2ELNS1_3repE0EEENS1_30default_config_static_selectorELNS0_4arch9wavefront6targetE0EEEvS11_ ; -- Begin function _ZN7rocprim17ROCPRIM_400000_NS6detail17trampoline_kernelINS0_14default_configENS1_21merge_config_selectorINS0_5tupleIJttEEENS0_10empty_typeEEEZNS1_10merge_implIS3_NS0_12zip_iteratorINS5_IJN6thrust23THRUST_200600_302600_NS6detail15normal_iteratorINSC_10device_ptrIKtEEEESI_EEEEESK_NSA_INS5_IJNSC_16discard_iteratorINSC_11use_defaultEEESN_EEEEEPS7_SQ_SQ_NSC_11hip_rocprim7__merge17predicate_wrapperIttNSC_4lessItEEEEEE10hipError_tPvRmT0_T1_T2_T3_T4_T5_mmT6_P12ihipStream_tbEUlT_E0_NS1_11comp_targetILNS1_3genE8ELNS1_11target_archE1030ELNS1_3gpuE2ELNS1_3repE0EEENS1_30default_config_static_selectorELNS0_4arch9wavefront6targetE0EEEvS11_
	.globl	_ZN7rocprim17ROCPRIM_400000_NS6detail17trampoline_kernelINS0_14default_configENS1_21merge_config_selectorINS0_5tupleIJttEEENS0_10empty_typeEEEZNS1_10merge_implIS3_NS0_12zip_iteratorINS5_IJN6thrust23THRUST_200600_302600_NS6detail15normal_iteratorINSC_10device_ptrIKtEEEESI_EEEEESK_NSA_INS5_IJNSC_16discard_iteratorINSC_11use_defaultEEESN_EEEEEPS7_SQ_SQ_NSC_11hip_rocprim7__merge17predicate_wrapperIttNSC_4lessItEEEEEE10hipError_tPvRmT0_T1_T2_T3_T4_T5_mmT6_P12ihipStream_tbEUlT_E0_NS1_11comp_targetILNS1_3genE8ELNS1_11target_archE1030ELNS1_3gpuE2ELNS1_3repE0EEENS1_30default_config_static_selectorELNS0_4arch9wavefront6targetE0EEEvS11_
	.p2align	8
	.type	_ZN7rocprim17ROCPRIM_400000_NS6detail17trampoline_kernelINS0_14default_configENS1_21merge_config_selectorINS0_5tupleIJttEEENS0_10empty_typeEEEZNS1_10merge_implIS3_NS0_12zip_iteratorINS5_IJN6thrust23THRUST_200600_302600_NS6detail15normal_iteratorINSC_10device_ptrIKtEEEESI_EEEEESK_NSA_INS5_IJNSC_16discard_iteratorINSC_11use_defaultEEESN_EEEEEPS7_SQ_SQ_NSC_11hip_rocprim7__merge17predicate_wrapperIttNSC_4lessItEEEEEE10hipError_tPvRmT0_T1_T2_T3_T4_T5_mmT6_P12ihipStream_tbEUlT_E0_NS1_11comp_targetILNS1_3genE8ELNS1_11target_archE1030ELNS1_3gpuE2ELNS1_3repE0EEENS1_30default_config_static_selectorELNS0_4arch9wavefront6targetE0EEEvS11_,@function
_ZN7rocprim17ROCPRIM_400000_NS6detail17trampoline_kernelINS0_14default_configENS1_21merge_config_selectorINS0_5tupleIJttEEENS0_10empty_typeEEEZNS1_10merge_implIS3_NS0_12zip_iteratorINS5_IJN6thrust23THRUST_200600_302600_NS6detail15normal_iteratorINSC_10device_ptrIKtEEEESI_EEEEESK_NSA_INS5_IJNSC_16discard_iteratorINSC_11use_defaultEEESN_EEEEEPS7_SQ_SQ_NSC_11hip_rocprim7__merge17predicate_wrapperIttNSC_4lessItEEEEEE10hipError_tPvRmT0_T1_T2_T3_T4_T5_mmT6_P12ihipStream_tbEUlT_E0_NS1_11comp_targetILNS1_3genE8ELNS1_11target_archE1030ELNS1_3gpuE2ELNS1_3repE0EEENS1_30default_config_static_selectorELNS0_4arch9wavefront6targetE0EEEvS11_: ; @_ZN7rocprim17ROCPRIM_400000_NS6detail17trampoline_kernelINS0_14default_configENS1_21merge_config_selectorINS0_5tupleIJttEEENS0_10empty_typeEEEZNS1_10merge_implIS3_NS0_12zip_iteratorINS5_IJN6thrust23THRUST_200600_302600_NS6detail15normal_iteratorINSC_10device_ptrIKtEEEESI_EEEEESK_NSA_INS5_IJNSC_16discard_iteratorINSC_11use_defaultEEESN_EEEEEPS7_SQ_SQ_NSC_11hip_rocprim7__merge17predicate_wrapperIttNSC_4lessItEEEEEE10hipError_tPvRmT0_T1_T2_T3_T4_T5_mmT6_P12ihipStream_tbEUlT_E0_NS1_11comp_targetILNS1_3genE8ELNS1_11target_archE1030ELNS1_3gpuE2ELNS1_3repE0EEENS1_30default_config_static_selectorELNS0_4arch9wavefront6targetE0EEEvS11_
; %bb.0:
	s_clause 0x2
	s_load_dwordx4 s[0:3], s[4:5], 0x68
	s_load_dwordx8 s[8:15], s[4:5], 0x8
	s_load_dwordx2 s[20:21], s[4:5], 0x28
	s_lshl_b32 s17, s6, 13
	s_mov_b32 s19, 0
	v_mov_b32_e32 v1, 0
	s_waitcnt lgkmcnt(0)
	s_add_i32 s16, s2, s0
	s_add_i32 s0, s16, 0x1fff
	s_lshr_b32 s0, s0, 13
	s_min_u32 s1, s6, s0
	s_lshl_b32 s1, s1, 2
	s_load_dword s18, s[8:9], s1 offset:0x0
	s_add_i32 s1, s6, 1
	s_min_u32 s0, s1, s0
	s_lshl_b32 s0, s0, 2
	s_load_dword s22, s[8:9], s0 offset:0x0
	s_add_i32 s0, s17, 0x2000
	s_mov_b32 s9, s19
	s_min_u32 s23, s16, s0
	s_waitcnt lgkmcnt(0)
	s_lshl_b64 s[2:3], s[18:19], 1
	s_sub_i32 s8, s17, s18
	s_add_u32 s0, s10, s2
	s_addc_u32 s1, s11, s3
	s_add_u32 s2, s12, s2
	s_addc_u32 s3, s13, s3
	s_lshl_b64 s[6:7], s[8:9], 1
	s_mov_b32 s12, exec_lo
	s_add_u32 s4, s14, s6
	s_addc_u32 s5, s15, s7
	s_add_u32 s6, s20, s6
	s_addc_u32 s7, s21, s7
	s_add_i32 s8, s8, s22
	s_sub_i32 s10, s22, s18
	s_sub_i32 s11, s23, s8
	s_add_u32 s8, s11, s10
	s_addc_u32 s9, 0, 0
	v_cmpx_le_u32_e64 s10, v0
	s_xor_b32 s12, exec_lo, s12
	s_cbranch_execz .LBB568_4
; %bb.1:
	s_mov_b32 s13, exec_lo
	v_cmpx_gt_u64_e64 s[8:9], v[0:1]
	s_cbranch_execz .LBB568_3
; %bb.2:
	v_subrev_nc_u32_e32 v1, s10, v0
	v_lshlrev_b32_e32 v1, 1, v1
	s_clause 0x1
	global_load_ushort v2, v1, s[4:5]
	global_load_short_d16_hi v2, v1, s[6:7]
	v_lshlrev_b32_e32 v1, 2, v0
	s_waitcnt vmcnt(0)
	ds_write_b32 v1, v2
.LBB568_3:
	s_or_b32 exec_lo, exec_lo, s13
.LBB568_4:
	s_or_saveexec_b32 s12, s12
	v_lshlrev_b32_e32 v3, 2, v0
	s_xor_b32 exec_lo, exec_lo, s12
	s_cbranch_execz .LBB568_6
; %bb.5:
	v_lshlrev_b32_e32 v1, 1, v0
	s_clause 0x1
	global_load_ushort v2, v1, s[0:1]
	global_load_short_d16_hi v2, v1, s[2:3]
	s_waitcnt vmcnt(0)
	ds_write_b32 v3, v2
.LBB568_6:
	s_or_b32 exec_lo, exec_lo, s12
	v_or_b32_e32 v1, 0x400, v0
	v_mov_b32_e32 v2, 0
	s_mov_b32 s12, exec_lo
	v_cmpx_le_u32_e64 s10, v1
	s_xor_b32 s12, exec_lo, s12
	s_cbranch_execz .LBB568_10
; %bb.7:
	s_mov_b32 s13, exec_lo
	v_cmpx_gt_u64_e64 s[8:9], v[1:2]
	s_cbranch_execz .LBB568_9
; %bb.8:
	v_subrev_nc_u32_e32 v1, s10, v1
	v_lshlrev_b32_e32 v1, 1, v1
	s_clause 0x1
	global_load_ushort v2, v1, s[4:5]
	global_load_short_d16_hi v2, v1, s[6:7]
	s_waitcnt vmcnt(0)
	ds_write_b32 v3, v2 offset:4096
.LBB568_9:
	s_or_b32 exec_lo, exec_lo, s13
                                        ; implicit-def: $vgpr1_vgpr2
.LBB568_10:
	s_andn2_saveexec_b32 s12, s12
	s_cbranch_execz .LBB568_12
; %bb.11:
	v_lshlrev_b32_e32 v1, 1, v1
	s_clause 0x1
	global_load_ushort v2, v1, s[0:1]
	global_load_short_d16_hi v2, v1, s[2:3]
	s_waitcnt vmcnt(0)
	ds_write_b32 v3, v2 offset:4096
.LBB568_12:
	s_or_b32 exec_lo, exec_lo, s12
	v_or_b32_e32 v1, 0x800, v0
	v_mov_b32_e32 v2, 0
	s_mov_b32 s12, exec_lo
	v_cmpx_le_u32_e64 s10, v1
	s_xor_b32 s12, exec_lo, s12
	s_cbranch_execz .LBB568_16
; %bb.13:
	s_mov_b32 s13, exec_lo
	v_cmpx_gt_u64_e64 s[8:9], v[1:2]
	s_cbranch_execz .LBB568_15
; %bb.14:
	v_subrev_nc_u32_e32 v1, s10, v1
	v_lshlrev_b32_e32 v1, 1, v1
	s_clause 0x1
	global_load_ushort v2, v1, s[4:5]
	global_load_short_d16_hi v2, v1, s[6:7]
	s_waitcnt vmcnt(0)
	ds_write_b32 v3, v2 offset:8192
.LBB568_15:
	s_or_b32 exec_lo, exec_lo, s13
                                        ; implicit-def: $vgpr1_vgpr2
.LBB568_16:
	s_andn2_saveexec_b32 s12, s12
	s_cbranch_execz .LBB568_18
; %bb.17:
	v_lshlrev_b32_e32 v1, 1, v1
	s_clause 0x1
	global_load_ushort v2, v1, s[0:1]
	global_load_short_d16_hi v2, v1, s[2:3]
	s_waitcnt vmcnt(0)
	ds_write_b32 v3, v2 offset:8192
.LBB568_18:
	;; [unrolled: 33-line block ×6, first 2 shown]
	s_or_b32 exec_lo, exec_lo, s12
	v_or_b32_e32 v1, 0x1c00, v0
	v_mov_b32_e32 v2, 0
	s_mov_b32 s12, exec_lo
	v_cmpx_le_u32_e64 s10, v1
	s_xor_b32 s12, exec_lo, s12
	s_cbranch_execz .LBB568_46
; %bb.43:
	v_cmp_gt_u64_e32 vcc_lo, s[8:9], v[1:2]
	s_and_saveexec_b32 s8, vcc_lo
	s_cbranch_execz .LBB568_45
; %bb.44:
	v_subrev_nc_u32_e32 v1, s10, v1
	v_lshlrev_b32_e32 v1, 1, v1
	s_clause 0x1
	global_load_ushort v2, v1, s[4:5]
	global_load_short_d16_hi v2, v1, s[6:7]
	s_waitcnt vmcnt(0)
	ds_write_b32 v3, v2 offset:28672
.LBB568_45:
	s_or_b32 exec_lo, exec_lo, s8
                                        ; implicit-def: $vgpr1_vgpr2
                                        ; implicit-def: $vgpr3
.LBB568_46:
	s_andn2_saveexec_b32 s4, s12
	s_cbranch_execz .LBB568_48
; %bb.47:
	v_lshlrev_b32_e32 v1, 1, v1
	s_clause 0x1
	global_load_ushort v2, v1, s[0:1]
	global_load_short_d16_hi v2, v1, s[2:3]
	s_waitcnt vmcnt(0)
	ds_write_b32 v3, v2 offset:28672
.LBB568_48:
	s_or_b32 exec_lo, exec_lo, s4
	v_lshlrev_b32_e32 v1, 3, v0
	s_mov_b32 s0, exec_lo
	s_waitcnt lgkmcnt(0)
	s_barrier
	buffer_gl0_inv
	v_sub_nc_u32_e64 v6, v1, s11 clamp
	v_min_u32_e32 v2, s10, v1
	v_cmpx_lt_u32_e64 v6, v2
	s_cbranch_execz .LBB568_52
; %bb.49:
	v_lshlrev_b32_e32 v3, 2, v1
	s_mov_b32 s1, 0
	v_lshl_add_u32 v3, s10, 2, v3
	.p2align	6
.LBB568_50:                             ; =>This Inner Loop Header: Depth=1
	v_add_nc_u32_e32 v4, v2, v6
	v_lshrrev_b32_e32 v4, 1, v4
	v_not_b32_e32 v5, v4
	v_lshlrev_b32_e32 v7, 2, v4
	v_add_nc_u32_e32 v8, 1, v4
	v_lshl_add_u32 v5, v5, 2, v3
	ds_read_b32 v7, v7
	ds_read_b32 v5, v5
	s_waitcnt lgkmcnt(0)
	v_cmp_lt_u16_e32 vcc_lo, v5, v7
	v_cndmask_b32_e32 v2, v2, v4, vcc_lo
	v_cndmask_b32_e32 v6, v8, v6, vcc_lo
	v_cmp_ge_u32_e32 vcc_lo, v6, v2
	s_or_b32 s1, vcc_lo, s1
	s_andn2_b32 exec_lo, exec_lo, s1
	s_cbranch_execnz .LBB568_50
; %bb.51:
	s_or_b32 exec_lo, exec_lo, s1
.LBB568_52:
	s_or_b32 exec_lo, exec_lo, s0
	v_add_nc_u32_e32 v3, s10, v1
	s_add_i32 s11, s11, s10
	v_cmp_ge_u32_e32 vcc_lo, s10, v6
	v_mov_b32_e32 v2, 0
	v_mov_b32_e32 v4, 0
	v_sub_nc_u32_e32 v7, v3, v6
	v_mov_b32_e32 v3, 0
	v_mov_b32_e32 v5, 0
	;; [unrolled: 1-line block ×4, first 2 shown]
	v_cmp_ge_u32_e64 s0, s11, v7
	v_mov_b32_e32 v10, 0
	v_mov_b32_e32 v11, 0
	s_or_b32 s0, vcc_lo, s0
	s_and_saveexec_b32 s7, s0
	s_cbranch_execz .LBB568_58
; %bb.53:
	v_cmp_gt_u32_e32 vcc_lo, s10, v6
	v_mov_b32_e32 v2, 0
	v_mov_b32_e32 v4, 0
	v_mov_b32_e32 v3, 0
	s_and_saveexec_b32 s0, vcc_lo
	s_cbranch_execz .LBB568_55
; %bb.54:
	v_lshlrev_b32_e32 v3, 2, v6
	ds_read_b32 v4, v3
	s_waitcnt lgkmcnt(0)
	v_lshrrev_b32_e32 v3, 16, v4
.LBB568_55:
	s_or_b32 exec_lo, exec_lo, s0
	v_cmp_le_u32_e64 s0, s11, v7
	v_mov_b32_e32 v5, 0
	s_mov_b32 s2, exec_lo
	v_cmpx_gt_u32_e64 s11, v7
	s_cbranch_execz .LBB568_57
; %bb.56:
	v_lshlrev_b32_e32 v2, 2, v7
	ds_read_b32 v2, v2
	s_waitcnt lgkmcnt(0)
	v_lshrrev_b32_e32 v5, 16, v2
.LBB568_57:
	s_or_b32 exec_lo, exec_lo, s2
	v_cmp_ge_u16_e64 s1, v2, v4
	v_mov_b32_e32 v8, s10
	v_lshlrev_b32_e32 v26, 16, v3
	v_lshlrev_b32_e32 v27, 16, v5
	s_and_b32 s1, vcc_lo, s1
	s_or_b32 vcc_lo, s0, s1
	v_cndmask_b32_e32 v9, v7, v6, vcc_lo
	v_cndmask_b32_e32 v10, s11, v8, vcc_lo
	v_add_nc_u32_e32 v9, 1, v9
	v_add_nc_u32_e32 v10, -1, v10
	v_cndmask_b32_e32 v6, v6, v9, vcc_lo
	v_min_u32_e32 v10, v9, v10
	v_cndmask_b32_e32 v7, v9, v7, vcc_lo
	v_cmp_gt_u32_e64 s0, s10, v6
	v_lshlrev_b32_e32 v10, 2, v10
	v_cmp_le_u32_e64 s2, s11, v7
	ds_read_b32 v10, v10
	s_waitcnt lgkmcnt(0)
	v_cndmask_b32_e32 v11, v10, v2, vcc_lo
	v_cndmask_b32_e32 v12, v4, v10, vcc_lo
	v_or_b32_sdwa v4, v26, v4 dst_sel:DWORD dst_unused:UNUSED_PAD src0_sel:DWORD src1_sel:WORD_0
	v_or_b32_sdwa v2, v27, v2 dst_sel:DWORD dst_unused:UNUSED_PAD src0_sel:DWORD src1_sel:WORD_0
	v_lshrrev_b32_e32 v10, 16, v10
	v_cmp_ge_u16_e64 s1, v11, v12
	v_cndmask_b32_e32 v2, v2, v4, vcc_lo
	v_cndmask_b32_e32 v3, v3, v10, vcc_lo
	;; [unrolled: 1-line block ×3, first 2 shown]
	s_and_b32 s0, s0, s1
	s_or_b32 s0, s2, s0
	v_lshlrev_b32_e32 v5, 16, v3
	v_cndmask_b32_e64 v9, v7, v6, s0
	v_cndmask_b32_e64 v13, s11, v8, s0
	v_or_b32_sdwa v5, v5, v12 dst_sel:DWORD dst_unused:UNUSED_PAD src0_sel:DWORD src1_sel:WORD_0
	v_add_nc_u32_e32 v9, 1, v9
	v_add_nc_u32_e32 v13, -1, v13
	v_cndmask_b32_e64 v6, v6, v9, s0
	v_min_u32_e32 v13, v9, v13
	v_cndmask_b32_e64 v7, v9, v7, s0
	v_cmp_gt_u32_e64 s1, s10, v6
	v_lshlrev_b32_e32 v13, 2, v13
	v_cmp_le_u32_e64 s3, s11, v7
	ds_read_b32 v13, v13
	s_waitcnt lgkmcnt(0)
	v_cndmask_b32_e64 v14, v13, v11, s0
	v_cndmask_b32_e64 v15, v12, v13, s0
	v_cmp_ge_u16_e64 s2, v14, v15
	s_and_b32 s1, s1, s2
	s_or_b32 s1, s3, s1
	v_cndmask_b32_e64 v9, v7, v6, s1
	v_cndmask_b32_e64 v16, s11, v8, s1
	v_add_nc_u32_e32 v9, 1, v9
	v_add_nc_u32_e32 v16, -1, v16
	v_cndmask_b32_e64 v6, v6, v9, s1
	v_min_u32_e32 v16, v9, v16
	v_cndmask_b32_e64 v7, v9, v7, s1
	v_cmp_gt_u32_e64 s2, s10, v6
	v_lshlrev_b32_e32 v16, 2, v16
	v_cmp_le_u32_e64 s4, s11, v7
	ds_read_b32 v16, v16
	s_waitcnt lgkmcnt(0)
	v_cndmask_b32_e64 v17, v16, v14, s1
	v_cndmask_b32_e64 v18, v15, v16, s1
	v_lshrrev_b32_e32 v16, 16, v16
	v_cmp_ge_u16_e64 s3, v17, v18
	s_and_b32 s2, s2, s3
	s_or_b32 s2, s4, s2
	v_cndmask_b32_e64 v9, v7, v6, s2
	v_cndmask_b32_e64 v19, s11, v8, s2
	v_add_nc_u32_e32 v9, 1, v9
	v_add_nc_u32_e32 v19, -1, v19
	v_cndmask_b32_e64 v6, v6, v9, s2
	v_min_u32_e32 v19, v9, v19
	v_cndmask_b32_e64 v7, v9, v7, s2
	v_cmp_gt_u32_e64 s3, s10, v6
	v_lshlrev_b32_e32 v19, 2, v19
	v_cmp_le_u32_e64 s5, s11, v7
	ds_read_b32 v19, v19
	s_waitcnt lgkmcnt(0)
	v_cndmask_b32_e64 v20, v19, v17, s2
	v_cndmask_b32_e64 v21, v18, v19, s2
	v_cmp_ge_u16_e64 s4, v20, v21
	s_and_b32 s3, s3, s4
	s_or_b32 s3, s5, s3
	v_cndmask_b32_e64 v9, v7, v6, s3
	v_cndmask_b32_e64 v22, s11, v8, s3
	v_add_nc_u32_e32 v9, 1, v9
	v_add_nc_u32_e32 v22, -1, v22
	v_cndmask_b32_e64 v6, v6, v9, s3
	v_min_u32_e32 v22, v9, v22
	v_cndmask_b32_e64 v7, v9, v7, s3
	v_cmp_gt_u32_e64 s4, s10, v6
	v_lshlrev_b32_e32 v22, 2, v22
	v_cmp_le_u32_e64 s6, s11, v7
	ds_read_b32 v22, v22
	s_waitcnt lgkmcnt(0)
	v_cndmask_b32_e64 v23, v22, v20, s3
	v_cndmask_b32_e64 v24, v21, v22, s3
	v_cmp_ge_u16_e64 s5, v23, v24
	s_and_b32 s4, s4, s5
	s_or_b32 s4, s6, s4
	v_cndmask_b32_e64 v9, v7, v6, s4
	v_cndmask_b32_e64 v25, s11, v8, s4
	v_add_nc_u32_e32 v9, 1, v9
	v_add_nc_u32_e32 v25, -1, v25
	v_cndmask_b32_e64 v6, v6, v9, s4
	v_min_u32_e32 v25, v9, v25
	v_cndmask_b32_e64 v7, v9, v7, s4
	v_lshrrev_b32_e32 v9, 16, v13
	v_lshlrev_b32_e32 v13, 16, v4
	v_cmp_gt_u32_e32 vcc_lo, s10, v6
	v_lshlrev_b32_e32 v25, 2, v25
	v_cmp_le_u32_e64 s6, s11, v7
	v_cndmask_b32_e64 v4, v9, v4, s0
	v_cndmask_b32_e64 v9, v3, v9, s0
	v_or_b32_sdwa v11, v13, v11 dst_sel:DWORD dst_unused:UNUSED_PAD src0_sel:DWORD src1_sel:WORD_0
	ds_read_b32 v25, v25
	v_lshlrev_b32_e32 v13, 16, v4
	v_lshlrev_b32_e32 v12, 16, v9
	v_cndmask_b32_e64 v9, v9, v16, s1
	s_waitcnt lgkmcnt(0)
	v_cndmask_b32_e64 v10, v25, v23, s4
	v_cndmask_b32_e64 v26, v24, v25, s4
	v_cmp_ge_u16_e64 s5, v10, v26
	s_and_b32 s5, vcc_lo, s5
	s_or_b32 vcc_lo, s6, s5
	v_cndmask_b32_e32 v3, v7, v6, vcc_lo
	v_cndmask_b32_e32 v8, s11, v8, vcc_lo
	v_add_nc_u32_e32 v27, 1, v3
	v_add_nc_u32_e32 v8, -1, v8
	v_cndmask_b32_e64 v3, v11, v5, s0
	v_or_b32_sdwa v5, v12, v15 dst_sel:DWORD dst_unused:UNUSED_PAD src0_sel:DWORD src1_sel:WORD_0
	v_or_b32_sdwa v11, v13, v14 dst_sel:DWORD dst_unused:UNUSED_PAD src0_sel:DWORD src1_sel:WORD_0
	v_cndmask_b32_e64 v12, v16, v4, s1
	v_min_u32_e32 v8, v27, v8
	v_lshrrev_b32_e32 v13, 16, v19
	v_lshrrev_b32_e32 v16, 16, v25
	v_cndmask_b32_e64 v4, v11, v5, s1
	v_lshlrev_b32_e32 v11, 16, v12
	v_lshlrev_b32_e32 v5, 2, v8
	;; [unrolled: 1-line block ×3, first 2 shown]
	v_cndmask_b32_e64 v12, v13, v12, s2
	v_cndmask_b32_e64 v9, v9, v13, s2
	v_or_b32_sdwa v11, v11, v17 dst_sel:DWORD dst_unused:UNUSED_PAD src0_sel:DWORD src1_sel:WORD_0
	ds_read_b32 v13, v5
	v_lshrrev_b32_e32 v5, 16, v22
	v_or_b32_sdwa v8, v8, v18 dst_sel:DWORD dst_unused:UNUSED_PAD src0_sel:DWORD src1_sel:WORD_0
	v_lshlrev_b32_e32 v14, 16, v9
	v_lshlrev_b32_e32 v15, 16, v12
	v_cndmask_b32_e32 v6, v6, v27, vcc_lo
	v_cndmask_b32_e64 v9, v9, v5, s3
	v_cndmask_b32_e64 v12, v5, v12, s3
	v_or_b32_sdwa v14, v14, v21 dst_sel:DWORD dst_unused:UNUSED_PAD src0_sel:DWORD src1_sel:WORD_0
	v_or_b32_sdwa v15, v15, v20 dst_sel:DWORD dst_unused:UNUSED_PAD src0_sel:DWORD src1_sel:WORD_0
	v_cndmask_b32_e64 v5, v11, v8, s2
	v_cndmask_b32_e64 v11, v9, v16, s4
	;; [unrolled: 1-line block ×3, first 2 shown]
	v_cndmask_b32_e32 v7, v27, v7, vcc_lo
	v_cndmask_b32_e64 v8, v15, v14, s3
	v_lshlrev_b32_e32 v9, 16, v9
	v_lshlrev_b32_e32 v14, 16, v11
	;; [unrolled: 1-line block ×4, first 2 shown]
	v_cmp_gt_u32_e64 s0, s10, v6
	s_waitcnt lgkmcnt(0)
	v_lshrrev_b32_e32 v17, 16, v13
	v_or_b32_sdwa v14, v14, v26 dst_sel:DWORD dst_unused:UNUSED_PAD src0_sel:DWORD src1_sel:WORD_0
	v_or_b32_sdwa v15, v15, v10 dst_sel:DWORD dst_unused:UNUSED_PAD src0_sel:DWORD src1_sel:WORD_0
	v_cndmask_b32_e32 v10, v13, v10, vcc_lo
	v_cndmask_b32_e32 v13, v26, v13, vcc_lo
	;; [unrolled: 1-line block ×4, first 2 shown]
	v_cmp_le_u32_e64 s2, s11, v7
	v_or_b32_sdwa v9, v9, v24 dst_sel:DWORD dst_unused:UNUSED_PAD src0_sel:DWORD src1_sel:WORD_0
	v_cmp_ge_u16_e64 s1, v10, v13
	v_lshlrev_b32_e32 v11, 16, v11
	v_lshlrev_b32_e32 v16, 16, v16
	v_or_b32_sdwa v12, v12, v23 dst_sel:DWORD dst_unused:UNUSED_PAD src0_sel:DWORD src1_sel:WORD_0
	s_and_b32 s0, s0, s1
	v_or_b32_sdwa v6, v11, v13 dst_sel:DWORD dst_unused:UNUSED_PAD src0_sel:DWORD src1_sel:WORD_0
	v_or_b32_sdwa v7, v16, v10 dst_sel:DWORD dst_unused:UNUSED_PAD src0_sel:DWORD src1_sel:WORD_0
	v_cndmask_b32_e32 v10, v15, v14, vcc_lo
	s_or_b32 vcc_lo, s2, s0
	v_cndmask_b32_e64 v9, v12, v9, s4
	v_cndmask_b32_e32 v11, v7, v6, vcc_lo
.LBB568_58:
	s_or_b32 exec_lo, exec_lo, s7
	v_and_b32_e32 v0, 0x3fc, v0
	s_sub_i32 s0, s16, s17
	s_cmpk_gt_u32 s0, 0x1fff
	s_mov_b32 s0, -1
	v_lshl_add_u32 v0, v1, 2, v0
	s_barrier
	buffer_gl0_inv
	ds_write2_b32 v0, v2, v3 offset1:1
	ds_write2_b32 v0, v4, v5 offset0:2 offset1:3
	ds_write2_b32 v0, v8, v9 offset0:4 offset1:5
	;; [unrolled: 1-line block ×3, first 2 shown]
	s_waitcnt lgkmcnt(0)
	s_cbranch_scc1 .LBB568_61
; %bb.59:
	s_andn2_b32 vcc_lo, exec_lo, s0
	s_cbranch_vccz .LBB568_62
.LBB568_60:
	buffer_gl0_inv
	s_endpgm
.LBB568_61:
	s_barrier
	s_cbranch_execnz .LBB568_60
.LBB568_62:
	s_barrier
	buffer_gl0_inv
	s_endpgm
	.section	.rodata,"a",@progbits
	.p2align	6, 0x0
	.amdhsa_kernel _ZN7rocprim17ROCPRIM_400000_NS6detail17trampoline_kernelINS0_14default_configENS1_21merge_config_selectorINS0_5tupleIJttEEENS0_10empty_typeEEEZNS1_10merge_implIS3_NS0_12zip_iteratorINS5_IJN6thrust23THRUST_200600_302600_NS6detail15normal_iteratorINSC_10device_ptrIKtEEEESI_EEEEESK_NSA_INS5_IJNSC_16discard_iteratorINSC_11use_defaultEEESN_EEEEEPS7_SQ_SQ_NSC_11hip_rocprim7__merge17predicate_wrapperIttNSC_4lessItEEEEEE10hipError_tPvRmT0_T1_T2_T3_T4_T5_mmT6_P12ihipStream_tbEUlT_E0_NS1_11comp_targetILNS1_3genE8ELNS1_11target_archE1030ELNS1_3gpuE2ELNS1_3repE0EEENS1_30default_config_static_selectorELNS0_4arch9wavefront6targetE0EEEvS11_
		.amdhsa_group_segment_fixed_size 33792
		.amdhsa_private_segment_fixed_size 0
		.amdhsa_kernarg_size 128
		.amdhsa_user_sgpr_count 6
		.amdhsa_user_sgpr_private_segment_buffer 1
		.amdhsa_user_sgpr_dispatch_ptr 0
		.amdhsa_user_sgpr_queue_ptr 0
		.amdhsa_user_sgpr_kernarg_segment_ptr 1
		.amdhsa_user_sgpr_dispatch_id 0
		.amdhsa_user_sgpr_flat_scratch_init 0
		.amdhsa_user_sgpr_private_segment_size 0
		.amdhsa_wavefront_size32 1
		.amdhsa_uses_dynamic_stack 0
		.amdhsa_system_sgpr_private_segment_wavefront_offset 0
		.amdhsa_system_sgpr_workgroup_id_x 1
		.amdhsa_system_sgpr_workgroup_id_y 0
		.amdhsa_system_sgpr_workgroup_id_z 0
		.amdhsa_system_sgpr_workgroup_info 0
		.amdhsa_system_vgpr_workitem_id 0
		.amdhsa_next_free_vgpr 28
		.amdhsa_next_free_sgpr 24
		.amdhsa_reserve_vcc 1
		.amdhsa_reserve_flat_scratch 0
		.amdhsa_float_round_mode_32 0
		.amdhsa_float_round_mode_16_64 0
		.amdhsa_float_denorm_mode_32 3
		.amdhsa_float_denorm_mode_16_64 3
		.amdhsa_dx10_clamp 1
		.amdhsa_ieee_mode 1
		.amdhsa_fp16_overflow 0
		.amdhsa_workgroup_processor_mode 1
		.amdhsa_memory_ordered 1
		.amdhsa_forward_progress 1
		.amdhsa_shared_vgpr_count 0
		.amdhsa_exception_fp_ieee_invalid_op 0
		.amdhsa_exception_fp_denorm_src 0
		.amdhsa_exception_fp_ieee_div_zero 0
		.amdhsa_exception_fp_ieee_overflow 0
		.amdhsa_exception_fp_ieee_underflow 0
		.amdhsa_exception_fp_ieee_inexact 0
		.amdhsa_exception_int_div_zero 0
	.end_amdhsa_kernel
	.section	.text._ZN7rocprim17ROCPRIM_400000_NS6detail17trampoline_kernelINS0_14default_configENS1_21merge_config_selectorINS0_5tupleIJttEEENS0_10empty_typeEEEZNS1_10merge_implIS3_NS0_12zip_iteratorINS5_IJN6thrust23THRUST_200600_302600_NS6detail15normal_iteratorINSC_10device_ptrIKtEEEESI_EEEEESK_NSA_INS5_IJNSC_16discard_iteratorINSC_11use_defaultEEESN_EEEEEPS7_SQ_SQ_NSC_11hip_rocprim7__merge17predicate_wrapperIttNSC_4lessItEEEEEE10hipError_tPvRmT0_T1_T2_T3_T4_T5_mmT6_P12ihipStream_tbEUlT_E0_NS1_11comp_targetILNS1_3genE8ELNS1_11target_archE1030ELNS1_3gpuE2ELNS1_3repE0EEENS1_30default_config_static_selectorELNS0_4arch9wavefront6targetE0EEEvS11_,"axG",@progbits,_ZN7rocprim17ROCPRIM_400000_NS6detail17trampoline_kernelINS0_14default_configENS1_21merge_config_selectorINS0_5tupleIJttEEENS0_10empty_typeEEEZNS1_10merge_implIS3_NS0_12zip_iteratorINS5_IJN6thrust23THRUST_200600_302600_NS6detail15normal_iteratorINSC_10device_ptrIKtEEEESI_EEEEESK_NSA_INS5_IJNSC_16discard_iteratorINSC_11use_defaultEEESN_EEEEEPS7_SQ_SQ_NSC_11hip_rocprim7__merge17predicate_wrapperIttNSC_4lessItEEEEEE10hipError_tPvRmT0_T1_T2_T3_T4_T5_mmT6_P12ihipStream_tbEUlT_E0_NS1_11comp_targetILNS1_3genE8ELNS1_11target_archE1030ELNS1_3gpuE2ELNS1_3repE0EEENS1_30default_config_static_selectorELNS0_4arch9wavefront6targetE0EEEvS11_,comdat
.Lfunc_end568:
	.size	_ZN7rocprim17ROCPRIM_400000_NS6detail17trampoline_kernelINS0_14default_configENS1_21merge_config_selectorINS0_5tupleIJttEEENS0_10empty_typeEEEZNS1_10merge_implIS3_NS0_12zip_iteratorINS5_IJN6thrust23THRUST_200600_302600_NS6detail15normal_iteratorINSC_10device_ptrIKtEEEESI_EEEEESK_NSA_INS5_IJNSC_16discard_iteratorINSC_11use_defaultEEESN_EEEEEPS7_SQ_SQ_NSC_11hip_rocprim7__merge17predicate_wrapperIttNSC_4lessItEEEEEE10hipError_tPvRmT0_T1_T2_T3_T4_T5_mmT6_P12ihipStream_tbEUlT_E0_NS1_11comp_targetILNS1_3genE8ELNS1_11target_archE1030ELNS1_3gpuE2ELNS1_3repE0EEENS1_30default_config_static_selectorELNS0_4arch9wavefront6targetE0EEEvS11_, .Lfunc_end568-_ZN7rocprim17ROCPRIM_400000_NS6detail17trampoline_kernelINS0_14default_configENS1_21merge_config_selectorINS0_5tupleIJttEEENS0_10empty_typeEEEZNS1_10merge_implIS3_NS0_12zip_iteratorINS5_IJN6thrust23THRUST_200600_302600_NS6detail15normal_iteratorINSC_10device_ptrIKtEEEESI_EEEEESK_NSA_INS5_IJNSC_16discard_iteratorINSC_11use_defaultEEESN_EEEEEPS7_SQ_SQ_NSC_11hip_rocprim7__merge17predicate_wrapperIttNSC_4lessItEEEEEE10hipError_tPvRmT0_T1_T2_T3_T4_T5_mmT6_P12ihipStream_tbEUlT_E0_NS1_11comp_targetILNS1_3genE8ELNS1_11target_archE1030ELNS1_3gpuE2ELNS1_3repE0EEENS1_30default_config_static_selectorELNS0_4arch9wavefront6targetE0EEEvS11_
                                        ; -- End function
	.set _ZN7rocprim17ROCPRIM_400000_NS6detail17trampoline_kernelINS0_14default_configENS1_21merge_config_selectorINS0_5tupleIJttEEENS0_10empty_typeEEEZNS1_10merge_implIS3_NS0_12zip_iteratorINS5_IJN6thrust23THRUST_200600_302600_NS6detail15normal_iteratorINSC_10device_ptrIKtEEEESI_EEEEESK_NSA_INS5_IJNSC_16discard_iteratorINSC_11use_defaultEEESN_EEEEEPS7_SQ_SQ_NSC_11hip_rocprim7__merge17predicate_wrapperIttNSC_4lessItEEEEEE10hipError_tPvRmT0_T1_T2_T3_T4_T5_mmT6_P12ihipStream_tbEUlT_E0_NS1_11comp_targetILNS1_3genE8ELNS1_11target_archE1030ELNS1_3gpuE2ELNS1_3repE0EEENS1_30default_config_static_selectorELNS0_4arch9wavefront6targetE0EEEvS11_.num_vgpr, 28
	.set _ZN7rocprim17ROCPRIM_400000_NS6detail17trampoline_kernelINS0_14default_configENS1_21merge_config_selectorINS0_5tupleIJttEEENS0_10empty_typeEEEZNS1_10merge_implIS3_NS0_12zip_iteratorINS5_IJN6thrust23THRUST_200600_302600_NS6detail15normal_iteratorINSC_10device_ptrIKtEEEESI_EEEEESK_NSA_INS5_IJNSC_16discard_iteratorINSC_11use_defaultEEESN_EEEEEPS7_SQ_SQ_NSC_11hip_rocprim7__merge17predicate_wrapperIttNSC_4lessItEEEEEE10hipError_tPvRmT0_T1_T2_T3_T4_T5_mmT6_P12ihipStream_tbEUlT_E0_NS1_11comp_targetILNS1_3genE8ELNS1_11target_archE1030ELNS1_3gpuE2ELNS1_3repE0EEENS1_30default_config_static_selectorELNS0_4arch9wavefront6targetE0EEEvS11_.num_agpr, 0
	.set _ZN7rocprim17ROCPRIM_400000_NS6detail17trampoline_kernelINS0_14default_configENS1_21merge_config_selectorINS0_5tupleIJttEEENS0_10empty_typeEEEZNS1_10merge_implIS3_NS0_12zip_iteratorINS5_IJN6thrust23THRUST_200600_302600_NS6detail15normal_iteratorINSC_10device_ptrIKtEEEESI_EEEEESK_NSA_INS5_IJNSC_16discard_iteratorINSC_11use_defaultEEESN_EEEEEPS7_SQ_SQ_NSC_11hip_rocprim7__merge17predicate_wrapperIttNSC_4lessItEEEEEE10hipError_tPvRmT0_T1_T2_T3_T4_T5_mmT6_P12ihipStream_tbEUlT_E0_NS1_11comp_targetILNS1_3genE8ELNS1_11target_archE1030ELNS1_3gpuE2ELNS1_3repE0EEENS1_30default_config_static_selectorELNS0_4arch9wavefront6targetE0EEEvS11_.numbered_sgpr, 24
	.set _ZN7rocprim17ROCPRIM_400000_NS6detail17trampoline_kernelINS0_14default_configENS1_21merge_config_selectorINS0_5tupleIJttEEENS0_10empty_typeEEEZNS1_10merge_implIS3_NS0_12zip_iteratorINS5_IJN6thrust23THRUST_200600_302600_NS6detail15normal_iteratorINSC_10device_ptrIKtEEEESI_EEEEESK_NSA_INS5_IJNSC_16discard_iteratorINSC_11use_defaultEEESN_EEEEEPS7_SQ_SQ_NSC_11hip_rocprim7__merge17predicate_wrapperIttNSC_4lessItEEEEEE10hipError_tPvRmT0_T1_T2_T3_T4_T5_mmT6_P12ihipStream_tbEUlT_E0_NS1_11comp_targetILNS1_3genE8ELNS1_11target_archE1030ELNS1_3gpuE2ELNS1_3repE0EEENS1_30default_config_static_selectorELNS0_4arch9wavefront6targetE0EEEvS11_.num_named_barrier, 0
	.set _ZN7rocprim17ROCPRIM_400000_NS6detail17trampoline_kernelINS0_14default_configENS1_21merge_config_selectorINS0_5tupleIJttEEENS0_10empty_typeEEEZNS1_10merge_implIS3_NS0_12zip_iteratorINS5_IJN6thrust23THRUST_200600_302600_NS6detail15normal_iteratorINSC_10device_ptrIKtEEEESI_EEEEESK_NSA_INS5_IJNSC_16discard_iteratorINSC_11use_defaultEEESN_EEEEEPS7_SQ_SQ_NSC_11hip_rocprim7__merge17predicate_wrapperIttNSC_4lessItEEEEEE10hipError_tPvRmT0_T1_T2_T3_T4_T5_mmT6_P12ihipStream_tbEUlT_E0_NS1_11comp_targetILNS1_3genE8ELNS1_11target_archE1030ELNS1_3gpuE2ELNS1_3repE0EEENS1_30default_config_static_selectorELNS0_4arch9wavefront6targetE0EEEvS11_.private_seg_size, 0
	.set _ZN7rocprim17ROCPRIM_400000_NS6detail17trampoline_kernelINS0_14default_configENS1_21merge_config_selectorINS0_5tupleIJttEEENS0_10empty_typeEEEZNS1_10merge_implIS3_NS0_12zip_iteratorINS5_IJN6thrust23THRUST_200600_302600_NS6detail15normal_iteratorINSC_10device_ptrIKtEEEESI_EEEEESK_NSA_INS5_IJNSC_16discard_iteratorINSC_11use_defaultEEESN_EEEEEPS7_SQ_SQ_NSC_11hip_rocprim7__merge17predicate_wrapperIttNSC_4lessItEEEEEE10hipError_tPvRmT0_T1_T2_T3_T4_T5_mmT6_P12ihipStream_tbEUlT_E0_NS1_11comp_targetILNS1_3genE8ELNS1_11target_archE1030ELNS1_3gpuE2ELNS1_3repE0EEENS1_30default_config_static_selectorELNS0_4arch9wavefront6targetE0EEEvS11_.uses_vcc, 1
	.set _ZN7rocprim17ROCPRIM_400000_NS6detail17trampoline_kernelINS0_14default_configENS1_21merge_config_selectorINS0_5tupleIJttEEENS0_10empty_typeEEEZNS1_10merge_implIS3_NS0_12zip_iteratorINS5_IJN6thrust23THRUST_200600_302600_NS6detail15normal_iteratorINSC_10device_ptrIKtEEEESI_EEEEESK_NSA_INS5_IJNSC_16discard_iteratorINSC_11use_defaultEEESN_EEEEEPS7_SQ_SQ_NSC_11hip_rocprim7__merge17predicate_wrapperIttNSC_4lessItEEEEEE10hipError_tPvRmT0_T1_T2_T3_T4_T5_mmT6_P12ihipStream_tbEUlT_E0_NS1_11comp_targetILNS1_3genE8ELNS1_11target_archE1030ELNS1_3gpuE2ELNS1_3repE0EEENS1_30default_config_static_selectorELNS0_4arch9wavefront6targetE0EEEvS11_.uses_flat_scratch, 0
	.set _ZN7rocprim17ROCPRIM_400000_NS6detail17trampoline_kernelINS0_14default_configENS1_21merge_config_selectorINS0_5tupleIJttEEENS0_10empty_typeEEEZNS1_10merge_implIS3_NS0_12zip_iteratorINS5_IJN6thrust23THRUST_200600_302600_NS6detail15normal_iteratorINSC_10device_ptrIKtEEEESI_EEEEESK_NSA_INS5_IJNSC_16discard_iteratorINSC_11use_defaultEEESN_EEEEEPS7_SQ_SQ_NSC_11hip_rocprim7__merge17predicate_wrapperIttNSC_4lessItEEEEEE10hipError_tPvRmT0_T1_T2_T3_T4_T5_mmT6_P12ihipStream_tbEUlT_E0_NS1_11comp_targetILNS1_3genE8ELNS1_11target_archE1030ELNS1_3gpuE2ELNS1_3repE0EEENS1_30default_config_static_selectorELNS0_4arch9wavefront6targetE0EEEvS11_.has_dyn_sized_stack, 0
	.set _ZN7rocprim17ROCPRIM_400000_NS6detail17trampoline_kernelINS0_14default_configENS1_21merge_config_selectorINS0_5tupleIJttEEENS0_10empty_typeEEEZNS1_10merge_implIS3_NS0_12zip_iteratorINS5_IJN6thrust23THRUST_200600_302600_NS6detail15normal_iteratorINSC_10device_ptrIKtEEEESI_EEEEESK_NSA_INS5_IJNSC_16discard_iteratorINSC_11use_defaultEEESN_EEEEEPS7_SQ_SQ_NSC_11hip_rocprim7__merge17predicate_wrapperIttNSC_4lessItEEEEEE10hipError_tPvRmT0_T1_T2_T3_T4_T5_mmT6_P12ihipStream_tbEUlT_E0_NS1_11comp_targetILNS1_3genE8ELNS1_11target_archE1030ELNS1_3gpuE2ELNS1_3repE0EEENS1_30default_config_static_selectorELNS0_4arch9wavefront6targetE0EEEvS11_.has_recursion, 0
	.set _ZN7rocprim17ROCPRIM_400000_NS6detail17trampoline_kernelINS0_14default_configENS1_21merge_config_selectorINS0_5tupleIJttEEENS0_10empty_typeEEEZNS1_10merge_implIS3_NS0_12zip_iteratorINS5_IJN6thrust23THRUST_200600_302600_NS6detail15normal_iteratorINSC_10device_ptrIKtEEEESI_EEEEESK_NSA_INS5_IJNSC_16discard_iteratorINSC_11use_defaultEEESN_EEEEEPS7_SQ_SQ_NSC_11hip_rocprim7__merge17predicate_wrapperIttNSC_4lessItEEEEEE10hipError_tPvRmT0_T1_T2_T3_T4_T5_mmT6_P12ihipStream_tbEUlT_E0_NS1_11comp_targetILNS1_3genE8ELNS1_11target_archE1030ELNS1_3gpuE2ELNS1_3repE0EEENS1_30default_config_static_selectorELNS0_4arch9wavefront6targetE0EEEvS11_.has_indirect_call, 0
	.section	.AMDGPU.csdata,"",@progbits
; Kernel info:
; codeLenInByte = 2880
; TotalNumSgprs: 26
; NumVgprs: 28
; ScratchSize: 0
; MemoryBound: 0
; FloatMode: 240
; IeeeMode: 1
; LDSByteSize: 33792 bytes/workgroup (compile time only)
; SGPRBlocks: 0
; VGPRBlocks: 3
; NumSGPRsForWavesPerEU: 26
; NumVGPRsForWavesPerEU: 28
; Occupancy: 16
; WaveLimiterHint : 1
; COMPUTE_PGM_RSRC2:SCRATCH_EN: 0
; COMPUTE_PGM_RSRC2:USER_SGPR: 6
; COMPUTE_PGM_RSRC2:TRAP_HANDLER: 0
; COMPUTE_PGM_RSRC2:TGID_X_EN: 1
; COMPUTE_PGM_RSRC2:TGID_Y_EN: 0
; COMPUTE_PGM_RSRC2:TGID_Z_EN: 0
; COMPUTE_PGM_RSRC2:TIDIG_COMP_CNT: 0
	.section	.text._ZN7rocprim17ROCPRIM_400000_NS6detail17trampoline_kernelINS0_14default_configENS1_21merge_config_selectorINS0_5tupleIJxxEEENS0_10empty_typeEEEZNS1_10merge_implIS3_NS0_12zip_iteratorINS5_IJN6thrust23THRUST_200600_302600_NS6detail15normal_iteratorINSC_10device_ptrIKxEEEESI_EEEEESK_NSA_INS5_IJNSC_16discard_iteratorINSC_11use_defaultEEESN_EEEEEPS7_SQ_SQ_NSC_11hip_rocprim7__merge17predicate_wrapperIxxNSC_4lessIxEEEEEE10hipError_tPvRmT0_T1_T2_T3_T4_T5_mmT6_P12ihipStream_tbEUlT_E_NS1_11comp_targetILNS1_3genE0ELNS1_11target_archE4294967295ELNS1_3gpuE0ELNS1_3repE0EEENS1_30default_config_static_selectorELNS0_4arch9wavefront6targetE0EEEvS11_,"axG",@progbits,_ZN7rocprim17ROCPRIM_400000_NS6detail17trampoline_kernelINS0_14default_configENS1_21merge_config_selectorINS0_5tupleIJxxEEENS0_10empty_typeEEEZNS1_10merge_implIS3_NS0_12zip_iteratorINS5_IJN6thrust23THRUST_200600_302600_NS6detail15normal_iteratorINSC_10device_ptrIKxEEEESI_EEEEESK_NSA_INS5_IJNSC_16discard_iteratorINSC_11use_defaultEEESN_EEEEEPS7_SQ_SQ_NSC_11hip_rocprim7__merge17predicate_wrapperIxxNSC_4lessIxEEEEEE10hipError_tPvRmT0_T1_T2_T3_T4_T5_mmT6_P12ihipStream_tbEUlT_E_NS1_11comp_targetILNS1_3genE0ELNS1_11target_archE4294967295ELNS1_3gpuE0ELNS1_3repE0EEENS1_30default_config_static_selectorELNS0_4arch9wavefront6targetE0EEEvS11_,comdat
	.protected	_ZN7rocprim17ROCPRIM_400000_NS6detail17trampoline_kernelINS0_14default_configENS1_21merge_config_selectorINS0_5tupleIJxxEEENS0_10empty_typeEEEZNS1_10merge_implIS3_NS0_12zip_iteratorINS5_IJN6thrust23THRUST_200600_302600_NS6detail15normal_iteratorINSC_10device_ptrIKxEEEESI_EEEEESK_NSA_INS5_IJNSC_16discard_iteratorINSC_11use_defaultEEESN_EEEEEPS7_SQ_SQ_NSC_11hip_rocprim7__merge17predicate_wrapperIxxNSC_4lessIxEEEEEE10hipError_tPvRmT0_T1_T2_T3_T4_T5_mmT6_P12ihipStream_tbEUlT_E_NS1_11comp_targetILNS1_3genE0ELNS1_11target_archE4294967295ELNS1_3gpuE0ELNS1_3repE0EEENS1_30default_config_static_selectorELNS0_4arch9wavefront6targetE0EEEvS11_ ; -- Begin function _ZN7rocprim17ROCPRIM_400000_NS6detail17trampoline_kernelINS0_14default_configENS1_21merge_config_selectorINS0_5tupleIJxxEEENS0_10empty_typeEEEZNS1_10merge_implIS3_NS0_12zip_iteratorINS5_IJN6thrust23THRUST_200600_302600_NS6detail15normal_iteratorINSC_10device_ptrIKxEEEESI_EEEEESK_NSA_INS5_IJNSC_16discard_iteratorINSC_11use_defaultEEESN_EEEEEPS7_SQ_SQ_NSC_11hip_rocprim7__merge17predicate_wrapperIxxNSC_4lessIxEEEEEE10hipError_tPvRmT0_T1_T2_T3_T4_T5_mmT6_P12ihipStream_tbEUlT_E_NS1_11comp_targetILNS1_3genE0ELNS1_11target_archE4294967295ELNS1_3gpuE0ELNS1_3repE0EEENS1_30default_config_static_selectorELNS0_4arch9wavefront6targetE0EEEvS11_
	.globl	_ZN7rocprim17ROCPRIM_400000_NS6detail17trampoline_kernelINS0_14default_configENS1_21merge_config_selectorINS0_5tupleIJxxEEENS0_10empty_typeEEEZNS1_10merge_implIS3_NS0_12zip_iteratorINS5_IJN6thrust23THRUST_200600_302600_NS6detail15normal_iteratorINSC_10device_ptrIKxEEEESI_EEEEESK_NSA_INS5_IJNSC_16discard_iteratorINSC_11use_defaultEEESN_EEEEEPS7_SQ_SQ_NSC_11hip_rocprim7__merge17predicate_wrapperIxxNSC_4lessIxEEEEEE10hipError_tPvRmT0_T1_T2_T3_T4_T5_mmT6_P12ihipStream_tbEUlT_E_NS1_11comp_targetILNS1_3genE0ELNS1_11target_archE4294967295ELNS1_3gpuE0ELNS1_3repE0EEENS1_30default_config_static_selectorELNS0_4arch9wavefront6targetE0EEEvS11_
	.p2align	8
	.type	_ZN7rocprim17ROCPRIM_400000_NS6detail17trampoline_kernelINS0_14default_configENS1_21merge_config_selectorINS0_5tupleIJxxEEENS0_10empty_typeEEEZNS1_10merge_implIS3_NS0_12zip_iteratorINS5_IJN6thrust23THRUST_200600_302600_NS6detail15normal_iteratorINSC_10device_ptrIKxEEEESI_EEEEESK_NSA_INS5_IJNSC_16discard_iteratorINSC_11use_defaultEEESN_EEEEEPS7_SQ_SQ_NSC_11hip_rocprim7__merge17predicate_wrapperIxxNSC_4lessIxEEEEEE10hipError_tPvRmT0_T1_T2_T3_T4_T5_mmT6_P12ihipStream_tbEUlT_E_NS1_11comp_targetILNS1_3genE0ELNS1_11target_archE4294967295ELNS1_3gpuE0ELNS1_3repE0EEENS1_30default_config_static_selectorELNS0_4arch9wavefront6targetE0EEEvS11_,@function
_ZN7rocprim17ROCPRIM_400000_NS6detail17trampoline_kernelINS0_14default_configENS1_21merge_config_selectorINS0_5tupleIJxxEEENS0_10empty_typeEEEZNS1_10merge_implIS3_NS0_12zip_iteratorINS5_IJN6thrust23THRUST_200600_302600_NS6detail15normal_iteratorINSC_10device_ptrIKxEEEESI_EEEEESK_NSA_INS5_IJNSC_16discard_iteratorINSC_11use_defaultEEESN_EEEEEPS7_SQ_SQ_NSC_11hip_rocprim7__merge17predicate_wrapperIxxNSC_4lessIxEEEEEE10hipError_tPvRmT0_T1_T2_T3_T4_T5_mmT6_P12ihipStream_tbEUlT_E_NS1_11comp_targetILNS1_3genE0ELNS1_11target_archE4294967295ELNS1_3gpuE0ELNS1_3repE0EEENS1_30default_config_static_selectorELNS0_4arch9wavefront6targetE0EEEvS11_: ; @_ZN7rocprim17ROCPRIM_400000_NS6detail17trampoline_kernelINS0_14default_configENS1_21merge_config_selectorINS0_5tupleIJxxEEENS0_10empty_typeEEEZNS1_10merge_implIS3_NS0_12zip_iteratorINS5_IJN6thrust23THRUST_200600_302600_NS6detail15normal_iteratorINSC_10device_ptrIKxEEEESI_EEEEESK_NSA_INS5_IJNSC_16discard_iteratorINSC_11use_defaultEEESN_EEEEEPS7_SQ_SQ_NSC_11hip_rocprim7__merge17predicate_wrapperIxxNSC_4lessIxEEEEEE10hipError_tPvRmT0_T1_T2_T3_T4_T5_mmT6_P12ihipStream_tbEUlT_E_NS1_11comp_targetILNS1_3genE0ELNS1_11target_archE4294967295ELNS1_3gpuE0ELNS1_3repE0EEENS1_30default_config_static_selectorELNS0_4arch9wavefront6targetE0EEEvS11_
; %bb.0:
	.section	.rodata,"a",@progbits
	.p2align	6, 0x0
	.amdhsa_kernel _ZN7rocprim17ROCPRIM_400000_NS6detail17trampoline_kernelINS0_14default_configENS1_21merge_config_selectorINS0_5tupleIJxxEEENS0_10empty_typeEEEZNS1_10merge_implIS3_NS0_12zip_iteratorINS5_IJN6thrust23THRUST_200600_302600_NS6detail15normal_iteratorINSC_10device_ptrIKxEEEESI_EEEEESK_NSA_INS5_IJNSC_16discard_iteratorINSC_11use_defaultEEESN_EEEEEPS7_SQ_SQ_NSC_11hip_rocprim7__merge17predicate_wrapperIxxNSC_4lessIxEEEEEE10hipError_tPvRmT0_T1_T2_T3_T4_T5_mmT6_P12ihipStream_tbEUlT_E_NS1_11comp_targetILNS1_3genE0ELNS1_11target_archE4294967295ELNS1_3gpuE0ELNS1_3repE0EEENS1_30default_config_static_selectorELNS0_4arch9wavefront6targetE0EEEvS11_
		.amdhsa_group_segment_fixed_size 0
		.amdhsa_private_segment_fixed_size 0
		.amdhsa_kernarg_size 64
		.amdhsa_user_sgpr_count 6
		.amdhsa_user_sgpr_private_segment_buffer 1
		.amdhsa_user_sgpr_dispatch_ptr 0
		.amdhsa_user_sgpr_queue_ptr 0
		.amdhsa_user_sgpr_kernarg_segment_ptr 1
		.amdhsa_user_sgpr_dispatch_id 0
		.amdhsa_user_sgpr_flat_scratch_init 0
		.amdhsa_user_sgpr_private_segment_size 0
		.amdhsa_wavefront_size32 1
		.amdhsa_uses_dynamic_stack 0
		.amdhsa_system_sgpr_private_segment_wavefront_offset 0
		.amdhsa_system_sgpr_workgroup_id_x 1
		.amdhsa_system_sgpr_workgroup_id_y 0
		.amdhsa_system_sgpr_workgroup_id_z 0
		.amdhsa_system_sgpr_workgroup_info 0
		.amdhsa_system_vgpr_workitem_id 0
		.amdhsa_next_free_vgpr 1
		.amdhsa_next_free_sgpr 1
		.amdhsa_reserve_vcc 0
		.amdhsa_reserve_flat_scratch 0
		.amdhsa_float_round_mode_32 0
		.amdhsa_float_round_mode_16_64 0
		.amdhsa_float_denorm_mode_32 3
		.amdhsa_float_denorm_mode_16_64 3
		.amdhsa_dx10_clamp 1
		.amdhsa_ieee_mode 1
		.amdhsa_fp16_overflow 0
		.amdhsa_workgroup_processor_mode 1
		.amdhsa_memory_ordered 1
		.amdhsa_forward_progress 1
		.amdhsa_shared_vgpr_count 0
		.amdhsa_exception_fp_ieee_invalid_op 0
		.amdhsa_exception_fp_denorm_src 0
		.amdhsa_exception_fp_ieee_div_zero 0
		.amdhsa_exception_fp_ieee_overflow 0
		.amdhsa_exception_fp_ieee_underflow 0
		.amdhsa_exception_fp_ieee_inexact 0
		.amdhsa_exception_int_div_zero 0
	.end_amdhsa_kernel
	.section	.text._ZN7rocprim17ROCPRIM_400000_NS6detail17trampoline_kernelINS0_14default_configENS1_21merge_config_selectorINS0_5tupleIJxxEEENS0_10empty_typeEEEZNS1_10merge_implIS3_NS0_12zip_iteratorINS5_IJN6thrust23THRUST_200600_302600_NS6detail15normal_iteratorINSC_10device_ptrIKxEEEESI_EEEEESK_NSA_INS5_IJNSC_16discard_iteratorINSC_11use_defaultEEESN_EEEEEPS7_SQ_SQ_NSC_11hip_rocprim7__merge17predicate_wrapperIxxNSC_4lessIxEEEEEE10hipError_tPvRmT0_T1_T2_T3_T4_T5_mmT6_P12ihipStream_tbEUlT_E_NS1_11comp_targetILNS1_3genE0ELNS1_11target_archE4294967295ELNS1_3gpuE0ELNS1_3repE0EEENS1_30default_config_static_selectorELNS0_4arch9wavefront6targetE0EEEvS11_,"axG",@progbits,_ZN7rocprim17ROCPRIM_400000_NS6detail17trampoline_kernelINS0_14default_configENS1_21merge_config_selectorINS0_5tupleIJxxEEENS0_10empty_typeEEEZNS1_10merge_implIS3_NS0_12zip_iteratorINS5_IJN6thrust23THRUST_200600_302600_NS6detail15normal_iteratorINSC_10device_ptrIKxEEEESI_EEEEESK_NSA_INS5_IJNSC_16discard_iteratorINSC_11use_defaultEEESN_EEEEEPS7_SQ_SQ_NSC_11hip_rocprim7__merge17predicate_wrapperIxxNSC_4lessIxEEEEEE10hipError_tPvRmT0_T1_T2_T3_T4_T5_mmT6_P12ihipStream_tbEUlT_E_NS1_11comp_targetILNS1_3genE0ELNS1_11target_archE4294967295ELNS1_3gpuE0ELNS1_3repE0EEENS1_30default_config_static_selectorELNS0_4arch9wavefront6targetE0EEEvS11_,comdat
.Lfunc_end569:
	.size	_ZN7rocprim17ROCPRIM_400000_NS6detail17trampoline_kernelINS0_14default_configENS1_21merge_config_selectorINS0_5tupleIJxxEEENS0_10empty_typeEEEZNS1_10merge_implIS3_NS0_12zip_iteratorINS5_IJN6thrust23THRUST_200600_302600_NS6detail15normal_iteratorINSC_10device_ptrIKxEEEESI_EEEEESK_NSA_INS5_IJNSC_16discard_iteratorINSC_11use_defaultEEESN_EEEEEPS7_SQ_SQ_NSC_11hip_rocprim7__merge17predicate_wrapperIxxNSC_4lessIxEEEEEE10hipError_tPvRmT0_T1_T2_T3_T4_T5_mmT6_P12ihipStream_tbEUlT_E_NS1_11comp_targetILNS1_3genE0ELNS1_11target_archE4294967295ELNS1_3gpuE0ELNS1_3repE0EEENS1_30default_config_static_selectorELNS0_4arch9wavefront6targetE0EEEvS11_, .Lfunc_end569-_ZN7rocprim17ROCPRIM_400000_NS6detail17trampoline_kernelINS0_14default_configENS1_21merge_config_selectorINS0_5tupleIJxxEEENS0_10empty_typeEEEZNS1_10merge_implIS3_NS0_12zip_iteratorINS5_IJN6thrust23THRUST_200600_302600_NS6detail15normal_iteratorINSC_10device_ptrIKxEEEESI_EEEEESK_NSA_INS5_IJNSC_16discard_iteratorINSC_11use_defaultEEESN_EEEEEPS7_SQ_SQ_NSC_11hip_rocprim7__merge17predicate_wrapperIxxNSC_4lessIxEEEEEE10hipError_tPvRmT0_T1_T2_T3_T4_T5_mmT6_P12ihipStream_tbEUlT_E_NS1_11comp_targetILNS1_3genE0ELNS1_11target_archE4294967295ELNS1_3gpuE0ELNS1_3repE0EEENS1_30default_config_static_selectorELNS0_4arch9wavefront6targetE0EEEvS11_
                                        ; -- End function
	.set _ZN7rocprim17ROCPRIM_400000_NS6detail17trampoline_kernelINS0_14default_configENS1_21merge_config_selectorINS0_5tupleIJxxEEENS0_10empty_typeEEEZNS1_10merge_implIS3_NS0_12zip_iteratorINS5_IJN6thrust23THRUST_200600_302600_NS6detail15normal_iteratorINSC_10device_ptrIKxEEEESI_EEEEESK_NSA_INS5_IJNSC_16discard_iteratorINSC_11use_defaultEEESN_EEEEEPS7_SQ_SQ_NSC_11hip_rocprim7__merge17predicate_wrapperIxxNSC_4lessIxEEEEEE10hipError_tPvRmT0_T1_T2_T3_T4_T5_mmT6_P12ihipStream_tbEUlT_E_NS1_11comp_targetILNS1_3genE0ELNS1_11target_archE4294967295ELNS1_3gpuE0ELNS1_3repE0EEENS1_30default_config_static_selectorELNS0_4arch9wavefront6targetE0EEEvS11_.num_vgpr, 0
	.set _ZN7rocprim17ROCPRIM_400000_NS6detail17trampoline_kernelINS0_14default_configENS1_21merge_config_selectorINS0_5tupleIJxxEEENS0_10empty_typeEEEZNS1_10merge_implIS3_NS0_12zip_iteratorINS5_IJN6thrust23THRUST_200600_302600_NS6detail15normal_iteratorINSC_10device_ptrIKxEEEESI_EEEEESK_NSA_INS5_IJNSC_16discard_iteratorINSC_11use_defaultEEESN_EEEEEPS7_SQ_SQ_NSC_11hip_rocprim7__merge17predicate_wrapperIxxNSC_4lessIxEEEEEE10hipError_tPvRmT0_T1_T2_T3_T4_T5_mmT6_P12ihipStream_tbEUlT_E_NS1_11comp_targetILNS1_3genE0ELNS1_11target_archE4294967295ELNS1_3gpuE0ELNS1_3repE0EEENS1_30default_config_static_selectorELNS0_4arch9wavefront6targetE0EEEvS11_.num_agpr, 0
	.set _ZN7rocprim17ROCPRIM_400000_NS6detail17trampoline_kernelINS0_14default_configENS1_21merge_config_selectorINS0_5tupleIJxxEEENS0_10empty_typeEEEZNS1_10merge_implIS3_NS0_12zip_iteratorINS5_IJN6thrust23THRUST_200600_302600_NS6detail15normal_iteratorINSC_10device_ptrIKxEEEESI_EEEEESK_NSA_INS5_IJNSC_16discard_iteratorINSC_11use_defaultEEESN_EEEEEPS7_SQ_SQ_NSC_11hip_rocprim7__merge17predicate_wrapperIxxNSC_4lessIxEEEEEE10hipError_tPvRmT0_T1_T2_T3_T4_T5_mmT6_P12ihipStream_tbEUlT_E_NS1_11comp_targetILNS1_3genE0ELNS1_11target_archE4294967295ELNS1_3gpuE0ELNS1_3repE0EEENS1_30default_config_static_selectorELNS0_4arch9wavefront6targetE0EEEvS11_.numbered_sgpr, 0
	.set _ZN7rocprim17ROCPRIM_400000_NS6detail17trampoline_kernelINS0_14default_configENS1_21merge_config_selectorINS0_5tupleIJxxEEENS0_10empty_typeEEEZNS1_10merge_implIS3_NS0_12zip_iteratorINS5_IJN6thrust23THRUST_200600_302600_NS6detail15normal_iteratorINSC_10device_ptrIKxEEEESI_EEEEESK_NSA_INS5_IJNSC_16discard_iteratorINSC_11use_defaultEEESN_EEEEEPS7_SQ_SQ_NSC_11hip_rocprim7__merge17predicate_wrapperIxxNSC_4lessIxEEEEEE10hipError_tPvRmT0_T1_T2_T3_T4_T5_mmT6_P12ihipStream_tbEUlT_E_NS1_11comp_targetILNS1_3genE0ELNS1_11target_archE4294967295ELNS1_3gpuE0ELNS1_3repE0EEENS1_30default_config_static_selectorELNS0_4arch9wavefront6targetE0EEEvS11_.num_named_barrier, 0
	.set _ZN7rocprim17ROCPRIM_400000_NS6detail17trampoline_kernelINS0_14default_configENS1_21merge_config_selectorINS0_5tupleIJxxEEENS0_10empty_typeEEEZNS1_10merge_implIS3_NS0_12zip_iteratorINS5_IJN6thrust23THRUST_200600_302600_NS6detail15normal_iteratorINSC_10device_ptrIKxEEEESI_EEEEESK_NSA_INS5_IJNSC_16discard_iteratorINSC_11use_defaultEEESN_EEEEEPS7_SQ_SQ_NSC_11hip_rocprim7__merge17predicate_wrapperIxxNSC_4lessIxEEEEEE10hipError_tPvRmT0_T1_T2_T3_T4_T5_mmT6_P12ihipStream_tbEUlT_E_NS1_11comp_targetILNS1_3genE0ELNS1_11target_archE4294967295ELNS1_3gpuE0ELNS1_3repE0EEENS1_30default_config_static_selectorELNS0_4arch9wavefront6targetE0EEEvS11_.private_seg_size, 0
	.set _ZN7rocprim17ROCPRIM_400000_NS6detail17trampoline_kernelINS0_14default_configENS1_21merge_config_selectorINS0_5tupleIJxxEEENS0_10empty_typeEEEZNS1_10merge_implIS3_NS0_12zip_iteratorINS5_IJN6thrust23THRUST_200600_302600_NS6detail15normal_iteratorINSC_10device_ptrIKxEEEESI_EEEEESK_NSA_INS5_IJNSC_16discard_iteratorINSC_11use_defaultEEESN_EEEEEPS7_SQ_SQ_NSC_11hip_rocprim7__merge17predicate_wrapperIxxNSC_4lessIxEEEEEE10hipError_tPvRmT0_T1_T2_T3_T4_T5_mmT6_P12ihipStream_tbEUlT_E_NS1_11comp_targetILNS1_3genE0ELNS1_11target_archE4294967295ELNS1_3gpuE0ELNS1_3repE0EEENS1_30default_config_static_selectorELNS0_4arch9wavefront6targetE0EEEvS11_.uses_vcc, 0
	.set _ZN7rocprim17ROCPRIM_400000_NS6detail17trampoline_kernelINS0_14default_configENS1_21merge_config_selectorINS0_5tupleIJxxEEENS0_10empty_typeEEEZNS1_10merge_implIS3_NS0_12zip_iteratorINS5_IJN6thrust23THRUST_200600_302600_NS6detail15normal_iteratorINSC_10device_ptrIKxEEEESI_EEEEESK_NSA_INS5_IJNSC_16discard_iteratorINSC_11use_defaultEEESN_EEEEEPS7_SQ_SQ_NSC_11hip_rocprim7__merge17predicate_wrapperIxxNSC_4lessIxEEEEEE10hipError_tPvRmT0_T1_T2_T3_T4_T5_mmT6_P12ihipStream_tbEUlT_E_NS1_11comp_targetILNS1_3genE0ELNS1_11target_archE4294967295ELNS1_3gpuE0ELNS1_3repE0EEENS1_30default_config_static_selectorELNS0_4arch9wavefront6targetE0EEEvS11_.uses_flat_scratch, 0
	.set _ZN7rocprim17ROCPRIM_400000_NS6detail17trampoline_kernelINS0_14default_configENS1_21merge_config_selectorINS0_5tupleIJxxEEENS0_10empty_typeEEEZNS1_10merge_implIS3_NS0_12zip_iteratorINS5_IJN6thrust23THRUST_200600_302600_NS6detail15normal_iteratorINSC_10device_ptrIKxEEEESI_EEEEESK_NSA_INS5_IJNSC_16discard_iteratorINSC_11use_defaultEEESN_EEEEEPS7_SQ_SQ_NSC_11hip_rocprim7__merge17predicate_wrapperIxxNSC_4lessIxEEEEEE10hipError_tPvRmT0_T1_T2_T3_T4_T5_mmT6_P12ihipStream_tbEUlT_E_NS1_11comp_targetILNS1_3genE0ELNS1_11target_archE4294967295ELNS1_3gpuE0ELNS1_3repE0EEENS1_30default_config_static_selectorELNS0_4arch9wavefront6targetE0EEEvS11_.has_dyn_sized_stack, 0
	.set _ZN7rocprim17ROCPRIM_400000_NS6detail17trampoline_kernelINS0_14default_configENS1_21merge_config_selectorINS0_5tupleIJxxEEENS0_10empty_typeEEEZNS1_10merge_implIS3_NS0_12zip_iteratorINS5_IJN6thrust23THRUST_200600_302600_NS6detail15normal_iteratorINSC_10device_ptrIKxEEEESI_EEEEESK_NSA_INS5_IJNSC_16discard_iteratorINSC_11use_defaultEEESN_EEEEEPS7_SQ_SQ_NSC_11hip_rocprim7__merge17predicate_wrapperIxxNSC_4lessIxEEEEEE10hipError_tPvRmT0_T1_T2_T3_T4_T5_mmT6_P12ihipStream_tbEUlT_E_NS1_11comp_targetILNS1_3genE0ELNS1_11target_archE4294967295ELNS1_3gpuE0ELNS1_3repE0EEENS1_30default_config_static_selectorELNS0_4arch9wavefront6targetE0EEEvS11_.has_recursion, 0
	.set _ZN7rocprim17ROCPRIM_400000_NS6detail17trampoline_kernelINS0_14default_configENS1_21merge_config_selectorINS0_5tupleIJxxEEENS0_10empty_typeEEEZNS1_10merge_implIS3_NS0_12zip_iteratorINS5_IJN6thrust23THRUST_200600_302600_NS6detail15normal_iteratorINSC_10device_ptrIKxEEEESI_EEEEESK_NSA_INS5_IJNSC_16discard_iteratorINSC_11use_defaultEEESN_EEEEEPS7_SQ_SQ_NSC_11hip_rocprim7__merge17predicate_wrapperIxxNSC_4lessIxEEEEEE10hipError_tPvRmT0_T1_T2_T3_T4_T5_mmT6_P12ihipStream_tbEUlT_E_NS1_11comp_targetILNS1_3genE0ELNS1_11target_archE4294967295ELNS1_3gpuE0ELNS1_3repE0EEENS1_30default_config_static_selectorELNS0_4arch9wavefront6targetE0EEEvS11_.has_indirect_call, 0
	.section	.AMDGPU.csdata,"",@progbits
; Kernel info:
; codeLenInByte = 0
; TotalNumSgprs: 0
; NumVgprs: 0
; ScratchSize: 0
; MemoryBound: 0
; FloatMode: 240
; IeeeMode: 1
; LDSByteSize: 0 bytes/workgroup (compile time only)
; SGPRBlocks: 0
; VGPRBlocks: 0
; NumSGPRsForWavesPerEU: 1
; NumVGPRsForWavesPerEU: 1
; Occupancy: 16
; WaveLimiterHint : 0
; COMPUTE_PGM_RSRC2:SCRATCH_EN: 0
; COMPUTE_PGM_RSRC2:USER_SGPR: 6
; COMPUTE_PGM_RSRC2:TRAP_HANDLER: 0
; COMPUTE_PGM_RSRC2:TGID_X_EN: 1
; COMPUTE_PGM_RSRC2:TGID_Y_EN: 0
; COMPUTE_PGM_RSRC2:TGID_Z_EN: 0
; COMPUTE_PGM_RSRC2:TIDIG_COMP_CNT: 0
	.section	.text._ZN7rocprim17ROCPRIM_400000_NS6detail17trampoline_kernelINS0_14default_configENS1_21merge_config_selectorINS0_5tupleIJxxEEENS0_10empty_typeEEEZNS1_10merge_implIS3_NS0_12zip_iteratorINS5_IJN6thrust23THRUST_200600_302600_NS6detail15normal_iteratorINSC_10device_ptrIKxEEEESI_EEEEESK_NSA_INS5_IJNSC_16discard_iteratorINSC_11use_defaultEEESN_EEEEEPS7_SQ_SQ_NSC_11hip_rocprim7__merge17predicate_wrapperIxxNSC_4lessIxEEEEEE10hipError_tPvRmT0_T1_T2_T3_T4_T5_mmT6_P12ihipStream_tbEUlT_E_NS1_11comp_targetILNS1_3genE5ELNS1_11target_archE942ELNS1_3gpuE9ELNS1_3repE0EEENS1_30default_config_static_selectorELNS0_4arch9wavefront6targetE0EEEvS11_,"axG",@progbits,_ZN7rocprim17ROCPRIM_400000_NS6detail17trampoline_kernelINS0_14default_configENS1_21merge_config_selectorINS0_5tupleIJxxEEENS0_10empty_typeEEEZNS1_10merge_implIS3_NS0_12zip_iteratorINS5_IJN6thrust23THRUST_200600_302600_NS6detail15normal_iteratorINSC_10device_ptrIKxEEEESI_EEEEESK_NSA_INS5_IJNSC_16discard_iteratorINSC_11use_defaultEEESN_EEEEEPS7_SQ_SQ_NSC_11hip_rocprim7__merge17predicate_wrapperIxxNSC_4lessIxEEEEEE10hipError_tPvRmT0_T1_T2_T3_T4_T5_mmT6_P12ihipStream_tbEUlT_E_NS1_11comp_targetILNS1_3genE5ELNS1_11target_archE942ELNS1_3gpuE9ELNS1_3repE0EEENS1_30default_config_static_selectorELNS0_4arch9wavefront6targetE0EEEvS11_,comdat
	.protected	_ZN7rocprim17ROCPRIM_400000_NS6detail17trampoline_kernelINS0_14default_configENS1_21merge_config_selectorINS0_5tupleIJxxEEENS0_10empty_typeEEEZNS1_10merge_implIS3_NS0_12zip_iteratorINS5_IJN6thrust23THRUST_200600_302600_NS6detail15normal_iteratorINSC_10device_ptrIKxEEEESI_EEEEESK_NSA_INS5_IJNSC_16discard_iteratorINSC_11use_defaultEEESN_EEEEEPS7_SQ_SQ_NSC_11hip_rocprim7__merge17predicate_wrapperIxxNSC_4lessIxEEEEEE10hipError_tPvRmT0_T1_T2_T3_T4_T5_mmT6_P12ihipStream_tbEUlT_E_NS1_11comp_targetILNS1_3genE5ELNS1_11target_archE942ELNS1_3gpuE9ELNS1_3repE0EEENS1_30default_config_static_selectorELNS0_4arch9wavefront6targetE0EEEvS11_ ; -- Begin function _ZN7rocprim17ROCPRIM_400000_NS6detail17trampoline_kernelINS0_14default_configENS1_21merge_config_selectorINS0_5tupleIJxxEEENS0_10empty_typeEEEZNS1_10merge_implIS3_NS0_12zip_iteratorINS5_IJN6thrust23THRUST_200600_302600_NS6detail15normal_iteratorINSC_10device_ptrIKxEEEESI_EEEEESK_NSA_INS5_IJNSC_16discard_iteratorINSC_11use_defaultEEESN_EEEEEPS7_SQ_SQ_NSC_11hip_rocprim7__merge17predicate_wrapperIxxNSC_4lessIxEEEEEE10hipError_tPvRmT0_T1_T2_T3_T4_T5_mmT6_P12ihipStream_tbEUlT_E_NS1_11comp_targetILNS1_3genE5ELNS1_11target_archE942ELNS1_3gpuE9ELNS1_3repE0EEENS1_30default_config_static_selectorELNS0_4arch9wavefront6targetE0EEEvS11_
	.globl	_ZN7rocprim17ROCPRIM_400000_NS6detail17trampoline_kernelINS0_14default_configENS1_21merge_config_selectorINS0_5tupleIJxxEEENS0_10empty_typeEEEZNS1_10merge_implIS3_NS0_12zip_iteratorINS5_IJN6thrust23THRUST_200600_302600_NS6detail15normal_iteratorINSC_10device_ptrIKxEEEESI_EEEEESK_NSA_INS5_IJNSC_16discard_iteratorINSC_11use_defaultEEESN_EEEEEPS7_SQ_SQ_NSC_11hip_rocprim7__merge17predicate_wrapperIxxNSC_4lessIxEEEEEE10hipError_tPvRmT0_T1_T2_T3_T4_T5_mmT6_P12ihipStream_tbEUlT_E_NS1_11comp_targetILNS1_3genE5ELNS1_11target_archE942ELNS1_3gpuE9ELNS1_3repE0EEENS1_30default_config_static_selectorELNS0_4arch9wavefront6targetE0EEEvS11_
	.p2align	8
	.type	_ZN7rocprim17ROCPRIM_400000_NS6detail17trampoline_kernelINS0_14default_configENS1_21merge_config_selectorINS0_5tupleIJxxEEENS0_10empty_typeEEEZNS1_10merge_implIS3_NS0_12zip_iteratorINS5_IJN6thrust23THRUST_200600_302600_NS6detail15normal_iteratorINSC_10device_ptrIKxEEEESI_EEEEESK_NSA_INS5_IJNSC_16discard_iteratorINSC_11use_defaultEEESN_EEEEEPS7_SQ_SQ_NSC_11hip_rocprim7__merge17predicate_wrapperIxxNSC_4lessIxEEEEEE10hipError_tPvRmT0_T1_T2_T3_T4_T5_mmT6_P12ihipStream_tbEUlT_E_NS1_11comp_targetILNS1_3genE5ELNS1_11target_archE942ELNS1_3gpuE9ELNS1_3repE0EEENS1_30default_config_static_selectorELNS0_4arch9wavefront6targetE0EEEvS11_,@function
_ZN7rocprim17ROCPRIM_400000_NS6detail17trampoline_kernelINS0_14default_configENS1_21merge_config_selectorINS0_5tupleIJxxEEENS0_10empty_typeEEEZNS1_10merge_implIS3_NS0_12zip_iteratorINS5_IJN6thrust23THRUST_200600_302600_NS6detail15normal_iteratorINSC_10device_ptrIKxEEEESI_EEEEESK_NSA_INS5_IJNSC_16discard_iteratorINSC_11use_defaultEEESN_EEEEEPS7_SQ_SQ_NSC_11hip_rocprim7__merge17predicate_wrapperIxxNSC_4lessIxEEEEEE10hipError_tPvRmT0_T1_T2_T3_T4_T5_mmT6_P12ihipStream_tbEUlT_E_NS1_11comp_targetILNS1_3genE5ELNS1_11target_archE942ELNS1_3gpuE9ELNS1_3repE0EEENS1_30default_config_static_selectorELNS0_4arch9wavefront6targetE0EEEvS11_: ; @_ZN7rocprim17ROCPRIM_400000_NS6detail17trampoline_kernelINS0_14default_configENS1_21merge_config_selectorINS0_5tupleIJxxEEENS0_10empty_typeEEEZNS1_10merge_implIS3_NS0_12zip_iteratorINS5_IJN6thrust23THRUST_200600_302600_NS6detail15normal_iteratorINSC_10device_ptrIKxEEEESI_EEEEESK_NSA_INS5_IJNSC_16discard_iteratorINSC_11use_defaultEEESN_EEEEEPS7_SQ_SQ_NSC_11hip_rocprim7__merge17predicate_wrapperIxxNSC_4lessIxEEEEEE10hipError_tPvRmT0_T1_T2_T3_T4_T5_mmT6_P12ihipStream_tbEUlT_E_NS1_11comp_targetILNS1_3genE5ELNS1_11target_archE942ELNS1_3gpuE9ELNS1_3repE0EEENS1_30default_config_static_selectorELNS0_4arch9wavefront6targetE0EEEvS11_
; %bb.0:
	.section	.rodata,"a",@progbits
	.p2align	6, 0x0
	.amdhsa_kernel _ZN7rocprim17ROCPRIM_400000_NS6detail17trampoline_kernelINS0_14default_configENS1_21merge_config_selectorINS0_5tupleIJxxEEENS0_10empty_typeEEEZNS1_10merge_implIS3_NS0_12zip_iteratorINS5_IJN6thrust23THRUST_200600_302600_NS6detail15normal_iteratorINSC_10device_ptrIKxEEEESI_EEEEESK_NSA_INS5_IJNSC_16discard_iteratorINSC_11use_defaultEEESN_EEEEEPS7_SQ_SQ_NSC_11hip_rocprim7__merge17predicate_wrapperIxxNSC_4lessIxEEEEEE10hipError_tPvRmT0_T1_T2_T3_T4_T5_mmT6_P12ihipStream_tbEUlT_E_NS1_11comp_targetILNS1_3genE5ELNS1_11target_archE942ELNS1_3gpuE9ELNS1_3repE0EEENS1_30default_config_static_selectorELNS0_4arch9wavefront6targetE0EEEvS11_
		.amdhsa_group_segment_fixed_size 0
		.amdhsa_private_segment_fixed_size 0
		.amdhsa_kernarg_size 64
		.amdhsa_user_sgpr_count 6
		.amdhsa_user_sgpr_private_segment_buffer 1
		.amdhsa_user_sgpr_dispatch_ptr 0
		.amdhsa_user_sgpr_queue_ptr 0
		.amdhsa_user_sgpr_kernarg_segment_ptr 1
		.amdhsa_user_sgpr_dispatch_id 0
		.amdhsa_user_sgpr_flat_scratch_init 0
		.amdhsa_user_sgpr_private_segment_size 0
		.amdhsa_wavefront_size32 1
		.amdhsa_uses_dynamic_stack 0
		.amdhsa_system_sgpr_private_segment_wavefront_offset 0
		.amdhsa_system_sgpr_workgroup_id_x 1
		.amdhsa_system_sgpr_workgroup_id_y 0
		.amdhsa_system_sgpr_workgroup_id_z 0
		.amdhsa_system_sgpr_workgroup_info 0
		.amdhsa_system_vgpr_workitem_id 0
		.amdhsa_next_free_vgpr 1
		.amdhsa_next_free_sgpr 1
		.amdhsa_reserve_vcc 0
		.amdhsa_reserve_flat_scratch 0
		.amdhsa_float_round_mode_32 0
		.amdhsa_float_round_mode_16_64 0
		.amdhsa_float_denorm_mode_32 3
		.amdhsa_float_denorm_mode_16_64 3
		.amdhsa_dx10_clamp 1
		.amdhsa_ieee_mode 1
		.amdhsa_fp16_overflow 0
		.amdhsa_workgroup_processor_mode 1
		.amdhsa_memory_ordered 1
		.amdhsa_forward_progress 1
		.amdhsa_shared_vgpr_count 0
		.amdhsa_exception_fp_ieee_invalid_op 0
		.amdhsa_exception_fp_denorm_src 0
		.amdhsa_exception_fp_ieee_div_zero 0
		.amdhsa_exception_fp_ieee_overflow 0
		.amdhsa_exception_fp_ieee_underflow 0
		.amdhsa_exception_fp_ieee_inexact 0
		.amdhsa_exception_int_div_zero 0
	.end_amdhsa_kernel
	.section	.text._ZN7rocprim17ROCPRIM_400000_NS6detail17trampoline_kernelINS0_14default_configENS1_21merge_config_selectorINS0_5tupleIJxxEEENS0_10empty_typeEEEZNS1_10merge_implIS3_NS0_12zip_iteratorINS5_IJN6thrust23THRUST_200600_302600_NS6detail15normal_iteratorINSC_10device_ptrIKxEEEESI_EEEEESK_NSA_INS5_IJNSC_16discard_iteratorINSC_11use_defaultEEESN_EEEEEPS7_SQ_SQ_NSC_11hip_rocprim7__merge17predicate_wrapperIxxNSC_4lessIxEEEEEE10hipError_tPvRmT0_T1_T2_T3_T4_T5_mmT6_P12ihipStream_tbEUlT_E_NS1_11comp_targetILNS1_3genE5ELNS1_11target_archE942ELNS1_3gpuE9ELNS1_3repE0EEENS1_30default_config_static_selectorELNS0_4arch9wavefront6targetE0EEEvS11_,"axG",@progbits,_ZN7rocprim17ROCPRIM_400000_NS6detail17trampoline_kernelINS0_14default_configENS1_21merge_config_selectorINS0_5tupleIJxxEEENS0_10empty_typeEEEZNS1_10merge_implIS3_NS0_12zip_iteratorINS5_IJN6thrust23THRUST_200600_302600_NS6detail15normal_iteratorINSC_10device_ptrIKxEEEESI_EEEEESK_NSA_INS5_IJNSC_16discard_iteratorINSC_11use_defaultEEESN_EEEEEPS7_SQ_SQ_NSC_11hip_rocprim7__merge17predicate_wrapperIxxNSC_4lessIxEEEEEE10hipError_tPvRmT0_T1_T2_T3_T4_T5_mmT6_P12ihipStream_tbEUlT_E_NS1_11comp_targetILNS1_3genE5ELNS1_11target_archE942ELNS1_3gpuE9ELNS1_3repE0EEENS1_30default_config_static_selectorELNS0_4arch9wavefront6targetE0EEEvS11_,comdat
.Lfunc_end570:
	.size	_ZN7rocprim17ROCPRIM_400000_NS6detail17trampoline_kernelINS0_14default_configENS1_21merge_config_selectorINS0_5tupleIJxxEEENS0_10empty_typeEEEZNS1_10merge_implIS3_NS0_12zip_iteratorINS5_IJN6thrust23THRUST_200600_302600_NS6detail15normal_iteratorINSC_10device_ptrIKxEEEESI_EEEEESK_NSA_INS5_IJNSC_16discard_iteratorINSC_11use_defaultEEESN_EEEEEPS7_SQ_SQ_NSC_11hip_rocprim7__merge17predicate_wrapperIxxNSC_4lessIxEEEEEE10hipError_tPvRmT0_T1_T2_T3_T4_T5_mmT6_P12ihipStream_tbEUlT_E_NS1_11comp_targetILNS1_3genE5ELNS1_11target_archE942ELNS1_3gpuE9ELNS1_3repE0EEENS1_30default_config_static_selectorELNS0_4arch9wavefront6targetE0EEEvS11_, .Lfunc_end570-_ZN7rocprim17ROCPRIM_400000_NS6detail17trampoline_kernelINS0_14default_configENS1_21merge_config_selectorINS0_5tupleIJxxEEENS0_10empty_typeEEEZNS1_10merge_implIS3_NS0_12zip_iteratorINS5_IJN6thrust23THRUST_200600_302600_NS6detail15normal_iteratorINSC_10device_ptrIKxEEEESI_EEEEESK_NSA_INS5_IJNSC_16discard_iteratorINSC_11use_defaultEEESN_EEEEEPS7_SQ_SQ_NSC_11hip_rocprim7__merge17predicate_wrapperIxxNSC_4lessIxEEEEEE10hipError_tPvRmT0_T1_T2_T3_T4_T5_mmT6_P12ihipStream_tbEUlT_E_NS1_11comp_targetILNS1_3genE5ELNS1_11target_archE942ELNS1_3gpuE9ELNS1_3repE0EEENS1_30default_config_static_selectorELNS0_4arch9wavefront6targetE0EEEvS11_
                                        ; -- End function
	.set _ZN7rocprim17ROCPRIM_400000_NS6detail17trampoline_kernelINS0_14default_configENS1_21merge_config_selectorINS0_5tupleIJxxEEENS0_10empty_typeEEEZNS1_10merge_implIS3_NS0_12zip_iteratorINS5_IJN6thrust23THRUST_200600_302600_NS6detail15normal_iteratorINSC_10device_ptrIKxEEEESI_EEEEESK_NSA_INS5_IJNSC_16discard_iteratorINSC_11use_defaultEEESN_EEEEEPS7_SQ_SQ_NSC_11hip_rocprim7__merge17predicate_wrapperIxxNSC_4lessIxEEEEEE10hipError_tPvRmT0_T1_T2_T3_T4_T5_mmT6_P12ihipStream_tbEUlT_E_NS1_11comp_targetILNS1_3genE5ELNS1_11target_archE942ELNS1_3gpuE9ELNS1_3repE0EEENS1_30default_config_static_selectorELNS0_4arch9wavefront6targetE0EEEvS11_.num_vgpr, 0
	.set _ZN7rocprim17ROCPRIM_400000_NS6detail17trampoline_kernelINS0_14default_configENS1_21merge_config_selectorINS0_5tupleIJxxEEENS0_10empty_typeEEEZNS1_10merge_implIS3_NS0_12zip_iteratorINS5_IJN6thrust23THRUST_200600_302600_NS6detail15normal_iteratorINSC_10device_ptrIKxEEEESI_EEEEESK_NSA_INS5_IJNSC_16discard_iteratorINSC_11use_defaultEEESN_EEEEEPS7_SQ_SQ_NSC_11hip_rocprim7__merge17predicate_wrapperIxxNSC_4lessIxEEEEEE10hipError_tPvRmT0_T1_T2_T3_T4_T5_mmT6_P12ihipStream_tbEUlT_E_NS1_11comp_targetILNS1_3genE5ELNS1_11target_archE942ELNS1_3gpuE9ELNS1_3repE0EEENS1_30default_config_static_selectorELNS0_4arch9wavefront6targetE0EEEvS11_.num_agpr, 0
	.set _ZN7rocprim17ROCPRIM_400000_NS6detail17trampoline_kernelINS0_14default_configENS1_21merge_config_selectorINS0_5tupleIJxxEEENS0_10empty_typeEEEZNS1_10merge_implIS3_NS0_12zip_iteratorINS5_IJN6thrust23THRUST_200600_302600_NS6detail15normal_iteratorINSC_10device_ptrIKxEEEESI_EEEEESK_NSA_INS5_IJNSC_16discard_iteratorINSC_11use_defaultEEESN_EEEEEPS7_SQ_SQ_NSC_11hip_rocprim7__merge17predicate_wrapperIxxNSC_4lessIxEEEEEE10hipError_tPvRmT0_T1_T2_T3_T4_T5_mmT6_P12ihipStream_tbEUlT_E_NS1_11comp_targetILNS1_3genE5ELNS1_11target_archE942ELNS1_3gpuE9ELNS1_3repE0EEENS1_30default_config_static_selectorELNS0_4arch9wavefront6targetE0EEEvS11_.numbered_sgpr, 0
	.set _ZN7rocprim17ROCPRIM_400000_NS6detail17trampoline_kernelINS0_14default_configENS1_21merge_config_selectorINS0_5tupleIJxxEEENS0_10empty_typeEEEZNS1_10merge_implIS3_NS0_12zip_iteratorINS5_IJN6thrust23THRUST_200600_302600_NS6detail15normal_iteratorINSC_10device_ptrIKxEEEESI_EEEEESK_NSA_INS5_IJNSC_16discard_iteratorINSC_11use_defaultEEESN_EEEEEPS7_SQ_SQ_NSC_11hip_rocprim7__merge17predicate_wrapperIxxNSC_4lessIxEEEEEE10hipError_tPvRmT0_T1_T2_T3_T4_T5_mmT6_P12ihipStream_tbEUlT_E_NS1_11comp_targetILNS1_3genE5ELNS1_11target_archE942ELNS1_3gpuE9ELNS1_3repE0EEENS1_30default_config_static_selectorELNS0_4arch9wavefront6targetE0EEEvS11_.num_named_barrier, 0
	.set _ZN7rocprim17ROCPRIM_400000_NS6detail17trampoline_kernelINS0_14default_configENS1_21merge_config_selectorINS0_5tupleIJxxEEENS0_10empty_typeEEEZNS1_10merge_implIS3_NS0_12zip_iteratorINS5_IJN6thrust23THRUST_200600_302600_NS6detail15normal_iteratorINSC_10device_ptrIKxEEEESI_EEEEESK_NSA_INS5_IJNSC_16discard_iteratorINSC_11use_defaultEEESN_EEEEEPS7_SQ_SQ_NSC_11hip_rocprim7__merge17predicate_wrapperIxxNSC_4lessIxEEEEEE10hipError_tPvRmT0_T1_T2_T3_T4_T5_mmT6_P12ihipStream_tbEUlT_E_NS1_11comp_targetILNS1_3genE5ELNS1_11target_archE942ELNS1_3gpuE9ELNS1_3repE0EEENS1_30default_config_static_selectorELNS0_4arch9wavefront6targetE0EEEvS11_.private_seg_size, 0
	.set _ZN7rocprim17ROCPRIM_400000_NS6detail17trampoline_kernelINS0_14default_configENS1_21merge_config_selectorINS0_5tupleIJxxEEENS0_10empty_typeEEEZNS1_10merge_implIS3_NS0_12zip_iteratorINS5_IJN6thrust23THRUST_200600_302600_NS6detail15normal_iteratorINSC_10device_ptrIKxEEEESI_EEEEESK_NSA_INS5_IJNSC_16discard_iteratorINSC_11use_defaultEEESN_EEEEEPS7_SQ_SQ_NSC_11hip_rocprim7__merge17predicate_wrapperIxxNSC_4lessIxEEEEEE10hipError_tPvRmT0_T1_T2_T3_T4_T5_mmT6_P12ihipStream_tbEUlT_E_NS1_11comp_targetILNS1_3genE5ELNS1_11target_archE942ELNS1_3gpuE9ELNS1_3repE0EEENS1_30default_config_static_selectorELNS0_4arch9wavefront6targetE0EEEvS11_.uses_vcc, 0
	.set _ZN7rocprim17ROCPRIM_400000_NS6detail17trampoline_kernelINS0_14default_configENS1_21merge_config_selectorINS0_5tupleIJxxEEENS0_10empty_typeEEEZNS1_10merge_implIS3_NS0_12zip_iteratorINS5_IJN6thrust23THRUST_200600_302600_NS6detail15normal_iteratorINSC_10device_ptrIKxEEEESI_EEEEESK_NSA_INS5_IJNSC_16discard_iteratorINSC_11use_defaultEEESN_EEEEEPS7_SQ_SQ_NSC_11hip_rocprim7__merge17predicate_wrapperIxxNSC_4lessIxEEEEEE10hipError_tPvRmT0_T1_T2_T3_T4_T5_mmT6_P12ihipStream_tbEUlT_E_NS1_11comp_targetILNS1_3genE5ELNS1_11target_archE942ELNS1_3gpuE9ELNS1_3repE0EEENS1_30default_config_static_selectorELNS0_4arch9wavefront6targetE0EEEvS11_.uses_flat_scratch, 0
	.set _ZN7rocprim17ROCPRIM_400000_NS6detail17trampoline_kernelINS0_14default_configENS1_21merge_config_selectorINS0_5tupleIJxxEEENS0_10empty_typeEEEZNS1_10merge_implIS3_NS0_12zip_iteratorINS5_IJN6thrust23THRUST_200600_302600_NS6detail15normal_iteratorINSC_10device_ptrIKxEEEESI_EEEEESK_NSA_INS5_IJNSC_16discard_iteratorINSC_11use_defaultEEESN_EEEEEPS7_SQ_SQ_NSC_11hip_rocprim7__merge17predicate_wrapperIxxNSC_4lessIxEEEEEE10hipError_tPvRmT0_T1_T2_T3_T4_T5_mmT6_P12ihipStream_tbEUlT_E_NS1_11comp_targetILNS1_3genE5ELNS1_11target_archE942ELNS1_3gpuE9ELNS1_3repE0EEENS1_30default_config_static_selectorELNS0_4arch9wavefront6targetE0EEEvS11_.has_dyn_sized_stack, 0
	.set _ZN7rocprim17ROCPRIM_400000_NS6detail17trampoline_kernelINS0_14default_configENS1_21merge_config_selectorINS0_5tupleIJxxEEENS0_10empty_typeEEEZNS1_10merge_implIS3_NS0_12zip_iteratorINS5_IJN6thrust23THRUST_200600_302600_NS6detail15normal_iteratorINSC_10device_ptrIKxEEEESI_EEEEESK_NSA_INS5_IJNSC_16discard_iteratorINSC_11use_defaultEEESN_EEEEEPS7_SQ_SQ_NSC_11hip_rocprim7__merge17predicate_wrapperIxxNSC_4lessIxEEEEEE10hipError_tPvRmT0_T1_T2_T3_T4_T5_mmT6_P12ihipStream_tbEUlT_E_NS1_11comp_targetILNS1_3genE5ELNS1_11target_archE942ELNS1_3gpuE9ELNS1_3repE0EEENS1_30default_config_static_selectorELNS0_4arch9wavefront6targetE0EEEvS11_.has_recursion, 0
	.set _ZN7rocprim17ROCPRIM_400000_NS6detail17trampoline_kernelINS0_14default_configENS1_21merge_config_selectorINS0_5tupleIJxxEEENS0_10empty_typeEEEZNS1_10merge_implIS3_NS0_12zip_iteratorINS5_IJN6thrust23THRUST_200600_302600_NS6detail15normal_iteratorINSC_10device_ptrIKxEEEESI_EEEEESK_NSA_INS5_IJNSC_16discard_iteratorINSC_11use_defaultEEESN_EEEEEPS7_SQ_SQ_NSC_11hip_rocprim7__merge17predicate_wrapperIxxNSC_4lessIxEEEEEE10hipError_tPvRmT0_T1_T2_T3_T4_T5_mmT6_P12ihipStream_tbEUlT_E_NS1_11comp_targetILNS1_3genE5ELNS1_11target_archE942ELNS1_3gpuE9ELNS1_3repE0EEENS1_30default_config_static_selectorELNS0_4arch9wavefront6targetE0EEEvS11_.has_indirect_call, 0
	.section	.AMDGPU.csdata,"",@progbits
; Kernel info:
; codeLenInByte = 0
; TotalNumSgprs: 0
; NumVgprs: 0
; ScratchSize: 0
; MemoryBound: 0
; FloatMode: 240
; IeeeMode: 1
; LDSByteSize: 0 bytes/workgroup (compile time only)
; SGPRBlocks: 0
; VGPRBlocks: 0
; NumSGPRsForWavesPerEU: 1
; NumVGPRsForWavesPerEU: 1
; Occupancy: 16
; WaveLimiterHint : 0
; COMPUTE_PGM_RSRC2:SCRATCH_EN: 0
; COMPUTE_PGM_RSRC2:USER_SGPR: 6
; COMPUTE_PGM_RSRC2:TRAP_HANDLER: 0
; COMPUTE_PGM_RSRC2:TGID_X_EN: 1
; COMPUTE_PGM_RSRC2:TGID_Y_EN: 0
; COMPUTE_PGM_RSRC2:TGID_Z_EN: 0
; COMPUTE_PGM_RSRC2:TIDIG_COMP_CNT: 0
	.section	.text._ZN7rocprim17ROCPRIM_400000_NS6detail17trampoline_kernelINS0_14default_configENS1_21merge_config_selectorINS0_5tupleIJxxEEENS0_10empty_typeEEEZNS1_10merge_implIS3_NS0_12zip_iteratorINS5_IJN6thrust23THRUST_200600_302600_NS6detail15normal_iteratorINSC_10device_ptrIKxEEEESI_EEEEESK_NSA_INS5_IJNSC_16discard_iteratorINSC_11use_defaultEEESN_EEEEEPS7_SQ_SQ_NSC_11hip_rocprim7__merge17predicate_wrapperIxxNSC_4lessIxEEEEEE10hipError_tPvRmT0_T1_T2_T3_T4_T5_mmT6_P12ihipStream_tbEUlT_E_NS1_11comp_targetILNS1_3genE4ELNS1_11target_archE910ELNS1_3gpuE8ELNS1_3repE0EEENS1_30default_config_static_selectorELNS0_4arch9wavefront6targetE0EEEvS11_,"axG",@progbits,_ZN7rocprim17ROCPRIM_400000_NS6detail17trampoline_kernelINS0_14default_configENS1_21merge_config_selectorINS0_5tupleIJxxEEENS0_10empty_typeEEEZNS1_10merge_implIS3_NS0_12zip_iteratorINS5_IJN6thrust23THRUST_200600_302600_NS6detail15normal_iteratorINSC_10device_ptrIKxEEEESI_EEEEESK_NSA_INS5_IJNSC_16discard_iteratorINSC_11use_defaultEEESN_EEEEEPS7_SQ_SQ_NSC_11hip_rocprim7__merge17predicate_wrapperIxxNSC_4lessIxEEEEEE10hipError_tPvRmT0_T1_T2_T3_T4_T5_mmT6_P12ihipStream_tbEUlT_E_NS1_11comp_targetILNS1_3genE4ELNS1_11target_archE910ELNS1_3gpuE8ELNS1_3repE0EEENS1_30default_config_static_selectorELNS0_4arch9wavefront6targetE0EEEvS11_,comdat
	.protected	_ZN7rocprim17ROCPRIM_400000_NS6detail17trampoline_kernelINS0_14default_configENS1_21merge_config_selectorINS0_5tupleIJxxEEENS0_10empty_typeEEEZNS1_10merge_implIS3_NS0_12zip_iteratorINS5_IJN6thrust23THRUST_200600_302600_NS6detail15normal_iteratorINSC_10device_ptrIKxEEEESI_EEEEESK_NSA_INS5_IJNSC_16discard_iteratorINSC_11use_defaultEEESN_EEEEEPS7_SQ_SQ_NSC_11hip_rocprim7__merge17predicate_wrapperIxxNSC_4lessIxEEEEEE10hipError_tPvRmT0_T1_T2_T3_T4_T5_mmT6_P12ihipStream_tbEUlT_E_NS1_11comp_targetILNS1_3genE4ELNS1_11target_archE910ELNS1_3gpuE8ELNS1_3repE0EEENS1_30default_config_static_selectorELNS0_4arch9wavefront6targetE0EEEvS11_ ; -- Begin function _ZN7rocprim17ROCPRIM_400000_NS6detail17trampoline_kernelINS0_14default_configENS1_21merge_config_selectorINS0_5tupleIJxxEEENS0_10empty_typeEEEZNS1_10merge_implIS3_NS0_12zip_iteratorINS5_IJN6thrust23THRUST_200600_302600_NS6detail15normal_iteratorINSC_10device_ptrIKxEEEESI_EEEEESK_NSA_INS5_IJNSC_16discard_iteratorINSC_11use_defaultEEESN_EEEEEPS7_SQ_SQ_NSC_11hip_rocprim7__merge17predicate_wrapperIxxNSC_4lessIxEEEEEE10hipError_tPvRmT0_T1_T2_T3_T4_T5_mmT6_P12ihipStream_tbEUlT_E_NS1_11comp_targetILNS1_3genE4ELNS1_11target_archE910ELNS1_3gpuE8ELNS1_3repE0EEENS1_30default_config_static_selectorELNS0_4arch9wavefront6targetE0EEEvS11_
	.globl	_ZN7rocprim17ROCPRIM_400000_NS6detail17trampoline_kernelINS0_14default_configENS1_21merge_config_selectorINS0_5tupleIJxxEEENS0_10empty_typeEEEZNS1_10merge_implIS3_NS0_12zip_iteratorINS5_IJN6thrust23THRUST_200600_302600_NS6detail15normal_iteratorINSC_10device_ptrIKxEEEESI_EEEEESK_NSA_INS5_IJNSC_16discard_iteratorINSC_11use_defaultEEESN_EEEEEPS7_SQ_SQ_NSC_11hip_rocprim7__merge17predicate_wrapperIxxNSC_4lessIxEEEEEE10hipError_tPvRmT0_T1_T2_T3_T4_T5_mmT6_P12ihipStream_tbEUlT_E_NS1_11comp_targetILNS1_3genE4ELNS1_11target_archE910ELNS1_3gpuE8ELNS1_3repE0EEENS1_30default_config_static_selectorELNS0_4arch9wavefront6targetE0EEEvS11_
	.p2align	8
	.type	_ZN7rocprim17ROCPRIM_400000_NS6detail17trampoline_kernelINS0_14default_configENS1_21merge_config_selectorINS0_5tupleIJxxEEENS0_10empty_typeEEEZNS1_10merge_implIS3_NS0_12zip_iteratorINS5_IJN6thrust23THRUST_200600_302600_NS6detail15normal_iteratorINSC_10device_ptrIKxEEEESI_EEEEESK_NSA_INS5_IJNSC_16discard_iteratorINSC_11use_defaultEEESN_EEEEEPS7_SQ_SQ_NSC_11hip_rocprim7__merge17predicate_wrapperIxxNSC_4lessIxEEEEEE10hipError_tPvRmT0_T1_T2_T3_T4_T5_mmT6_P12ihipStream_tbEUlT_E_NS1_11comp_targetILNS1_3genE4ELNS1_11target_archE910ELNS1_3gpuE8ELNS1_3repE0EEENS1_30default_config_static_selectorELNS0_4arch9wavefront6targetE0EEEvS11_,@function
_ZN7rocprim17ROCPRIM_400000_NS6detail17trampoline_kernelINS0_14default_configENS1_21merge_config_selectorINS0_5tupleIJxxEEENS0_10empty_typeEEEZNS1_10merge_implIS3_NS0_12zip_iteratorINS5_IJN6thrust23THRUST_200600_302600_NS6detail15normal_iteratorINSC_10device_ptrIKxEEEESI_EEEEESK_NSA_INS5_IJNSC_16discard_iteratorINSC_11use_defaultEEESN_EEEEEPS7_SQ_SQ_NSC_11hip_rocprim7__merge17predicate_wrapperIxxNSC_4lessIxEEEEEE10hipError_tPvRmT0_T1_T2_T3_T4_T5_mmT6_P12ihipStream_tbEUlT_E_NS1_11comp_targetILNS1_3genE4ELNS1_11target_archE910ELNS1_3gpuE8ELNS1_3repE0EEENS1_30default_config_static_selectorELNS0_4arch9wavefront6targetE0EEEvS11_: ; @_ZN7rocprim17ROCPRIM_400000_NS6detail17trampoline_kernelINS0_14default_configENS1_21merge_config_selectorINS0_5tupleIJxxEEENS0_10empty_typeEEEZNS1_10merge_implIS3_NS0_12zip_iteratorINS5_IJN6thrust23THRUST_200600_302600_NS6detail15normal_iteratorINSC_10device_ptrIKxEEEESI_EEEEESK_NSA_INS5_IJNSC_16discard_iteratorINSC_11use_defaultEEESN_EEEEEPS7_SQ_SQ_NSC_11hip_rocprim7__merge17predicate_wrapperIxxNSC_4lessIxEEEEEE10hipError_tPvRmT0_T1_T2_T3_T4_T5_mmT6_P12ihipStream_tbEUlT_E_NS1_11comp_targetILNS1_3genE4ELNS1_11target_archE910ELNS1_3gpuE8ELNS1_3repE0EEENS1_30default_config_static_selectorELNS0_4arch9wavefront6targetE0EEEvS11_
; %bb.0:
	.section	.rodata,"a",@progbits
	.p2align	6, 0x0
	.amdhsa_kernel _ZN7rocprim17ROCPRIM_400000_NS6detail17trampoline_kernelINS0_14default_configENS1_21merge_config_selectorINS0_5tupleIJxxEEENS0_10empty_typeEEEZNS1_10merge_implIS3_NS0_12zip_iteratorINS5_IJN6thrust23THRUST_200600_302600_NS6detail15normal_iteratorINSC_10device_ptrIKxEEEESI_EEEEESK_NSA_INS5_IJNSC_16discard_iteratorINSC_11use_defaultEEESN_EEEEEPS7_SQ_SQ_NSC_11hip_rocprim7__merge17predicate_wrapperIxxNSC_4lessIxEEEEEE10hipError_tPvRmT0_T1_T2_T3_T4_T5_mmT6_P12ihipStream_tbEUlT_E_NS1_11comp_targetILNS1_3genE4ELNS1_11target_archE910ELNS1_3gpuE8ELNS1_3repE0EEENS1_30default_config_static_selectorELNS0_4arch9wavefront6targetE0EEEvS11_
		.amdhsa_group_segment_fixed_size 0
		.amdhsa_private_segment_fixed_size 0
		.amdhsa_kernarg_size 64
		.amdhsa_user_sgpr_count 6
		.amdhsa_user_sgpr_private_segment_buffer 1
		.amdhsa_user_sgpr_dispatch_ptr 0
		.amdhsa_user_sgpr_queue_ptr 0
		.amdhsa_user_sgpr_kernarg_segment_ptr 1
		.amdhsa_user_sgpr_dispatch_id 0
		.amdhsa_user_sgpr_flat_scratch_init 0
		.amdhsa_user_sgpr_private_segment_size 0
		.amdhsa_wavefront_size32 1
		.amdhsa_uses_dynamic_stack 0
		.amdhsa_system_sgpr_private_segment_wavefront_offset 0
		.amdhsa_system_sgpr_workgroup_id_x 1
		.amdhsa_system_sgpr_workgroup_id_y 0
		.amdhsa_system_sgpr_workgroup_id_z 0
		.amdhsa_system_sgpr_workgroup_info 0
		.amdhsa_system_vgpr_workitem_id 0
		.amdhsa_next_free_vgpr 1
		.amdhsa_next_free_sgpr 1
		.amdhsa_reserve_vcc 0
		.amdhsa_reserve_flat_scratch 0
		.amdhsa_float_round_mode_32 0
		.amdhsa_float_round_mode_16_64 0
		.amdhsa_float_denorm_mode_32 3
		.amdhsa_float_denorm_mode_16_64 3
		.amdhsa_dx10_clamp 1
		.amdhsa_ieee_mode 1
		.amdhsa_fp16_overflow 0
		.amdhsa_workgroup_processor_mode 1
		.amdhsa_memory_ordered 1
		.amdhsa_forward_progress 1
		.amdhsa_shared_vgpr_count 0
		.amdhsa_exception_fp_ieee_invalid_op 0
		.amdhsa_exception_fp_denorm_src 0
		.amdhsa_exception_fp_ieee_div_zero 0
		.amdhsa_exception_fp_ieee_overflow 0
		.amdhsa_exception_fp_ieee_underflow 0
		.amdhsa_exception_fp_ieee_inexact 0
		.amdhsa_exception_int_div_zero 0
	.end_amdhsa_kernel
	.section	.text._ZN7rocprim17ROCPRIM_400000_NS6detail17trampoline_kernelINS0_14default_configENS1_21merge_config_selectorINS0_5tupleIJxxEEENS0_10empty_typeEEEZNS1_10merge_implIS3_NS0_12zip_iteratorINS5_IJN6thrust23THRUST_200600_302600_NS6detail15normal_iteratorINSC_10device_ptrIKxEEEESI_EEEEESK_NSA_INS5_IJNSC_16discard_iteratorINSC_11use_defaultEEESN_EEEEEPS7_SQ_SQ_NSC_11hip_rocprim7__merge17predicate_wrapperIxxNSC_4lessIxEEEEEE10hipError_tPvRmT0_T1_T2_T3_T4_T5_mmT6_P12ihipStream_tbEUlT_E_NS1_11comp_targetILNS1_3genE4ELNS1_11target_archE910ELNS1_3gpuE8ELNS1_3repE0EEENS1_30default_config_static_selectorELNS0_4arch9wavefront6targetE0EEEvS11_,"axG",@progbits,_ZN7rocprim17ROCPRIM_400000_NS6detail17trampoline_kernelINS0_14default_configENS1_21merge_config_selectorINS0_5tupleIJxxEEENS0_10empty_typeEEEZNS1_10merge_implIS3_NS0_12zip_iteratorINS5_IJN6thrust23THRUST_200600_302600_NS6detail15normal_iteratorINSC_10device_ptrIKxEEEESI_EEEEESK_NSA_INS5_IJNSC_16discard_iteratorINSC_11use_defaultEEESN_EEEEEPS7_SQ_SQ_NSC_11hip_rocprim7__merge17predicate_wrapperIxxNSC_4lessIxEEEEEE10hipError_tPvRmT0_T1_T2_T3_T4_T5_mmT6_P12ihipStream_tbEUlT_E_NS1_11comp_targetILNS1_3genE4ELNS1_11target_archE910ELNS1_3gpuE8ELNS1_3repE0EEENS1_30default_config_static_selectorELNS0_4arch9wavefront6targetE0EEEvS11_,comdat
.Lfunc_end571:
	.size	_ZN7rocprim17ROCPRIM_400000_NS6detail17trampoline_kernelINS0_14default_configENS1_21merge_config_selectorINS0_5tupleIJxxEEENS0_10empty_typeEEEZNS1_10merge_implIS3_NS0_12zip_iteratorINS5_IJN6thrust23THRUST_200600_302600_NS6detail15normal_iteratorINSC_10device_ptrIKxEEEESI_EEEEESK_NSA_INS5_IJNSC_16discard_iteratorINSC_11use_defaultEEESN_EEEEEPS7_SQ_SQ_NSC_11hip_rocprim7__merge17predicate_wrapperIxxNSC_4lessIxEEEEEE10hipError_tPvRmT0_T1_T2_T3_T4_T5_mmT6_P12ihipStream_tbEUlT_E_NS1_11comp_targetILNS1_3genE4ELNS1_11target_archE910ELNS1_3gpuE8ELNS1_3repE0EEENS1_30default_config_static_selectorELNS0_4arch9wavefront6targetE0EEEvS11_, .Lfunc_end571-_ZN7rocprim17ROCPRIM_400000_NS6detail17trampoline_kernelINS0_14default_configENS1_21merge_config_selectorINS0_5tupleIJxxEEENS0_10empty_typeEEEZNS1_10merge_implIS3_NS0_12zip_iteratorINS5_IJN6thrust23THRUST_200600_302600_NS6detail15normal_iteratorINSC_10device_ptrIKxEEEESI_EEEEESK_NSA_INS5_IJNSC_16discard_iteratorINSC_11use_defaultEEESN_EEEEEPS7_SQ_SQ_NSC_11hip_rocprim7__merge17predicate_wrapperIxxNSC_4lessIxEEEEEE10hipError_tPvRmT0_T1_T2_T3_T4_T5_mmT6_P12ihipStream_tbEUlT_E_NS1_11comp_targetILNS1_3genE4ELNS1_11target_archE910ELNS1_3gpuE8ELNS1_3repE0EEENS1_30default_config_static_selectorELNS0_4arch9wavefront6targetE0EEEvS11_
                                        ; -- End function
	.set _ZN7rocprim17ROCPRIM_400000_NS6detail17trampoline_kernelINS0_14default_configENS1_21merge_config_selectorINS0_5tupleIJxxEEENS0_10empty_typeEEEZNS1_10merge_implIS3_NS0_12zip_iteratorINS5_IJN6thrust23THRUST_200600_302600_NS6detail15normal_iteratorINSC_10device_ptrIKxEEEESI_EEEEESK_NSA_INS5_IJNSC_16discard_iteratorINSC_11use_defaultEEESN_EEEEEPS7_SQ_SQ_NSC_11hip_rocprim7__merge17predicate_wrapperIxxNSC_4lessIxEEEEEE10hipError_tPvRmT0_T1_T2_T3_T4_T5_mmT6_P12ihipStream_tbEUlT_E_NS1_11comp_targetILNS1_3genE4ELNS1_11target_archE910ELNS1_3gpuE8ELNS1_3repE0EEENS1_30default_config_static_selectorELNS0_4arch9wavefront6targetE0EEEvS11_.num_vgpr, 0
	.set _ZN7rocprim17ROCPRIM_400000_NS6detail17trampoline_kernelINS0_14default_configENS1_21merge_config_selectorINS0_5tupleIJxxEEENS0_10empty_typeEEEZNS1_10merge_implIS3_NS0_12zip_iteratorINS5_IJN6thrust23THRUST_200600_302600_NS6detail15normal_iteratorINSC_10device_ptrIKxEEEESI_EEEEESK_NSA_INS5_IJNSC_16discard_iteratorINSC_11use_defaultEEESN_EEEEEPS7_SQ_SQ_NSC_11hip_rocprim7__merge17predicate_wrapperIxxNSC_4lessIxEEEEEE10hipError_tPvRmT0_T1_T2_T3_T4_T5_mmT6_P12ihipStream_tbEUlT_E_NS1_11comp_targetILNS1_3genE4ELNS1_11target_archE910ELNS1_3gpuE8ELNS1_3repE0EEENS1_30default_config_static_selectorELNS0_4arch9wavefront6targetE0EEEvS11_.num_agpr, 0
	.set _ZN7rocprim17ROCPRIM_400000_NS6detail17trampoline_kernelINS0_14default_configENS1_21merge_config_selectorINS0_5tupleIJxxEEENS0_10empty_typeEEEZNS1_10merge_implIS3_NS0_12zip_iteratorINS5_IJN6thrust23THRUST_200600_302600_NS6detail15normal_iteratorINSC_10device_ptrIKxEEEESI_EEEEESK_NSA_INS5_IJNSC_16discard_iteratorINSC_11use_defaultEEESN_EEEEEPS7_SQ_SQ_NSC_11hip_rocprim7__merge17predicate_wrapperIxxNSC_4lessIxEEEEEE10hipError_tPvRmT0_T1_T2_T3_T4_T5_mmT6_P12ihipStream_tbEUlT_E_NS1_11comp_targetILNS1_3genE4ELNS1_11target_archE910ELNS1_3gpuE8ELNS1_3repE0EEENS1_30default_config_static_selectorELNS0_4arch9wavefront6targetE0EEEvS11_.numbered_sgpr, 0
	.set _ZN7rocprim17ROCPRIM_400000_NS6detail17trampoline_kernelINS0_14default_configENS1_21merge_config_selectorINS0_5tupleIJxxEEENS0_10empty_typeEEEZNS1_10merge_implIS3_NS0_12zip_iteratorINS5_IJN6thrust23THRUST_200600_302600_NS6detail15normal_iteratorINSC_10device_ptrIKxEEEESI_EEEEESK_NSA_INS5_IJNSC_16discard_iteratorINSC_11use_defaultEEESN_EEEEEPS7_SQ_SQ_NSC_11hip_rocprim7__merge17predicate_wrapperIxxNSC_4lessIxEEEEEE10hipError_tPvRmT0_T1_T2_T3_T4_T5_mmT6_P12ihipStream_tbEUlT_E_NS1_11comp_targetILNS1_3genE4ELNS1_11target_archE910ELNS1_3gpuE8ELNS1_3repE0EEENS1_30default_config_static_selectorELNS0_4arch9wavefront6targetE0EEEvS11_.num_named_barrier, 0
	.set _ZN7rocprim17ROCPRIM_400000_NS6detail17trampoline_kernelINS0_14default_configENS1_21merge_config_selectorINS0_5tupleIJxxEEENS0_10empty_typeEEEZNS1_10merge_implIS3_NS0_12zip_iteratorINS5_IJN6thrust23THRUST_200600_302600_NS6detail15normal_iteratorINSC_10device_ptrIKxEEEESI_EEEEESK_NSA_INS5_IJNSC_16discard_iteratorINSC_11use_defaultEEESN_EEEEEPS7_SQ_SQ_NSC_11hip_rocprim7__merge17predicate_wrapperIxxNSC_4lessIxEEEEEE10hipError_tPvRmT0_T1_T2_T3_T4_T5_mmT6_P12ihipStream_tbEUlT_E_NS1_11comp_targetILNS1_3genE4ELNS1_11target_archE910ELNS1_3gpuE8ELNS1_3repE0EEENS1_30default_config_static_selectorELNS0_4arch9wavefront6targetE0EEEvS11_.private_seg_size, 0
	.set _ZN7rocprim17ROCPRIM_400000_NS6detail17trampoline_kernelINS0_14default_configENS1_21merge_config_selectorINS0_5tupleIJxxEEENS0_10empty_typeEEEZNS1_10merge_implIS3_NS0_12zip_iteratorINS5_IJN6thrust23THRUST_200600_302600_NS6detail15normal_iteratorINSC_10device_ptrIKxEEEESI_EEEEESK_NSA_INS5_IJNSC_16discard_iteratorINSC_11use_defaultEEESN_EEEEEPS7_SQ_SQ_NSC_11hip_rocprim7__merge17predicate_wrapperIxxNSC_4lessIxEEEEEE10hipError_tPvRmT0_T1_T2_T3_T4_T5_mmT6_P12ihipStream_tbEUlT_E_NS1_11comp_targetILNS1_3genE4ELNS1_11target_archE910ELNS1_3gpuE8ELNS1_3repE0EEENS1_30default_config_static_selectorELNS0_4arch9wavefront6targetE0EEEvS11_.uses_vcc, 0
	.set _ZN7rocprim17ROCPRIM_400000_NS6detail17trampoline_kernelINS0_14default_configENS1_21merge_config_selectorINS0_5tupleIJxxEEENS0_10empty_typeEEEZNS1_10merge_implIS3_NS0_12zip_iteratorINS5_IJN6thrust23THRUST_200600_302600_NS6detail15normal_iteratorINSC_10device_ptrIKxEEEESI_EEEEESK_NSA_INS5_IJNSC_16discard_iteratorINSC_11use_defaultEEESN_EEEEEPS7_SQ_SQ_NSC_11hip_rocprim7__merge17predicate_wrapperIxxNSC_4lessIxEEEEEE10hipError_tPvRmT0_T1_T2_T3_T4_T5_mmT6_P12ihipStream_tbEUlT_E_NS1_11comp_targetILNS1_3genE4ELNS1_11target_archE910ELNS1_3gpuE8ELNS1_3repE0EEENS1_30default_config_static_selectorELNS0_4arch9wavefront6targetE0EEEvS11_.uses_flat_scratch, 0
	.set _ZN7rocprim17ROCPRIM_400000_NS6detail17trampoline_kernelINS0_14default_configENS1_21merge_config_selectorINS0_5tupleIJxxEEENS0_10empty_typeEEEZNS1_10merge_implIS3_NS0_12zip_iteratorINS5_IJN6thrust23THRUST_200600_302600_NS6detail15normal_iteratorINSC_10device_ptrIKxEEEESI_EEEEESK_NSA_INS5_IJNSC_16discard_iteratorINSC_11use_defaultEEESN_EEEEEPS7_SQ_SQ_NSC_11hip_rocprim7__merge17predicate_wrapperIxxNSC_4lessIxEEEEEE10hipError_tPvRmT0_T1_T2_T3_T4_T5_mmT6_P12ihipStream_tbEUlT_E_NS1_11comp_targetILNS1_3genE4ELNS1_11target_archE910ELNS1_3gpuE8ELNS1_3repE0EEENS1_30default_config_static_selectorELNS0_4arch9wavefront6targetE0EEEvS11_.has_dyn_sized_stack, 0
	.set _ZN7rocprim17ROCPRIM_400000_NS6detail17trampoline_kernelINS0_14default_configENS1_21merge_config_selectorINS0_5tupleIJxxEEENS0_10empty_typeEEEZNS1_10merge_implIS3_NS0_12zip_iteratorINS5_IJN6thrust23THRUST_200600_302600_NS6detail15normal_iteratorINSC_10device_ptrIKxEEEESI_EEEEESK_NSA_INS5_IJNSC_16discard_iteratorINSC_11use_defaultEEESN_EEEEEPS7_SQ_SQ_NSC_11hip_rocprim7__merge17predicate_wrapperIxxNSC_4lessIxEEEEEE10hipError_tPvRmT0_T1_T2_T3_T4_T5_mmT6_P12ihipStream_tbEUlT_E_NS1_11comp_targetILNS1_3genE4ELNS1_11target_archE910ELNS1_3gpuE8ELNS1_3repE0EEENS1_30default_config_static_selectorELNS0_4arch9wavefront6targetE0EEEvS11_.has_recursion, 0
	.set _ZN7rocprim17ROCPRIM_400000_NS6detail17trampoline_kernelINS0_14default_configENS1_21merge_config_selectorINS0_5tupleIJxxEEENS0_10empty_typeEEEZNS1_10merge_implIS3_NS0_12zip_iteratorINS5_IJN6thrust23THRUST_200600_302600_NS6detail15normal_iteratorINSC_10device_ptrIKxEEEESI_EEEEESK_NSA_INS5_IJNSC_16discard_iteratorINSC_11use_defaultEEESN_EEEEEPS7_SQ_SQ_NSC_11hip_rocprim7__merge17predicate_wrapperIxxNSC_4lessIxEEEEEE10hipError_tPvRmT0_T1_T2_T3_T4_T5_mmT6_P12ihipStream_tbEUlT_E_NS1_11comp_targetILNS1_3genE4ELNS1_11target_archE910ELNS1_3gpuE8ELNS1_3repE0EEENS1_30default_config_static_selectorELNS0_4arch9wavefront6targetE0EEEvS11_.has_indirect_call, 0
	.section	.AMDGPU.csdata,"",@progbits
; Kernel info:
; codeLenInByte = 0
; TotalNumSgprs: 0
; NumVgprs: 0
; ScratchSize: 0
; MemoryBound: 0
; FloatMode: 240
; IeeeMode: 1
; LDSByteSize: 0 bytes/workgroup (compile time only)
; SGPRBlocks: 0
; VGPRBlocks: 0
; NumSGPRsForWavesPerEU: 1
; NumVGPRsForWavesPerEU: 1
; Occupancy: 16
; WaveLimiterHint : 0
; COMPUTE_PGM_RSRC2:SCRATCH_EN: 0
; COMPUTE_PGM_RSRC2:USER_SGPR: 6
; COMPUTE_PGM_RSRC2:TRAP_HANDLER: 0
; COMPUTE_PGM_RSRC2:TGID_X_EN: 1
; COMPUTE_PGM_RSRC2:TGID_Y_EN: 0
; COMPUTE_PGM_RSRC2:TGID_Z_EN: 0
; COMPUTE_PGM_RSRC2:TIDIG_COMP_CNT: 0
	.section	.text._ZN7rocprim17ROCPRIM_400000_NS6detail17trampoline_kernelINS0_14default_configENS1_21merge_config_selectorINS0_5tupleIJxxEEENS0_10empty_typeEEEZNS1_10merge_implIS3_NS0_12zip_iteratorINS5_IJN6thrust23THRUST_200600_302600_NS6detail15normal_iteratorINSC_10device_ptrIKxEEEESI_EEEEESK_NSA_INS5_IJNSC_16discard_iteratorINSC_11use_defaultEEESN_EEEEEPS7_SQ_SQ_NSC_11hip_rocprim7__merge17predicate_wrapperIxxNSC_4lessIxEEEEEE10hipError_tPvRmT0_T1_T2_T3_T4_T5_mmT6_P12ihipStream_tbEUlT_E_NS1_11comp_targetILNS1_3genE3ELNS1_11target_archE908ELNS1_3gpuE7ELNS1_3repE0EEENS1_30default_config_static_selectorELNS0_4arch9wavefront6targetE0EEEvS11_,"axG",@progbits,_ZN7rocprim17ROCPRIM_400000_NS6detail17trampoline_kernelINS0_14default_configENS1_21merge_config_selectorINS0_5tupleIJxxEEENS0_10empty_typeEEEZNS1_10merge_implIS3_NS0_12zip_iteratorINS5_IJN6thrust23THRUST_200600_302600_NS6detail15normal_iteratorINSC_10device_ptrIKxEEEESI_EEEEESK_NSA_INS5_IJNSC_16discard_iteratorINSC_11use_defaultEEESN_EEEEEPS7_SQ_SQ_NSC_11hip_rocprim7__merge17predicate_wrapperIxxNSC_4lessIxEEEEEE10hipError_tPvRmT0_T1_T2_T3_T4_T5_mmT6_P12ihipStream_tbEUlT_E_NS1_11comp_targetILNS1_3genE3ELNS1_11target_archE908ELNS1_3gpuE7ELNS1_3repE0EEENS1_30default_config_static_selectorELNS0_4arch9wavefront6targetE0EEEvS11_,comdat
	.protected	_ZN7rocprim17ROCPRIM_400000_NS6detail17trampoline_kernelINS0_14default_configENS1_21merge_config_selectorINS0_5tupleIJxxEEENS0_10empty_typeEEEZNS1_10merge_implIS3_NS0_12zip_iteratorINS5_IJN6thrust23THRUST_200600_302600_NS6detail15normal_iteratorINSC_10device_ptrIKxEEEESI_EEEEESK_NSA_INS5_IJNSC_16discard_iteratorINSC_11use_defaultEEESN_EEEEEPS7_SQ_SQ_NSC_11hip_rocprim7__merge17predicate_wrapperIxxNSC_4lessIxEEEEEE10hipError_tPvRmT0_T1_T2_T3_T4_T5_mmT6_P12ihipStream_tbEUlT_E_NS1_11comp_targetILNS1_3genE3ELNS1_11target_archE908ELNS1_3gpuE7ELNS1_3repE0EEENS1_30default_config_static_selectorELNS0_4arch9wavefront6targetE0EEEvS11_ ; -- Begin function _ZN7rocprim17ROCPRIM_400000_NS6detail17trampoline_kernelINS0_14default_configENS1_21merge_config_selectorINS0_5tupleIJxxEEENS0_10empty_typeEEEZNS1_10merge_implIS3_NS0_12zip_iteratorINS5_IJN6thrust23THRUST_200600_302600_NS6detail15normal_iteratorINSC_10device_ptrIKxEEEESI_EEEEESK_NSA_INS5_IJNSC_16discard_iteratorINSC_11use_defaultEEESN_EEEEEPS7_SQ_SQ_NSC_11hip_rocprim7__merge17predicate_wrapperIxxNSC_4lessIxEEEEEE10hipError_tPvRmT0_T1_T2_T3_T4_T5_mmT6_P12ihipStream_tbEUlT_E_NS1_11comp_targetILNS1_3genE3ELNS1_11target_archE908ELNS1_3gpuE7ELNS1_3repE0EEENS1_30default_config_static_selectorELNS0_4arch9wavefront6targetE0EEEvS11_
	.globl	_ZN7rocprim17ROCPRIM_400000_NS6detail17trampoline_kernelINS0_14default_configENS1_21merge_config_selectorINS0_5tupleIJxxEEENS0_10empty_typeEEEZNS1_10merge_implIS3_NS0_12zip_iteratorINS5_IJN6thrust23THRUST_200600_302600_NS6detail15normal_iteratorINSC_10device_ptrIKxEEEESI_EEEEESK_NSA_INS5_IJNSC_16discard_iteratorINSC_11use_defaultEEESN_EEEEEPS7_SQ_SQ_NSC_11hip_rocprim7__merge17predicate_wrapperIxxNSC_4lessIxEEEEEE10hipError_tPvRmT0_T1_T2_T3_T4_T5_mmT6_P12ihipStream_tbEUlT_E_NS1_11comp_targetILNS1_3genE3ELNS1_11target_archE908ELNS1_3gpuE7ELNS1_3repE0EEENS1_30default_config_static_selectorELNS0_4arch9wavefront6targetE0EEEvS11_
	.p2align	8
	.type	_ZN7rocprim17ROCPRIM_400000_NS6detail17trampoline_kernelINS0_14default_configENS1_21merge_config_selectorINS0_5tupleIJxxEEENS0_10empty_typeEEEZNS1_10merge_implIS3_NS0_12zip_iteratorINS5_IJN6thrust23THRUST_200600_302600_NS6detail15normal_iteratorINSC_10device_ptrIKxEEEESI_EEEEESK_NSA_INS5_IJNSC_16discard_iteratorINSC_11use_defaultEEESN_EEEEEPS7_SQ_SQ_NSC_11hip_rocprim7__merge17predicate_wrapperIxxNSC_4lessIxEEEEEE10hipError_tPvRmT0_T1_T2_T3_T4_T5_mmT6_P12ihipStream_tbEUlT_E_NS1_11comp_targetILNS1_3genE3ELNS1_11target_archE908ELNS1_3gpuE7ELNS1_3repE0EEENS1_30default_config_static_selectorELNS0_4arch9wavefront6targetE0EEEvS11_,@function
_ZN7rocprim17ROCPRIM_400000_NS6detail17trampoline_kernelINS0_14default_configENS1_21merge_config_selectorINS0_5tupleIJxxEEENS0_10empty_typeEEEZNS1_10merge_implIS3_NS0_12zip_iteratorINS5_IJN6thrust23THRUST_200600_302600_NS6detail15normal_iteratorINSC_10device_ptrIKxEEEESI_EEEEESK_NSA_INS5_IJNSC_16discard_iteratorINSC_11use_defaultEEESN_EEEEEPS7_SQ_SQ_NSC_11hip_rocprim7__merge17predicate_wrapperIxxNSC_4lessIxEEEEEE10hipError_tPvRmT0_T1_T2_T3_T4_T5_mmT6_P12ihipStream_tbEUlT_E_NS1_11comp_targetILNS1_3genE3ELNS1_11target_archE908ELNS1_3gpuE7ELNS1_3repE0EEENS1_30default_config_static_selectorELNS0_4arch9wavefront6targetE0EEEvS11_: ; @_ZN7rocprim17ROCPRIM_400000_NS6detail17trampoline_kernelINS0_14default_configENS1_21merge_config_selectorINS0_5tupleIJxxEEENS0_10empty_typeEEEZNS1_10merge_implIS3_NS0_12zip_iteratorINS5_IJN6thrust23THRUST_200600_302600_NS6detail15normal_iteratorINSC_10device_ptrIKxEEEESI_EEEEESK_NSA_INS5_IJNSC_16discard_iteratorINSC_11use_defaultEEESN_EEEEEPS7_SQ_SQ_NSC_11hip_rocprim7__merge17predicate_wrapperIxxNSC_4lessIxEEEEEE10hipError_tPvRmT0_T1_T2_T3_T4_T5_mmT6_P12ihipStream_tbEUlT_E_NS1_11comp_targetILNS1_3genE3ELNS1_11target_archE908ELNS1_3gpuE7ELNS1_3repE0EEENS1_30default_config_static_selectorELNS0_4arch9wavefront6targetE0EEEvS11_
; %bb.0:
	.section	.rodata,"a",@progbits
	.p2align	6, 0x0
	.amdhsa_kernel _ZN7rocprim17ROCPRIM_400000_NS6detail17trampoline_kernelINS0_14default_configENS1_21merge_config_selectorINS0_5tupleIJxxEEENS0_10empty_typeEEEZNS1_10merge_implIS3_NS0_12zip_iteratorINS5_IJN6thrust23THRUST_200600_302600_NS6detail15normal_iteratorINSC_10device_ptrIKxEEEESI_EEEEESK_NSA_INS5_IJNSC_16discard_iteratorINSC_11use_defaultEEESN_EEEEEPS7_SQ_SQ_NSC_11hip_rocprim7__merge17predicate_wrapperIxxNSC_4lessIxEEEEEE10hipError_tPvRmT0_T1_T2_T3_T4_T5_mmT6_P12ihipStream_tbEUlT_E_NS1_11comp_targetILNS1_3genE3ELNS1_11target_archE908ELNS1_3gpuE7ELNS1_3repE0EEENS1_30default_config_static_selectorELNS0_4arch9wavefront6targetE0EEEvS11_
		.amdhsa_group_segment_fixed_size 0
		.amdhsa_private_segment_fixed_size 0
		.amdhsa_kernarg_size 64
		.amdhsa_user_sgpr_count 6
		.amdhsa_user_sgpr_private_segment_buffer 1
		.amdhsa_user_sgpr_dispatch_ptr 0
		.amdhsa_user_sgpr_queue_ptr 0
		.amdhsa_user_sgpr_kernarg_segment_ptr 1
		.amdhsa_user_sgpr_dispatch_id 0
		.amdhsa_user_sgpr_flat_scratch_init 0
		.amdhsa_user_sgpr_private_segment_size 0
		.amdhsa_wavefront_size32 1
		.amdhsa_uses_dynamic_stack 0
		.amdhsa_system_sgpr_private_segment_wavefront_offset 0
		.amdhsa_system_sgpr_workgroup_id_x 1
		.amdhsa_system_sgpr_workgroup_id_y 0
		.amdhsa_system_sgpr_workgroup_id_z 0
		.amdhsa_system_sgpr_workgroup_info 0
		.amdhsa_system_vgpr_workitem_id 0
		.amdhsa_next_free_vgpr 1
		.amdhsa_next_free_sgpr 1
		.amdhsa_reserve_vcc 0
		.amdhsa_reserve_flat_scratch 0
		.amdhsa_float_round_mode_32 0
		.amdhsa_float_round_mode_16_64 0
		.amdhsa_float_denorm_mode_32 3
		.amdhsa_float_denorm_mode_16_64 3
		.amdhsa_dx10_clamp 1
		.amdhsa_ieee_mode 1
		.amdhsa_fp16_overflow 0
		.amdhsa_workgroup_processor_mode 1
		.amdhsa_memory_ordered 1
		.amdhsa_forward_progress 1
		.amdhsa_shared_vgpr_count 0
		.amdhsa_exception_fp_ieee_invalid_op 0
		.amdhsa_exception_fp_denorm_src 0
		.amdhsa_exception_fp_ieee_div_zero 0
		.amdhsa_exception_fp_ieee_overflow 0
		.amdhsa_exception_fp_ieee_underflow 0
		.amdhsa_exception_fp_ieee_inexact 0
		.amdhsa_exception_int_div_zero 0
	.end_amdhsa_kernel
	.section	.text._ZN7rocprim17ROCPRIM_400000_NS6detail17trampoline_kernelINS0_14default_configENS1_21merge_config_selectorINS0_5tupleIJxxEEENS0_10empty_typeEEEZNS1_10merge_implIS3_NS0_12zip_iteratorINS5_IJN6thrust23THRUST_200600_302600_NS6detail15normal_iteratorINSC_10device_ptrIKxEEEESI_EEEEESK_NSA_INS5_IJNSC_16discard_iteratorINSC_11use_defaultEEESN_EEEEEPS7_SQ_SQ_NSC_11hip_rocprim7__merge17predicate_wrapperIxxNSC_4lessIxEEEEEE10hipError_tPvRmT0_T1_T2_T3_T4_T5_mmT6_P12ihipStream_tbEUlT_E_NS1_11comp_targetILNS1_3genE3ELNS1_11target_archE908ELNS1_3gpuE7ELNS1_3repE0EEENS1_30default_config_static_selectorELNS0_4arch9wavefront6targetE0EEEvS11_,"axG",@progbits,_ZN7rocprim17ROCPRIM_400000_NS6detail17trampoline_kernelINS0_14default_configENS1_21merge_config_selectorINS0_5tupleIJxxEEENS0_10empty_typeEEEZNS1_10merge_implIS3_NS0_12zip_iteratorINS5_IJN6thrust23THRUST_200600_302600_NS6detail15normal_iteratorINSC_10device_ptrIKxEEEESI_EEEEESK_NSA_INS5_IJNSC_16discard_iteratorINSC_11use_defaultEEESN_EEEEEPS7_SQ_SQ_NSC_11hip_rocprim7__merge17predicate_wrapperIxxNSC_4lessIxEEEEEE10hipError_tPvRmT0_T1_T2_T3_T4_T5_mmT6_P12ihipStream_tbEUlT_E_NS1_11comp_targetILNS1_3genE3ELNS1_11target_archE908ELNS1_3gpuE7ELNS1_3repE0EEENS1_30default_config_static_selectorELNS0_4arch9wavefront6targetE0EEEvS11_,comdat
.Lfunc_end572:
	.size	_ZN7rocprim17ROCPRIM_400000_NS6detail17trampoline_kernelINS0_14default_configENS1_21merge_config_selectorINS0_5tupleIJxxEEENS0_10empty_typeEEEZNS1_10merge_implIS3_NS0_12zip_iteratorINS5_IJN6thrust23THRUST_200600_302600_NS6detail15normal_iteratorINSC_10device_ptrIKxEEEESI_EEEEESK_NSA_INS5_IJNSC_16discard_iteratorINSC_11use_defaultEEESN_EEEEEPS7_SQ_SQ_NSC_11hip_rocprim7__merge17predicate_wrapperIxxNSC_4lessIxEEEEEE10hipError_tPvRmT0_T1_T2_T3_T4_T5_mmT6_P12ihipStream_tbEUlT_E_NS1_11comp_targetILNS1_3genE3ELNS1_11target_archE908ELNS1_3gpuE7ELNS1_3repE0EEENS1_30default_config_static_selectorELNS0_4arch9wavefront6targetE0EEEvS11_, .Lfunc_end572-_ZN7rocprim17ROCPRIM_400000_NS6detail17trampoline_kernelINS0_14default_configENS1_21merge_config_selectorINS0_5tupleIJxxEEENS0_10empty_typeEEEZNS1_10merge_implIS3_NS0_12zip_iteratorINS5_IJN6thrust23THRUST_200600_302600_NS6detail15normal_iteratorINSC_10device_ptrIKxEEEESI_EEEEESK_NSA_INS5_IJNSC_16discard_iteratorINSC_11use_defaultEEESN_EEEEEPS7_SQ_SQ_NSC_11hip_rocprim7__merge17predicate_wrapperIxxNSC_4lessIxEEEEEE10hipError_tPvRmT0_T1_T2_T3_T4_T5_mmT6_P12ihipStream_tbEUlT_E_NS1_11comp_targetILNS1_3genE3ELNS1_11target_archE908ELNS1_3gpuE7ELNS1_3repE0EEENS1_30default_config_static_selectorELNS0_4arch9wavefront6targetE0EEEvS11_
                                        ; -- End function
	.set _ZN7rocprim17ROCPRIM_400000_NS6detail17trampoline_kernelINS0_14default_configENS1_21merge_config_selectorINS0_5tupleIJxxEEENS0_10empty_typeEEEZNS1_10merge_implIS3_NS0_12zip_iteratorINS5_IJN6thrust23THRUST_200600_302600_NS6detail15normal_iteratorINSC_10device_ptrIKxEEEESI_EEEEESK_NSA_INS5_IJNSC_16discard_iteratorINSC_11use_defaultEEESN_EEEEEPS7_SQ_SQ_NSC_11hip_rocprim7__merge17predicate_wrapperIxxNSC_4lessIxEEEEEE10hipError_tPvRmT0_T1_T2_T3_T4_T5_mmT6_P12ihipStream_tbEUlT_E_NS1_11comp_targetILNS1_3genE3ELNS1_11target_archE908ELNS1_3gpuE7ELNS1_3repE0EEENS1_30default_config_static_selectorELNS0_4arch9wavefront6targetE0EEEvS11_.num_vgpr, 0
	.set _ZN7rocprim17ROCPRIM_400000_NS6detail17trampoline_kernelINS0_14default_configENS1_21merge_config_selectorINS0_5tupleIJxxEEENS0_10empty_typeEEEZNS1_10merge_implIS3_NS0_12zip_iteratorINS5_IJN6thrust23THRUST_200600_302600_NS6detail15normal_iteratorINSC_10device_ptrIKxEEEESI_EEEEESK_NSA_INS5_IJNSC_16discard_iteratorINSC_11use_defaultEEESN_EEEEEPS7_SQ_SQ_NSC_11hip_rocprim7__merge17predicate_wrapperIxxNSC_4lessIxEEEEEE10hipError_tPvRmT0_T1_T2_T3_T4_T5_mmT6_P12ihipStream_tbEUlT_E_NS1_11comp_targetILNS1_3genE3ELNS1_11target_archE908ELNS1_3gpuE7ELNS1_3repE0EEENS1_30default_config_static_selectorELNS0_4arch9wavefront6targetE0EEEvS11_.num_agpr, 0
	.set _ZN7rocprim17ROCPRIM_400000_NS6detail17trampoline_kernelINS0_14default_configENS1_21merge_config_selectorINS0_5tupleIJxxEEENS0_10empty_typeEEEZNS1_10merge_implIS3_NS0_12zip_iteratorINS5_IJN6thrust23THRUST_200600_302600_NS6detail15normal_iteratorINSC_10device_ptrIKxEEEESI_EEEEESK_NSA_INS5_IJNSC_16discard_iteratorINSC_11use_defaultEEESN_EEEEEPS7_SQ_SQ_NSC_11hip_rocprim7__merge17predicate_wrapperIxxNSC_4lessIxEEEEEE10hipError_tPvRmT0_T1_T2_T3_T4_T5_mmT6_P12ihipStream_tbEUlT_E_NS1_11comp_targetILNS1_3genE3ELNS1_11target_archE908ELNS1_3gpuE7ELNS1_3repE0EEENS1_30default_config_static_selectorELNS0_4arch9wavefront6targetE0EEEvS11_.numbered_sgpr, 0
	.set _ZN7rocprim17ROCPRIM_400000_NS6detail17trampoline_kernelINS0_14default_configENS1_21merge_config_selectorINS0_5tupleIJxxEEENS0_10empty_typeEEEZNS1_10merge_implIS3_NS0_12zip_iteratorINS5_IJN6thrust23THRUST_200600_302600_NS6detail15normal_iteratorINSC_10device_ptrIKxEEEESI_EEEEESK_NSA_INS5_IJNSC_16discard_iteratorINSC_11use_defaultEEESN_EEEEEPS7_SQ_SQ_NSC_11hip_rocprim7__merge17predicate_wrapperIxxNSC_4lessIxEEEEEE10hipError_tPvRmT0_T1_T2_T3_T4_T5_mmT6_P12ihipStream_tbEUlT_E_NS1_11comp_targetILNS1_3genE3ELNS1_11target_archE908ELNS1_3gpuE7ELNS1_3repE0EEENS1_30default_config_static_selectorELNS0_4arch9wavefront6targetE0EEEvS11_.num_named_barrier, 0
	.set _ZN7rocprim17ROCPRIM_400000_NS6detail17trampoline_kernelINS0_14default_configENS1_21merge_config_selectorINS0_5tupleIJxxEEENS0_10empty_typeEEEZNS1_10merge_implIS3_NS0_12zip_iteratorINS5_IJN6thrust23THRUST_200600_302600_NS6detail15normal_iteratorINSC_10device_ptrIKxEEEESI_EEEEESK_NSA_INS5_IJNSC_16discard_iteratorINSC_11use_defaultEEESN_EEEEEPS7_SQ_SQ_NSC_11hip_rocprim7__merge17predicate_wrapperIxxNSC_4lessIxEEEEEE10hipError_tPvRmT0_T1_T2_T3_T4_T5_mmT6_P12ihipStream_tbEUlT_E_NS1_11comp_targetILNS1_3genE3ELNS1_11target_archE908ELNS1_3gpuE7ELNS1_3repE0EEENS1_30default_config_static_selectorELNS0_4arch9wavefront6targetE0EEEvS11_.private_seg_size, 0
	.set _ZN7rocprim17ROCPRIM_400000_NS6detail17trampoline_kernelINS0_14default_configENS1_21merge_config_selectorINS0_5tupleIJxxEEENS0_10empty_typeEEEZNS1_10merge_implIS3_NS0_12zip_iteratorINS5_IJN6thrust23THRUST_200600_302600_NS6detail15normal_iteratorINSC_10device_ptrIKxEEEESI_EEEEESK_NSA_INS5_IJNSC_16discard_iteratorINSC_11use_defaultEEESN_EEEEEPS7_SQ_SQ_NSC_11hip_rocprim7__merge17predicate_wrapperIxxNSC_4lessIxEEEEEE10hipError_tPvRmT0_T1_T2_T3_T4_T5_mmT6_P12ihipStream_tbEUlT_E_NS1_11comp_targetILNS1_3genE3ELNS1_11target_archE908ELNS1_3gpuE7ELNS1_3repE0EEENS1_30default_config_static_selectorELNS0_4arch9wavefront6targetE0EEEvS11_.uses_vcc, 0
	.set _ZN7rocprim17ROCPRIM_400000_NS6detail17trampoline_kernelINS0_14default_configENS1_21merge_config_selectorINS0_5tupleIJxxEEENS0_10empty_typeEEEZNS1_10merge_implIS3_NS0_12zip_iteratorINS5_IJN6thrust23THRUST_200600_302600_NS6detail15normal_iteratorINSC_10device_ptrIKxEEEESI_EEEEESK_NSA_INS5_IJNSC_16discard_iteratorINSC_11use_defaultEEESN_EEEEEPS7_SQ_SQ_NSC_11hip_rocprim7__merge17predicate_wrapperIxxNSC_4lessIxEEEEEE10hipError_tPvRmT0_T1_T2_T3_T4_T5_mmT6_P12ihipStream_tbEUlT_E_NS1_11comp_targetILNS1_3genE3ELNS1_11target_archE908ELNS1_3gpuE7ELNS1_3repE0EEENS1_30default_config_static_selectorELNS0_4arch9wavefront6targetE0EEEvS11_.uses_flat_scratch, 0
	.set _ZN7rocprim17ROCPRIM_400000_NS6detail17trampoline_kernelINS0_14default_configENS1_21merge_config_selectorINS0_5tupleIJxxEEENS0_10empty_typeEEEZNS1_10merge_implIS3_NS0_12zip_iteratorINS5_IJN6thrust23THRUST_200600_302600_NS6detail15normal_iteratorINSC_10device_ptrIKxEEEESI_EEEEESK_NSA_INS5_IJNSC_16discard_iteratorINSC_11use_defaultEEESN_EEEEEPS7_SQ_SQ_NSC_11hip_rocprim7__merge17predicate_wrapperIxxNSC_4lessIxEEEEEE10hipError_tPvRmT0_T1_T2_T3_T4_T5_mmT6_P12ihipStream_tbEUlT_E_NS1_11comp_targetILNS1_3genE3ELNS1_11target_archE908ELNS1_3gpuE7ELNS1_3repE0EEENS1_30default_config_static_selectorELNS0_4arch9wavefront6targetE0EEEvS11_.has_dyn_sized_stack, 0
	.set _ZN7rocprim17ROCPRIM_400000_NS6detail17trampoline_kernelINS0_14default_configENS1_21merge_config_selectorINS0_5tupleIJxxEEENS0_10empty_typeEEEZNS1_10merge_implIS3_NS0_12zip_iteratorINS5_IJN6thrust23THRUST_200600_302600_NS6detail15normal_iteratorINSC_10device_ptrIKxEEEESI_EEEEESK_NSA_INS5_IJNSC_16discard_iteratorINSC_11use_defaultEEESN_EEEEEPS7_SQ_SQ_NSC_11hip_rocprim7__merge17predicate_wrapperIxxNSC_4lessIxEEEEEE10hipError_tPvRmT0_T1_T2_T3_T4_T5_mmT6_P12ihipStream_tbEUlT_E_NS1_11comp_targetILNS1_3genE3ELNS1_11target_archE908ELNS1_3gpuE7ELNS1_3repE0EEENS1_30default_config_static_selectorELNS0_4arch9wavefront6targetE0EEEvS11_.has_recursion, 0
	.set _ZN7rocprim17ROCPRIM_400000_NS6detail17trampoline_kernelINS0_14default_configENS1_21merge_config_selectorINS0_5tupleIJxxEEENS0_10empty_typeEEEZNS1_10merge_implIS3_NS0_12zip_iteratorINS5_IJN6thrust23THRUST_200600_302600_NS6detail15normal_iteratorINSC_10device_ptrIKxEEEESI_EEEEESK_NSA_INS5_IJNSC_16discard_iteratorINSC_11use_defaultEEESN_EEEEEPS7_SQ_SQ_NSC_11hip_rocprim7__merge17predicate_wrapperIxxNSC_4lessIxEEEEEE10hipError_tPvRmT0_T1_T2_T3_T4_T5_mmT6_P12ihipStream_tbEUlT_E_NS1_11comp_targetILNS1_3genE3ELNS1_11target_archE908ELNS1_3gpuE7ELNS1_3repE0EEENS1_30default_config_static_selectorELNS0_4arch9wavefront6targetE0EEEvS11_.has_indirect_call, 0
	.section	.AMDGPU.csdata,"",@progbits
; Kernel info:
; codeLenInByte = 0
; TotalNumSgprs: 0
; NumVgprs: 0
; ScratchSize: 0
; MemoryBound: 0
; FloatMode: 240
; IeeeMode: 1
; LDSByteSize: 0 bytes/workgroup (compile time only)
; SGPRBlocks: 0
; VGPRBlocks: 0
; NumSGPRsForWavesPerEU: 1
; NumVGPRsForWavesPerEU: 1
; Occupancy: 16
; WaveLimiterHint : 0
; COMPUTE_PGM_RSRC2:SCRATCH_EN: 0
; COMPUTE_PGM_RSRC2:USER_SGPR: 6
; COMPUTE_PGM_RSRC2:TRAP_HANDLER: 0
; COMPUTE_PGM_RSRC2:TGID_X_EN: 1
; COMPUTE_PGM_RSRC2:TGID_Y_EN: 0
; COMPUTE_PGM_RSRC2:TGID_Z_EN: 0
; COMPUTE_PGM_RSRC2:TIDIG_COMP_CNT: 0
	.section	.text._ZN7rocprim17ROCPRIM_400000_NS6detail17trampoline_kernelINS0_14default_configENS1_21merge_config_selectorINS0_5tupleIJxxEEENS0_10empty_typeEEEZNS1_10merge_implIS3_NS0_12zip_iteratorINS5_IJN6thrust23THRUST_200600_302600_NS6detail15normal_iteratorINSC_10device_ptrIKxEEEESI_EEEEESK_NSA_INS5_IJNSC_16discard_iteratorINSC_11use_defaultEEESN_EEEEEPS7_SQ_SQ_NSC_11hip_rocprim7__merge17predicate_wrapperIxxNSC_4lessIxEEEEEE10hipError_tPvRmT0_T1_T2_T3_T4_T5_mmT6_P12ihipStream_tbEUlT_E_NS1_11comp_targetILNS1_3genE2ELNS1_11target_archE906ELNS1_3gpuE6ELNS1_3repE0EEENS1_30default_config_static_selectorELNS0_4arch9wavefront6targetE0EEEvS11_,"axG",@progbits,_ZN7rocprim17ROCPRIM_400000_NS6detail17trampoline_kernelINS0_14default_configENS1_21merge_config_selectorINS0_5tupleIJxxEEENS0_10empty_typeEEEZNS1_10merge_implIS3_NS0_12zip_iteratorINS5_IJN6thrust23THRUST_200600_302600_NS6detail15normal_iteratorINSC_10device_ptrIKxEEEESI_EEEEESK_NSA_INS5_IJNSC_16discard_iteratorINSC_11use_defaultEEESN_EEEEEPS7_SQ_SQ_NSC_11hip_rocprim7__merge17predicate_wrapperIxxNSC_4lessIxEEEEEE10hipError_tPvRmT0_T1_T2_T3_T4_T5_mmT6_P12ihipStream_tbEUlT_E_NS1_11comp_targetILNS1_3genE2ELNS1_11target_archE906ELNS1_3gpuE6ELNS1_3repE0EEENS1_30default_config_static_selectorELNS0_4arch9wavefront6targetE0EEEvS11_,comdat
	.protected	_ZN7rocprim17ROCPRIM_400000_NS6detail17trampoline_kernelINS0_14default_configENS1_21merge_config_selectorINS0_5tupleIJxxEEENS0_10empty_typeEEEZNS1_10merge_implIS3_NS0_12zip_iteratorINS5_IJN6thrust23THRUST_200600_302600_NS6detail15normal_iteratorINSC_10device_ptrIKxEEEESI_EEEEESK_NSA_INS5_IJNSC_16discard_iteratorINSC_11use_defaultEEESN_EEEEEPS7_SQ_SQ_NSC_11hip_rocprim7__merge17predicate_wrapperIxxNSC_4lessIxEEEEEE10hipError_tPvRmT0_T1_T2_T3_T4_T5_mmT6_P12ihipStream_tbEUlT_E_NS1_11comp_targetILNS1_3genE2ELNS1_11target_archE906ELNS1_3gpuE6ELNS1_3repE0EEENS1_30default_config_static_selectorELNS0_4arch9wavefront6targetE0EEEvS11_ ; -- Begin function _ZN7rocprim17ROCPRIM_400000_NS6detail17trampoline_kernelINS0_14default_configENS1_21merge_config_selectorINS0_5tupleIJxxEEENS0_10empty_typeEEEZNS1_10merge_implIS3_NS0_12zip_iteratorINS5_IJN6thrust23THRUST_200600_302600_NS6detail15normal_iteratorINSC_10device_ptrIKxEEEESI_EEEEESK_NSA_INS5_IJNSC_16discard_iteratorINSC_11use_defaultEEESN_EEEEEPS7_SQ_SQ_NSC_11hip_rocprim7__merge17predicate_wrapperIxxNSC_4lessIxEEEEEE10hipError_tPvRmT0_T1_T2_T3_T4_T5_mmT6_P12ihipStream_tbEUlT_E_NS1_11comp_targetILNS1_3genE2ELNS1_11target_archE906ELNS1_3gpuE6ELNS1_3repE0EEENS1_30default_config_static_selectorELNS0_4arch9wavefront6targetE0EEEvS11_
	.globl	_ZN7rocprim17ROCPRIM_400000_NS6detail17trampoline_kernelINS0_14default_configENS1_21merge_config_selectorINS0_5tupleIJxxEEENS0_10empty_typeEEEZNS1_10merge_implIS3_NS0_12zip_iteratorINS5_IJN6thrust23THRUST_200600_302600_NS6detail15normal_iteratorINSC_10device_ptrIKxEEEESI_EEEEESK_NSA_INS5_IJNSC_16discard_iteratorINSC_11use_defaultEEESN_EEEEEPS7_SQ_SQ_NSC_11hip_rocprim7__merge17predicate_wrapperIxxNSC_4lessIxEEEEEE10hipError_tPvRmT0_T1_T2_T3_T4_T5_mmT6_P12ihipStream_tbEUlT_E_NS1_11comp_targetILNS1_3genE2ELNS1_11target_archE906ELNS1_3gpuE6ELNS1_3repE0EEENS1_30default_config_static_selectorELNS0_4arch9wavefront6targetE0EEEvS11_
	.p2align	8
	.type	_ZN7rocprim17ROCPRIM_400000_NS6detail17trampoline_kernelINS0_14default_configENS1_21merge_config_selectorINS0_5tupleIJxxEEENS0_10empty_typeEEEZNS1_10merge_implIS3_NS0_12zip_iteratorINS5_IJN6thrust23THRUST_200600_302600_NS6detail15normal_iteratorINSC_10device_ptrIKxEEEESI_EEEEESK_NSA_INS5_IJNSC_16discard_iteratorINSC_11use_defaultEEESN_EEEEEPS7_SQ_SQ_NSC_11hip_rocprim7__merge17predicate_wrapperIxxNSC_4lessIxEEEEEE10hipError_tPvRmT0_T1_T2_T3_T4_T5_mmT6_P12ihipStream_tbEUlT_E_NS1_11comp_targetILNS1_3genE2ELNS1_11target_archE906ELNS1_3gpuE6ELNS1_3repE0EEENS1_30default_config_static_selectorELNS0_4arch9wavefront6targetE0EEEvS11_,@function
_ZN7rocprim17ROCPRIM_400000_NS6detail17trampoline_kernelINS0_14default_configENS1_21merge_config_selectorINS0_5tupleIJxxEEENS0_10empty_typeEEEZNS1_10merge_implIS3_NS0_12zip_iteratorINS5_IJN6thrust23THRUST_200600_302600_NS6detail15normal_iteratorINSC_10device_ptrIKxEEEESI_EEEEESK_NSA_INS5_IJNSC_16discard_iteratorINSC_11use_defaultEEESN_EEEEEPS7_SQ_SQ_NSC_11hip_rocprim7__merge17predicate_wrapperIxxNSC_4lessIxEEEEEE10hipError_tPvRmT0_T1_T2_T3_T4_T5_mmT6_P12ihipStream_tbEUlT_E_NS1_11comp_targetILNS1_3genE2ELNS1_11target_archE906ELNS1_3gpuE6ELNS1_3repE0EEENS1_30default_config_static_selectorELNS0_4arch9wavefront6targetE0EEEvS11_: ; @_ZN7rocprim17ROCPRIM_400000_NS6detail17trampoline_kernelINS0_14default_configENS1_21merge_config_selectorINS0_5tupleIJxxEEENS0_10empty_typeEEEZNS1_10merge_implIS3_NS0_12zip_iteratorINS5_IJN6thrust23THRUST_200600_302600_NS6detail15normal_iteratorINSC_10device_ptrIKxEEEESI_EEEEESK_NSA_INS5_IJNSC_16discard_iteratorINSC_11use_defaultEEESN_EEEEEPS7_SQ_SQ_NSC_11hip_rocprim7__merge17predicate_wrapperIxxNSC_4lessIxEEEEEE10hipError_tPvRmT0_T1_T2_T3_T4_T5_mmT6_P12ihipStream_tbEUlT_E_NS1_11comp_targetILNS1_3genE2ELNS1_11target_archE906ELNS1_3gpuE6ELNS1_3repE0EEENS1_30default_config_static_selectorELNS0_4arch9wavefront6targetE0EEEvS11_
; %bb.0:
	.section	.rodata,"a",@progbits
	.p2align	6, 0x0
	.amdhsa_kernel _ZN7rocprim17ROCPRIM_400000_NS6detail17trampoline_kernelINS0_14default_configENS1_21merge_config_selectorINS0_5tupleIJxxEEENS0_10empty_typeEEEZNS1_10merge_implIS3_NS0_12zip_iteratorINS5_IJN6thrust23THRUST_200600_302600_NS6detail15normal_iteratorINSC_10device_ptrIKxEEEESI_EEEEESK_NSA_INS5_IJNSC_16discard_iteratorINSC_11use_defaultEEESN_EEEEEPS7_SQ_SQ_NSC_11hip_rocprim7__merge17predicate_wrapperIxxNSC_4lessIxEEEEEE10hipError_tPvRmT0_T1_T2_T3_T4_T5_mmT6_P12ihipStream_tbEUlT_E_NS1_11comp_targetILNS1_3genE2ELNS1_11target_archE906ELNS1_3gpuE6ELNS1_3repE0EEENS1_30default_config_static_selectorELNS0_4arch9wavefront6targetE0EEEvS11_
		.amdhsa_group_segment_fixed_size 0
		.amdhsa_private_segment_fixed_size 0
		.amdhsa_kernarg_size 64
		.amdhsa_user_sgpr_count 6
		.amdhsa_user_sgpr_private_segment_buffer 1
		.amdhsa_user_sgpr_dispatch_ptr 0
		.amdhsa_user_sgpr_queue_ptr 0
		.amdhsa_user_sgpr_kernarg_segment_ptr 1
		.amdhsa_user_sgpr_dispatch_id 0
		.amdhsa_user_sgpr_flat_scratch_init 0
		.amdhsa_user_sgpr_private_segment_size 0
		.amdhsa_wavefront_size32 1
		.amdhsa_uses_dynamic_stack 0
		.amdhsa_system_sgpr_private_segment_wavefront_offset 0
		.amdhsa_system_sgpr_workgroup_id_x 1
		.amdhsa_system_sgpr_workgroup_id_y 0
		.amdhsa_system_sgpr_workgroup_id_z 0
		.amdhsa_system_sgpr_workgroup_info 0
		.amdhsa_system_vgpr_workitem_id 0
		.amdhsa_next_free_vgpr 1
		.amdhsa_next_free_sgpr 1
		.amdhsa_reserve_vcc 0
		.amdhsa_reserve_flat_scratch 0
		.amdhsa_float_round_mode_32 0
		.amdhsa_float_round_mode_16_64 0
		.amdhsa_float_denorm_mode_32 3
		.amdhsa_float_denorm_mode_16_64 3
		.amdhsa_dx10_clamp 1
		.amdhsa_ieee_mode 1
		.amdhsa_fp16_overflow 0
		.amdhsa_workgroup_processor_mode 1
		.amdhsa_memory_ordered 1
		.amdhsa_forward_progress 1
		.amdhsa_shared_vgpr_count 0
		.amdhsa_exception_fp_ieee_invalid_op 0
		.amdhsa_exception_fp_denorm_src 0
		.amdhsa_exception_fp_ieee_div_zero 0
		.amdhsa_exception_fp_ieee_overflow 0
		.amdhsa_exception_fp_ieee_underflow 0
		.amdhsa_exception_fp_ieee_inexact 0
		.amdhsa_exception_int_div_zero 0
	.end_amdhsa_kernel
	.section	.text._ZN7rocprim17ROCPRIM_400000_NS6detail17trampoline_kernelINS0_14default_configENS1_21merge_config_selectorINS0_5tupleIJxxEEENS0_10empty_typeEEEZNS1_10merge_implIS3_NS0_12zip_iteratorINS5_IJN6thrust23THRUST_200600_302600_NS6detail15normal_iteratorINSC_10device_ptrIKxEEEESI_EEEEESK_NSA_INS5_IJNSC_16discard_iteratorINSC_11use_defaultEEESN_EEEEEPS7_SQ_SQ_NSC_11hip_rocprim7__merge17predicate_wrapperIxxNSC_4lessIxEEEEEE10hipError_tPvRmT0_T1_T2_T3_T4_T5_mmT6_P12ihipStream_tbEUlT_E_NS1_11comp_targetILNS1_3genE2ELNS1_11target_archE906ELNS1_3gpuE6ELNS1_3repE0EEENS1_30default_config_static_selectorELNS0_4arch9wavefront6targetE0EEEvS11_,"axG",@progbits,_ZN7rocprim17ROCPRIM_400000_NS6detail17trampoline_kernelINS0_14default_configENS1_21merge_config_selectorINS0_5tupleIJxxEEENS0_10empty_typeEEEZNS1_10merge_implIS3_NS0_12zip_iteratorINS5_IJN6thrust23THRUST_200600_302600_NS6detail15normal_iteratorINSC_10device_ptrIKxEEEESI_EEEEESK_NSA_INS5_IJNSC_16discard_iteratorINSC_11use_defaultEEESN_EEEEEPS7_SQ_SQ_NSC_11hip_rocprim7__merge17predicate_wrapperIxxNSC_4lessIxEEEEEE10hipError_tPvRmT0_T1_T2_T3_T4_T5_mmT6_P12ihipStream_tbEUlT_E_NS1_11comp_targetILNS1_3genE2ELNS1_11target_archE906ELNS1_3gpuE6ELNS1_3repE0EEENS1_30default_config_static_selectorELNS0_4arch9wavefront6targetE0EEEvS11_,comdat
.Lfunc_end573:
	.size	_ZN7rocprim17ROCPRIM_400000_NS6detail17trampoline_kernelINS0_14default_configENS1_21merge_config_selectorINS0_5tupleIJxxEEENS0_10empty_typeEEEZNS1_10merge_implIS3_NS0_12zip_iteratorINS5_IJN6thrust23THRUST_200600_302600_NS6detail15normal_iteratorINSC_10device_ptrIKxEEEESI_EEEEESK_NSA_INS5_IJNSC_16discard_iteratorINSC_11use_defaultEEESN_EEEEEPS7_SQ_SQ_NSC_11hip_rocprim7__merge17predicate_wrapperIxxNSC_4lessIxEEEEEE10hipError_tPvRmT0_T1_T2_T3_T4_T5_mmT6_P12ihipStream_tbEUlT_E_NS1_11comp_targetILNS1_3genE2ELNS1_11target_archE906ELNS1_3gpuE6ELNS1_3repE0EEENS1_30default_config_static_selectorELNS0_4arch9wavefront6targetE0EEEvS11_, .Lfunc_end573-_ZN7rocprim17ROCPRIM_400000_NS6detail17trampoline_kernelINS0_14default_configENS1_21merge_config_selectorINS0_5tupleIJxxEEENS0_10empty_typeEEEZNS1_10merge_implIS3_NS0_12zip_iteratorINS5_IJN6thrust23THRUST_200600_302600_NS6detail15normal_iteratorINSC_10device_ptrIKxEEEESI_EEEEESK_NSA_INS5_IJNSC_16discard_iteratorINSC_11use_defaultEEESN_EEEEEPS7_SQ_SQ_NSC_11hip_rocprim7__merge17predicate_wrapperIxxNSC_4lessIxEEEEEE10hipError_tPvRmT0_T1_T2_T3_T4_T5_mmT6_P12ihipStream_tbEUlT_E_NS1_11comp_targetILNS1_3genE2ELNS1_11target_archE906ELNS1_3gpuE6ELNS1_3repE0EEENS1_30default_config_static_selectorELNS0_4arch9wavefront6targetE0EEEvS11_
                                        ; -- End function
	.set _ZN7rocprim17ROCPRIM_400000_NS6detail17trampoline_kernelINS0_14default_configENS1_21merge_config_selectorINS0_5tupleIJxxEEENS0_10empty_typeEEEZNS1_10merge_implIS3_NS0_12zip_iteratorINS5_IJN6thrust23THRUST_200600_302600_NS6detail15normal_iteratorINSC_10device_ptrIKxEEEESI_EEEEESK_NSA_INS5_IJNSC_16discard_iteratorINSC_11use_defaultEEESN_EEEEEPS7_SQ_SQ_NSC_11hip_rocprim7__merge17predicate_wrapperIxxNSC_4lessIxEEEEEE10hipError_tPvRmT0_T1_T2_T3_T4_T5_mmT6_P12ihipStream_tbEUlT_E_NS1_11comp_targetILNS1_3genE2ELNS1_11target_archE906ELNS1_3gpuE6ELNS1_3repE0EEENS1_30default_config_static_selectorELNS0_4arch9wavefront6targetE0EEEvS11_.num_vgpr, 0
	.set _ZN7rocprim17ROCPRIM_400000_NS6detail17trampoline_kernelINS0_14default_configENS1_21merge_config_selectorINS0_5tupleIJxxEEENS0_10empty_typeEEEZNS1_10merge_implIS3_NS0_12zip_iteratorINS5_IJN6thrust23THRUST_200600_302600_NS6detail15normal_iteratorINSC_10device_ptrIKxEEEESI_EEEEESK_NSA_INS5_IJNSC_16discard_iteratorINSC_11use_defaultEEESN_EEEEEPS7_SQ_SQ_NSC_11hip_rocprim7__merge17predicate_wrapperIxxNSC_4lessIxEEEEEE10hipError_tPvRmT0_T1_T2_T3_T4_T5_mmT6_P12ihipStream_tbEUlT_E_NS1_11comp_targetILNS1_3genE2ELNS1_11target_archE906ELNS1_3gpuE6ELNS1_3repE0EEENS1_30default_config_static_selectorELNS0_4arch9wavefront6targetE0EEEvS11_.num_agpr, 0
	.set _ZN7rocprim17ROCPRIM_400000_NS6detail17trampoline_kernelINS0_14default_configENS1_21merge_config_selectorINS0_5tupleIJxxEEENS0_10empty_typeEEEZNS1_10merge_implIS3_NS0_12zip_iteratorINS5_IJN6thrust23THRUST_200600_302600_NS6detail15normal_iteratorINSC_10device_ptrIKxEEEESI_EEEEESK_NSA_INS5_IJNSC_16discard_iteratorINSC_11use_defaultEEESN_EEEEEPS7_SQ_SQ_NSC_11hip_rocprim7__merge17predicate_wrapperIxxNSC_4lessIxEEEEEE10hipError_tPvRmT0_T1_T2_T3_T4_T5_mmT6_P12ihipStream_tbEUlT_E_NS1_11comp_targetILNS1_3genE2ELNS1_11target_archE906ELNS1_3gpuE6ELNS1_3repE0EEENS1_30default_config_static_selectorELNS0_4arch9wavefront6targetE0EEEvS11_.numbered_sgpr, 0
	.set _ZN7rocprim17ROCPRIM_400000_NS6detail17trampoline_kernelINS0_14default_configENS1_21merge_config_selectorINS0_5tupleIJxxEEENS0_10empty_typeEEEZNS1_10merge_implIS3_NS0_12zip_iteratorINS5_IJN6thrust23THRUST_200600_302600_NS6detail15normal_iteratorINSC_10device_ptrIKxEEEESI_EEEEESK_NSA_INS5_IJNSC_16discard_iteratorINSC_11use_defaultEEESN_EEEEEPS7_SQ_SQ_NSC_11hip_rocprim7__merge17predicate_wrapperIxxNSC_4lessIxEEEEEE10hipError_tPvRmT0_T1_T2_T3_T4_T5_mmT6_P12ihipStream_tbEUlT_E_NS1_11comp_targetILNS1_3genE2ELNS1_11target_archE906ELNS1_3gpuE6ELNS1_3repE0EEENS1_30default_config_static_selectorELNS0_4arch9wavefront6targetE0EEEvS11_.num_named_barrier, 0
	.set _ZN7rocprim17ROCPRIM_400000_NS6detail17trampoline_kernelINS0_14default_configENS1_21merge_config_selectorINS0_5tupleIJxxEEENS0_10empty_typeEEEZNS1_10merge_implIS3_NS0_12zip_iteratorINS5_IJN6thrust23THRUST_200600_302600_NS6detail15normal_iteratorINSC_10device_ptrIKxEEEESI_EEEEESK_NSA_INS5_IJNSC_16discard_iteratorINSC_11use_defaultEEESN_EEEEEPS7_SQ_SQ_NSC_11hip_rocprim7__merge17predicate_wrapperIxxNSC_4lessIxEEEEEE10hipError_tPvRmT0_T1_T2_T3_T4_T5_mmT6_P12ihipStream_tbEUlT_E_NS1_11comp_targetILNS1_3genE2ELNS1_11target_archE906ELNS1_3gpuE6ELNS1_3repE0EEENS1_30default_config_static_selectorELNS0_4arch9wavefront6targetE0EEEvS11_.private_seg_size, 0
	.set _ZN7rocprim17ROCPRIM_400000_NS6detail17trampoline_kernelINS0_14default_configENS1_21merge_config_selectorINS0_5tupleIJxxEEENS0_10empty_typeEEEZNS1_10merge_implIS3_NS0_12zip_iteratorINS5_IJN6thrust23THRUST_200600_302600_NS6detail15normal_iteratorINSC_10device_ptrIKxEEEESI_EEEEESK_NSA_INS5_IJNSC_16discard_iteratorINSC_11use_defaultEEESN_EEEEEPS7_SQ_SQ_NSC_11hip_rocprim7__merge17predicate_wrapperIxxNSC_4lessIxEEEEEE10hipError_tPvRmT0_T1_T2_T3_T4_T5_mmT6_P12ihipStream_tbEUlT_E_NS1_11comp_targetILNS1_3genE2ELNS1_11target_archE906ELNS1_3gpuE6ELNS1_3repE0EEENS1_30default_config_static_selectorELNS0_4arch9wavefront6targetE0EEEvS11_.uses_vcc, 0
	.set _ZN7rocprim17ROCPRIM_400000_NS6detail17trampoline_kernelINS0_14default_configENS1_21merge_config_selectorINS0_5tupleIJxxEEENS0_10empty_typeEEEZNS1_10merge_implIS3_NS0_12zip_iteratorINS5_IJN6thrust23THRUST_200600_302600_NS6detail15normal_iteratorINSC_10device_ptrIKxEEEESI_EEEEESK_NSA_INS5_IJNSC_16discard_iteratorINSC_11use_defaultEEESN_EEEEEPS7_SQ_SQ_NSC_11hip_rocprim7__merge17predicate_wrapperIxxNSC_4lessIxEEEEEE10hipError_tPvRmT0_T1_T2_T3_T4_T5_mmT6_P12ihipStream_tbEUlT_E_NS1_11comp_targetILNS1_3genE2ELNS1_11target_archE906ELNS1_3gpuE6ELNS1_3repE0EEENS1_30default_config_static_selectorELNS0_4arch9wavefront6targetE0EEEvS11_.uses_flat_scratch, 0
	.set _ZN7rocprim17ROCPRIM_400000_NS6detail17trampoline_kernelINS0_14default_configENS1_21merge_config_selectorINS0_5tupleIJxxEEENS0_10empty_typeEEEZNS1_10merge_implIS3_NS0_12zip_iteratorINS5_IJN6thrust23THRUST_200600_302600_NS6detail15normal_iteratorINSC_10device_ptrIKxEEEESI_EEEEESK_NSA_INS5_IJNSC_16discard_iteratorINSC_11use_defaultEEESN_EEEEEPS7_SQ_SQ_NSC_11hip_rocprim7__merge17predicate_wrapperIxxNSC_4lessIxEEEEEE10hipError_tPvRmT0_T1_T2_T3_T4_T5_mmT6_P12ihipStream_tbEUlT_E_NS1_11comp_targetILNS1_3genE2ELNS1_11target_archE906ELNS1_3gpuE6ELNS1_3repE0EEENS1_30default_config_static_selectorELNS0_4arch9wavefront6targetE0EEEvS11_.has_dyn_sized_stack, 0
	.set _ZN7rocprim17ROCPRIM_400000_NS6detail17trampoline_kernelINS0_14default_configENS1_21merge_config_selectorINS0_5tupleIJxxEEENS0_10empty_typeEEEZNS1_10merge_implIS3_NS0_12zip_iteratorINS5_IJN6thrust23THRUST_200600_302600_NS6detail15normal_iteratorINSC_10device_ptrIKxEEEESI_EEEEESK_NSA_INS5_IJNSC_16discard_iteratorINSC_11use_defaultEEESN_EEEEEPS7_SQ_SQ_NSC_11hip_rocprim7__merge17predicate_wrapperIxxNSC_4lessIxEEEEEE10hipError_tPvRmT0_T1_T2_T3_T4_T5_mmT6_P12ihipStream_tbEUlT_E_NS1_11comp_targetILNS1_3genE2ELNS1_11target_archE906ELNS1_3gpuE6ELNS1_3repE0EEENS1_30default_config_static_selectorELNS0_4arch9wavefront6targetE0EEEvS11_.has_recursion, 0
	.set _ZN7rocprim17ROCPRIM_400000_NS6detail17trampoline_kernelINS0_14default_configENS1_21merge_config_selectorINS0_5tupleIJxxEEENS0_10empty_typeEEEZNS1_10merge_implIS3_NS0_12zip_iteratorINS5_IJN6thrust23THRUST_200600_302600_NS6detail15normal_iteratorINSC_10device_ptrIKxEEEESI_EEEEESK_NSA_INS5_IJNSC_16discard_iteratorINSC_11use_defaultEEESN_EEEEEPS7_SQ_SQ_NSC_11hip_rocprim7__merge17predicate_wrapperIxxNSC_4lessIxEEEEEE10hipError_tPvRmT0_T1_T2_T3_T4_T5_mmT6_P12ihipStream_tbEUlT_E_NS1_11comp_targetILNS1_3genE2ELNS1_11target_archE906ELNS1_3gpuE6ELNS1_3repE0EEENS1_30default_config_static_selectorELNS0_4arch9wavefront6targetE0EEEvS11_.has_indirect_call, 0
	.section	.AMDGPU.csdata,"",@progbits
; Kernel info:
; codeLenInByte = 0
; TotalNumSgprs: 0
; NumVgprs: 0
; ScratchSize: 0
; MemoryBound: 0
; FloatMode: 240
; IeeeMode: 1
; LDSByteSize: 0 bytes/workgroup (compile time only)
; SGPRBlocks: 0
; VGPRBlocks: 0
; NumSGPRsForWavesPerEU: 1
; NumVGPRsForWavesPerEU: 1
; Occupancy: 16
; WaveLimiterHint : 0
; COMPUTE_PGM_RSRC2:SCRATCH_EN: 0
; COMPUTE_PGM_RSRC2:USER_SGPR: 6
; COMPUTE_PGM_RSRC2:TRAP_HANDLER: 0
; COMPUTE_PGM_RSRC2:TGID_X_EN: 1
; COMPUTE_PGM_RSRC2:TGID_Y_EN: 0
; COMPUTE_PGM_RSRC2:TGID_Z_EN: 0
; COMPUTE_PGM_RSRC2:TIDIG_COMP_CNT: 0
	.section	.text._ZN7rocprim17ROCPRIM_400000_NS6detail17trampoline_kernelINS0_14default_configENS1_21merge_config_selectorINS0_5tupleIJxxEEENS0_10empty_typeEEEZNS1_10merge_implIS3_NS0_12zip_iteratorINS5_IJN6thrust23THRUST_200600_302600_NS6detail15normal_iteratorINSC_10device_ptrIKxEEEESI_EEEEESK_NSA_INS5_IJNSC_16discard_iteratorINSC_11use_defaultEEESN_EEEEEPS7_SQ_SQ_NSC_11hip_rocprim7__merge17predicate_wrapperIxxNSC_4lessIxEEEEEE10hipError_tPvRmT0_T1_T2_T3_T4_T5_mmT6_P12ihipStream_tbEUlT_E_NS1_11comp_targetILNS1_3genE10ELNS1_11target_archE1201ELNS1_3gpuE5ELNS1_3repE0EEENS1_30default_config_static_selectorELNS0_4arch9wavefront6targetE0EEEvS11_,"axG",@progbits,_ZN7rocprim17ROCPRIM_400000_NS6detail17trampoline_kernelINS0_14default_configENS1_21merge_config_selectorINS0_5tupleIJxxEEENS0_10empty_typeEEEZNS1_10merge_implIS3_NS0_12zip_iteratorINS5_IJN6thrust23THRUST_200600_302600_NS6detail15normal_iteratorINSC_10device_ptrIKxEEEESI_EEEEESK_NSA_INS5_IJNSC_16discard_iteratorINSC_11use_defaultEEESN_EEEEEPS7_SQ_SQ_NSC_11hip_rocprim7__merge17predicate_wrapperIxxNSC_4lessIxEEEEEE10hipError_tPvRmT0_T1_T2_T3_T4_T5_mmT6_P12ihipStream_tbEUlT_E_NS1_11comp_targetILNS1_3genE10ELNS1_11target_archE1201ELNS1_3gpuE5ELNS1_3repE0EEENS1_30default_config_static_selectorELNS0_4arch9wavefront6targetE0EEEvS11_,comdat
	.protected	_ZN7rocprim17ROCPRIM_400000_NS6detail17trampoline_kernelINS0_14default_configENS1_21merge_config_selectorINS0_5tupleIJxxEEENS0_10empty_typeEEEZNS1_10merge_implIS3_NS0_12zip_iteratorINS5_IJN6thrust23THRUST_200600_302600_NS6detail15normal_iteratorINSC_10device_ptrIKxEEEESI_EEEEESK_NSA_INS5_IJNSC_16discard_iteratorINSC_11use_defaultEEESN_EEEEEPS7_SQ_SQ_NSC_11hip_rocprim7__merge17predicate_wrapperIxxNSC_4lessIxEEEEEE10hipError_tPvRmT0_T1_T2_T3_T4_T5_mmT6_P12ihipStream_tbEUlT_E_NS1_11comp_targetILNS1_3genE10ELNS1_11target_archE1201ELNS1_3gpuE5ELNS1_3repE0EEENS1_30default_config_static_selectorELNS0_4arch9wavefront6targetE0EEEvS11_ ; -- Begin function _ZN7rocprim17ROCPRIM_400000_NS6detail17trampoline_kernelINS0_14default_configENS1_21merge_config_selectorINS0_5tupleIJxxEEENS0_10empty_typeEEEZNS1_10merge_implIS3_NS0_12zip_iteratorINS5_IJN6thrust23THRUST_200600_302600_NS6detail15normal_iteratorINSC_10device_ptrIKxEEEESI_EEEEESK_NSA_INS5_IJNSC_16discard_iteratorINSC_11use_defaultEEESN_EEEEEPS7_SQ_SQ_NSC_11hip_rocprim7__merge17predicate_wrapperIxxNSC_4lessIxEEEEEE10hipError_tPvRmT0_T1_T2_T3_T4_T5_mmT6_P12ihipStream_tbEUlT_E_NS1_11comp_targetILNS1_3genE10ELNS1_11target_archE1201ELNS1_3gpuE5ELNS1_3repE0EEENS1_30default_config_static_selectorELNS0_4arch9wavefront6targetE0EEEvS11_
	.globl	_ZN7rocprim17ROCPRIM_400000_NS6detail17trampoline_kernelINS0_14default_configENS1_21merge_config_selectorINS0_5tupleIJxxEEENS0_10empty_typeEEEZNS1_10merge_implIS3_NS0_12zip_iteratorINS5_IJN6thrust23THRUST_200600_302600_NS6detail15normal_iteratorINSC_10device_ptrIKxEEEESI_EEEEESK_NSA_INS5_IJNSC_16discard_iteratorINSC_11use_defaultEEESN_EEEEEPS7_SQ_SQ_NSC_11hip_rocprim7__merge17predicate_wrapperIxxNSC_4lessIxEEEEEE10hipError_tPvRmT0_T1_T2_T3_T4_T5_mmT6_P12ihipStream_tbEUlT_E_NS1_11comp_targetILNS1_3genE10ELNS1_11target_archE1201ELNS1_3gpuE5ELNS1_3repE0EEENS1_30default_config_static_selectorELNS0_4arch9wavefront6targetE0EEEvS11_
	.p2align	8
	.type	_ZN7rocprim17ROCPRIM_400000_NS6detail17trampoline_kernelINS0_14default_configENS1_21merge_config_selectorINS0_5tupleIJxxEEENS0_10empty_typeEEEZNS1_10merge_implIS3_NS0_12zip_iteratorINS5_IJN6thrust23THRUST_200600_302600_NS6detail15normal_iteratorINSC_10device_ptrIKxEEEESI_EEEEESK_NSA_INS5_IJNSC_16discard_iteratorINSC_11use_defaultEEESN_EEEEEPS7_SQ_SQ_NSC_11hip_rocprim7__merge17predicate_wrapperIxxNSC_4lessIxEEEEEE10hipError_tPvRmT0_T1_T2_T3_T4_T5_mmT6_P12ihipStream_tbEUlT_E_NS1_11comp_targetILNS1_3genE10ELNS1_11target_archE1201ELNS1_3gpuE5ELNS1_3repE0EEENS1_30default_config_static_selectorELNS0_4arch9wavefront6targetE0EEEvS11_,@function
_ZN7rocprim17ROCPRIM_400000_NS6detail17trampoline_kernelINS0_14default_configENS1_21merge_config_selectorINS0_5tupleIJxxEEENS0_10empty_typeEEEZNS1_10merge_implIS3_NS0_12zip_iteratorINS5_IJN6thrust23THRUST_200600_302600_NS6detail15normal_iteratorINSC_10device_ptrIKxEEEESI_EEEEESK_NSA_INS5_IJNSC_16discard_iteratorINSC_11use_defaultEEESN_EEEEEPS7_SQ_SQ_NSC_11hip_rocprim7__merge17predicate_wrapperIxxNSC_4lessIxEEEEEE10hipError_tPvRmT0_T1_T2_T3_T4_T5_mmT6_P12ihipStream_tbEUlT_E_NS1_11comp_targetILNS1_3genE10ELNS1_11target_archE1201ELNS1_3gpuE5ELNS1_3repE0EEENS1_30default_config_static_selectorELNS0_4arch9wavefront6targetE0EEEvS11_: ; @_ZN7rocprim17ROCPRIM_400000_NS6detail17trampoline_kernelINS0_14default_configENS1_21merge_config_selectorINS0_5tupleIJxxEEENS0_10empty_typeEEEZNS1_10merge_implIS3_NS0_12zip_iteratorINS5_IJN6thrust23THRUST_200600_302600_NS6detail15normal_iteratorINSC_10device_ptrIKxEEEESI_EEEEESK_NSA_INS5_IJNSC_16discard_iteratorINSC_11use_defaultEEESN_EEEEEPS7_SQ_SQ_NSC_11hip_rocprim7__merge17predicate_wrapperIxxNSC_4lessIxEEEEEE10hipError_tPvRmT0_T1_T2_T3_T4_T5_mmT6_P12ihipStream_tbEUlT_E_NS1_11comp_targetILNS1_3genE10ELNS1_11target_archE1201ELNS1_3gpuE5ELNS1_3repE0EEENS1_30default_config_static_selectorELNS0_4arch9wavefront6targetE0EEEvS11_
; %bb.0:
	.section	.rodata,"a",@progbits
	.p2align	6, 0x0
	.amdhsa_kernel _ZN7rocprim17ROCPRIM_400000_NS6detail17trampoline_kernelINS0_14default_configENS1_21merge_config_selectorINS0_5tupleIJxxEEENS0_10empty_typeEEEZNS1_10merge_implIS3_NS0_12zip_iteratorINS5_IJN6thrust23THRUST_200600_302600_NS6detail15normal_iteratorINSC_10device_ptrIKxEEEESI_EEEEESK_NSA_INS5_IJNSC_16discard_iteratorINSC_11use_defaultEEESN_EEEEEPS7_SQ_SQ_NSC_11hip_rocprim7__merge17predicate_wrapperIxxNSC_4lessIxEEEEEE10hipError_tPvRmT0_T1_T2_T3_T4_T5_mmT6_P12ihipStream_tbEUlT_E_NS1_11comp_targetILNS1_3genE10ELNS1_11target_archE1201ELNS1_3gpuE5ELNS1_3repE0EEENS1_30default_config_static_selectorELNS0_4arch9wavefront6targetE0EEEvS11_
		.amdhsa_group_segment_fixed_size 0
		.amdhsa_private_segment_fixed_size 0
		.amdhsa_kernarg_size 64
		.amdhsa_user_sgpr_count 6
		.amdhsa_user_sgpr_private_segment_buffer 1
		.amdhsa_user_sgpr_dispatch_ptr 0
		.amdhsa_user_sgpr_queue_ptr 0
		.amdhsa_user_sgpr_kernarg_segment_ptr 1
		.amdhsa_user_sgpr_dispatch_id 0
		.amdhsa_user_sgpr_flat_scratch_init 0
		.amdhsa_user_sgpr_private_segment_size 0
		.amdhsa_wavefront_size32 1
		.amdhsa_uses_dynamic_stack 0
		.amdhsa_system_sgpr_private_segment_wavefront_offset 0
		.amdhsa_system_sgpr_workgroup_id_x 1
		.amdhsa_system_sgpr_workgroup_id_y 0
		.amdhsa_system_sgpr_workgroup_id_z 0
		.amdhsa_system_sgpr_workgroup_info 0
		.amdhsa_system_vgpr_workitem_id 0
		.amdhsa_next_free_vgpr 1
		.amdhsa_next_free_sgpr 1
		.amdhsa_reserve_vcc 0
		.amdhsa_reserve_flat_scratch 0
		.amdhsa_float_round_mode_32 0
		.amdhsa_float_round_mode_16_64 0
		.amdhsa_float_denorm_mode_32 3
		.amdhsa_float_denorm_mode_16_64 3
		.amdhsa_dx10_clamp 1
		.amdhsa_ieee_mode 1
		.amdhsa_fp16_overflow 0
		.amdhsa_workgroup_processor_mode 1
		.amdhsa_memory_ordered 1
		.amdhsa_forward_progress 1
		.amdhsa_shared_vgpr_count 0
		.amdhsa_exception_fp_ieee_invalid_op 0
		.amdhsa_exception_fp_denorm_src 0
		.amdhsa_exception_fp_ieee_div_zero 0
		.amdhsa_exception_fp_ieee_overflow 0
		.amdhsa_exception_fp_ieee_underflow 0
		.amdhsa_exception_fp_ieee_inexact 0
		.amdhsa_exception_int_div_zero 0
	.end_amdhsa_kernel
	.section	.text._ZN7rocprim17ROCPRIM_400000_NS6detail17trampoline_kernelINS0_14default_configENS1_21merge_config_selectorINS0_5tupleIJxxEEENS0_10empty_typeEEEZNS1_10merge_implIS3_NS0_12zip_iteratorINS5_IJN6thrust23THRUST_200600_302600_NS6detail15normal_iteratorINSC_10device_ptrIKxEEEESI_EEEEESK_NSA_INS5_IJNSC_16discard_iteratorINSC_11use_defaultEEESN_EEEEEPS7_SQ_SQ_NSC_11hip_rocprim7__merge17predicate_wrapperIxxNSC_4lessIxEEEEEE10hipError_tPvRmT0_T1_T2_T3_T4_T5_mmT6_P12ihipStream_tbEUlT_E_NS1_11comp_targetILNS1_3genE10ELNS1_11target_archE1201ELNS1_3gpuE5ELNS1_3repE0EEENS1_30default_config_static_selectorELNS0_4arch9wavefront6targetE0EEEvS11_,"axG",@progbits,_ZN7rocprim17ROCPRIM_400000_NS6detail17trampoline_kernelINS0_14default_configENS1_21merge_config_selectorINS0_5tupleIJxxEEENS0_10empty_typeEEEZNS1_10merge_implIS3_NS0_12zip_iteratorINS5_IJN6thrust23THRUST_200600_302600_NS6detail15normal_iteratorINSC_10device_ptrIKxEEEESI_EEEEESK_NSA_INS5_IJNSC_16discard_iteratorINSC_11use_defaultEEESN_EEEEEPS7_SQ_SQ_NSC_11hip_rocprim7__merge17predicate_wrapperIxxNSC_4lessIxEEEEEE10hipError_tPvRmT0_T1_T2_T3_T4_T5_mmT6_P12ihipStream_tbEUlT_E_NS1_11comp_targetILNS1_3genE10ELNS1_11target_archE1201ELNS1_3gpuE5ELNS1_3repE0EEENS1_30default_config_static_selectorELNS0_4arch9wavefront6targetE0EEEvS11_,comdat
.Lfunc_end574:
	.size	_ZN7rocprim17ROCPRIM_400000_NS6detail17trampoline_kernelINS0_14default_configENS1_21merge_config_selectorINS0_5tupleIJxxEEENS0_10empty_typeEEEZNS1_10merge_implIS3_NS0_12zip_iteratorINS5_IJN6thrust23THRUST_200600_302600_NS6detail15normal_iteratorINSC_10device_ptrIKxEEEESI_EEEEESK_NSA_INS5_IJNSC_16discard_iteratorINSC_11use_defaultEEESN_EEEEEPS7_SQ_SQ_NSC_11hip_rocprim7__merge17predicate_wrapperIxxNSC_4lessIxEEEEEE10hipError_tPvRmT0_T1_T2_T3_T4_T5_mmT6_P12ihipStream_tbEUlT_E_NS1_11comp_targetILNS1_3genE10ELNS1_11target_archE1201ELNS1_3gpuE5ELNS1_3repE0EEENS1_30default_config_static_selectorELNS0_4arch9wavefront6targetE0EEEvS11_, .Lfunc_end574-_ZN7rocprim17ROCPRIM_400000_NS6detail17trampoline_kernelINS0_14default_configENS1_21merge_config_selectorINS0_5tupleIJxxEEENS0_10empty_typeEEEZNS1_10merge_implIS3_NS0_12zip_iteratorINS5_IJN6thrust23THRUST_200600_302600_NS6detail15normal_iteratorINSC_10device_ptrIKxEEEESI_EEEEESK_NSA_INS5_IJNSC_16discard_iteratorINSC_11use_defaultEEESN_EEEEEPS7_SQ_SQ_NSC_11hip_rocprim7__merge17predicate_wrapperIxxNSC_4lessIxEEEEEE10hipError_tPvRmT0_T1_T2_T3_T4_T5_mmT6_P12ihipStream_tbEUlT_E_NS1_11comp_targetILNS1_3genE10ELNS1_11target_archE1201ELNS1_3gpuE5ELNS1_3repE0EEENS1_30default_config_static_selectorELNS0_4arch9wavefront6targetE0EEEvS11_
                                        ; -- End function
	.set _ZN7rocprim17ROCPRIM_400000_NS6detail17trampoline_kernelINS0_14default_configENS1_21merge_config_selectorINS0_5tupleIJxxEEENS0_10empty_typeEEEZNS1_10merge_implIS3_NS0_12zip_iteratorINS5_IJN6thrust23THRUST_200600_302600_NS6detail15normal_iteratorINSC_10device_ptrIKxEEEESI_EEEEESK_NSA_INS5_IJNSC_16discard_iteratorINSC_11use_defaultEEESN_EEEEEPS7_SQ_SQ_NSC_11hip_rocprim7__merge17predicate_wrapperIxxNSC_4lessIxEEEEEE10hipError_tPvRmT0_T1_T2_T3_T4_T5_mmT6_P12ihipStream_tbEUlT_E_NS1_11comp_targetILNS1_3genE10ELNS1_11target_archE1201ELNS1_3gpuE5ELNS1_3repE0EEENS1_30default_config_static_selectorELNS0_4arch9wavefront6targetE0EEEvS11_.num_vgpr, 0
	.set _ZN7rocprim17ROCPRIM_400000_NS6detail17trampoline_kernelINS0_14default_configENS1_21merge_config_selectorINS0_5tupleIJxxEEENS0_10empty_typeEEEZNS1_10merge_implIS3_NS0_12zip_iteratorINS5_IJN6thrust23THRUST_200600_302600_NS6detail15normal_iteratorINSC_10device_ptrIKxEEEESI_EEEEESK_NSA_INS5_IJNSC_16discard_iteratorINSC_11use_defaultEEESN_EEEEEPS7_SQ_SQ_NSC_11hip_rocprim7__merge17predicate_wrapperIxxNSC_4lessIxEEEEEE10hipError_tPvRmT0_T1_T2_T3_T4_T5_mmT6_P12ihipStream_tbEUlT_E_NS1_11comp_targetILNS1_3genE10ELNS1_11target_archE1201ELNS1_3gpuE5ELNS1_3repE0EEENS1_30default_config_static_selectorELNS0_4arch9wavefront6targetE0EEEvS11_.num_agpr, 0
	.set _ZN7rocprim17ROCPRIM_400000_NS6detail17trampoline_kernelINS0_14default_configENS1_21merge_config_selectorINS0_5tupleIJxxEEENS0_10empty_typeEEEZNS1_10merge_implIS3_NS0_12zip_iteratorINS5_IJN6thrust23THRUST_200600_302600_NS6detail15normal_iteratorINSC_10device_ptrIKxEEEESI_EEEEESK_NSA_INS5_IJNSC_16discard_iteratorINSC_11use_defaultEEESN_EEEEEPS7_SQ_SQ_NSC_11hip_rocprim7__merge17predicate_wrapperIxxNSC_4lessIxEEEEEE10hipError_tPvRmT0_T1_T2_T3_T4_T5_mmT6_P12ihipStream_tbEUlT_E_NS1_11comp_targetILNS1_3genE10ELNS1_11target_archE1201ELNS1_3gpuE5ELNS1_3repE0EEENS1_30default_config_static_selectorELNS0_4arch9wavefront6targetE0EEEvS11_.numbered_sgpr, 0
	.set _ZN7rocprim17ROCPRIM_400000_NS6detail17trampoline_kernelINS0_14default_configENS1_21merge_config_selectorINS0_5tupleIJxxEEENS0_10empty_typeEEEZNS1_10merge_implIS3_NS0_12zip_iteratorINS5_IJN6thrust23THRUST_200600_302600_NS6detail15normal_iteratorINSC_10device_ptrIKxEEEESI_EEEEESK_NSA_INS5_IJNSC_16discard_iteratorINSC_11use_defaultEEESN_EEEEEPS7_SQ_SQ_NSC_11hip_rocprim7__merge17predicate_wrapperIxxNSC_4lessIxEEEEEE10hipError_tPvRmT0_T1_T2_T3_T4_T5_mmT6_P12ihipStream_tbEUlT_E_NS1_11comp_targetILNS1_3genE10ELNS1_11target_archE1201ELNS1_3gpuE5ELNS1_3repE0EEENS1_30default_config_static_selectorELNS0_4arch9wavefront6targetE0EEEvS11_.num_named_barrier, 0
	.set _ZN7rocprim17ROCPRIM_400000_NS6detail17trampoline_kernelINS0_14default_configENS1_21merge_config_selectorINS0_5tupleIJxxEEENS0_10empty_typeEEEZNS1_10merge_implIS3_NS0_12zip_iteratorINS5_IJN6thrust23THRUST_200600_302600_NS6detail15normal_iteratorINSC_10device_ptrIKxEEEESI_EEEEESK_NSA_INS5_IJNSC_16discard_iteratorINSC_11use_defaultEEESN_EEEEEPS7_SQ_SQ_NSC_11hip_rocprim7__merge17predicate_wrapperIxxNSC_4lessIxEEEEEE10hipError_tPvRmT0_T1_T2_T3_T4_T5_mmT6_P12ihipStream_tbEUlT_E_NS1_11comp_targetILNS1_3genE10ELNS1_11target_archE1201ELNS1_3gpuE5ELNS1_3repE0EEENS1_30default_config_static_selectorELNS0_4arch9wavefront6targetE0EEEvS11_.private_seg_size, 0
	.set _ZN7rocprim17ROCPRIM_400000_NS6detail17trampoline_kernelINS0_14default_configENS1_21merge_config_selectorINS0_5tupleIJxxEEENS0_10empty_typeEEEZNS1_10merge_implIS3_NS0_12zip_iteratorINS5_IJN6thrust23THRUST_200600_302600_NS6detail15normal_iteratorINSC_10device_ptrIKxEEEESI_EEEEESK_NSA_INS5_IJNSC_16discard_iteratorINSC_11use_defaultEEESN_EEEEEPS7_SQ_SQ_NSC_11hip_rocprim7__merge17predicate_wrapperIxxNSC_4lessIxEEEEEE10hipError_tPvRmT0_T1_T2_T3_T4_T5_mmT6_P12ihipStream_tbEUlT_E_NS1_11comp_targetILNS1_3genE10ELNS1_11target_archE1201ELNS1_3gpuE5ELNS1_3repE0EEENS1_30default_config_static_selectorELNS0_4arch9wavefront6targetE0EEEvS11_.uses_vcc, 0
	.set _ZN7rocprim17ROCPRIM_400000_NS6detail17trampoline_kernelINS0_14default_configENS1_21merge_config_selectorINS0_5tupleIJxxEEENS0_10empty_typeEEEZNS1_10merge_implIS3_NS0_12zip_iteratorINS5_IJN6thrust23THRUST_200600_302600_NS6detail15normal_iteratorINSC_10device_ptrIKxEEEESI_EEEEESK_NSA_INS5_IJNSC_16discard_iteratorINSC_11use_defaultEEESN_EEEEEPS7_SQ_SQ_NSC_11hip_rocprim7__merge17predicate_wrapperIxxNSC_4lessIxEEEEEE10hipError_tPvRmT0_T1_T2_T3_T4_T5_mmT6_P12ihipStream_tbEUlT_E_NS1_11comp_targetILNS1_3genE10ELNS1_11target_archE1201ELNS1_3gpuE5ELNS1_3repE0EEENS1_30default_config_static_selectorELNS0_4arch9wavefront6targetE0EEEvS11_.uses_flat_scratch, 0
	.set _ZN7rocprim17ROCPRIM_400000_NS6detail17trampoline_kernelINS0_14default_configENS1_21merge_config_selectorINS0_5tupleIJxxEEENS0_10empty_typeEEEZNS1_10merge_implIS3_NS0_12zip_iteratorINS5_IJN6thrust23THRUST_200600_302600_NS6detail15normal_iteratorINSC_10device_ptrIKxEEEESI_EEEEESK_NSA_INS5_IJNSC_16discard_iteratorINSC_11use_defaultEEESN_EEEEEPS7_SQ_SQ_NSC_11hip_rocprim7__merge17predicate_wrapperIxxNSC_4lessIxEEEEEE10hipError_tPvRmT0_T1_T2_T3_T4_T5_mmT6_P12ihipStream_tbEUlT_E_NS1_11comp_targetILNS1_3genE10ELNS1_11target_archE1201ELNS1_3gpuE5ELNS1_3repE0EEENS1_30default_config_static_selectorELNS0_4arch9wavefront6targetE0EEEvS11_.has_dyn_sized_stack, 0
	.set _ZN7rocprim17ROCPRIM_400000_NS6detail17trampoline_kernelINS0_14default_configENS1_21merge_config_selectorINS0_5tupleIJxxEEENS0_10empty_typeEEEZNS1_10merge_implIS3_NS0_12zip_iteratorINS5_IJN6thrust23THRUST_200600_302600_NS6detail15normal_iteratorINSC_10device_ptrIKxEEEESI_EEEEESK_NSA_INS5_IJNSC_16discard_iteratorINSC_11use_defaultEEESN_EEEEEPS7_SQ_SQ_NSC_11hip_rocprim7__merge17predicate_wrapperIxxNSC_4lessIxEEEEEE10hipError_tPvRmT0_T1_T2_T3_T4_T5_mmT6_P12ihipStream_tbEUlT_E_NS1_11comp_targetILNS1_3genE10ELNS1_11target_archE1201ELNS1_3gpuE5ELNS1_3repE0EEENS1_30default_config_static_selectorELNS0_4arch9wavefront6targetE0EEEvS11_.has_recursion, 0
	.set _ZN7rocprim17ROCPRIM_400000_NS6detail17trampoline_kernelINS0_14default_configENS1_21merge_config_selectorINS0_5tupleIJxxEEENS0_10empty_typeEEEZNS1_10merge_implIS3_NS0_12zip_iteratorINS5_IJN6thrust23THRUST_200600_302600_NS6detail15normal_iteratorINSC_10device_ptrIKxEEEESI_EEEEESK_NSA_INS5_IJNSC_16discard_iteratorINSC_11use_defaultEEESN_EEEEEPS7_SQ_SQ_NSC_11hip_rocprim7__merge17predicate_wrapperIxxNSC_4lessIxEEEEEE10hipError_tPvRmT0_T1_T2_T3_T4_T5_mmT6_P12ihipStream_tbEUlT_E_NS1_11comp_targetILNS1_3genE10ELNS1_11target_archE1201ELNS1_3gpuE5ELNS1_3repE0EEENS1_30default_config_static_selectorELNS0_4arch9wavefront6targetE0EEEvS11_.has_indirect_call, 0
	.section	.AMDGPU.csdata,"",@progbits
; Kernel info:
; codeLenInByte = 0
; TotalNumSgprs: 0
; NumVgprs: 0
; ScratchSize: 0
; MemoryBound: 0
; FloatMode: 240
; IeeeMode: 1
; LDSByteSize: 0 bytes/workgroup (compile time only)
; SGPRBlocks: 0
; VGPRBlocks: 0
; NumSGPRsForWavesPerEU: 1
; NumVGPRsForWavesPerEU: 1
; Occupancy: 16
; WaveLimiterHint : 0
; COMPUTE_PGM_RSRC2:SCRATCH_EN: 0
; COMPUTE_PGM_RSRC2:USER_SGPR: 6
; COMPUTE_PGM_RSRC2:TRAP_HANDLER: 0
; COMPUTE_PGM_RSRC2:TGID_X_EN: 1
; COMPUTE_PGM_RSRC2:TGID_Y_EN: 0
; COMPUTE_PGM_RSRC2:TGID_Z_EN: 0
; COMPUTE_PGM_RSRC2:TIDIG_COMP_CNT: 0
	.section	.text._ZN7rocprim17ROCPRIM_400000_NS6detail17trampoline_kernelINS0_14default_configENS1_21merge_config_selectorINS0_5tupleIJxxEEENS0_10empty_typeEEEZNS1_10merge_implIS3_NS0_12zip_iteratorINS5_IJN6thrust23THRUST_200600_302600_NS6detail15normal_iteratorINSC_10device_ptrIKxEEEESI_EEEEESK_NSA_INS5_IJNSC_16discard_iteratorINSC_11use_defaultEEESN_EEEEEPS7_SQ_SQ_NSC_11hip_rocprim7__merge17predicate_wrapperIxxNSC_4lessIxEEEEEE10hipError_tPvRmT0_T1_T2_T3_T4_T5_mmT6_P12ihipStream_tbEUlT_E_NS1_11comp_targetILNS1_3genE10ELNS1_11target_archE1200ELNS1_3gpuE4ELNS1_3repE0EEENS1_30default_config_static_selectorELNS0_4arch9wavefront6targetE0EEEvS11_,"axG",@progbits,_ZN7rocprim17ROCPRIM_400000_NS6detail17trampoline_kernelINS0_14default_configENS1_21merge_config_selectorINS0_5tupleIJxxEEENS0_10empty_typeEEEZNS1_10merge_implIS3_NS0_12zip_iteratorINS5_IJN6thrust23THRUST_200600_302600_NS6detail15normal_iteratorINSC_10device_ptrIKxEEEESI_EEEEESK_NSA_INS5_IJNSC_16discard_iteratorINSC_11use_defaultEEESN_EEEEEPS7_SQ_SQ_NSC_11hip_rocprim7__merge17predicate_wrapperIxxNSC_4lessIxEEEEEE10hipError_tPvRmT0_T1_T2_T3_T4_T5_mmT6_P12ihipStream_tbEUlT_E_NS1_11comp_targetILNS1_3genE10ELNS1_11target_archE1200ELNS1_3gpuE4ELNS1_3repE0EEENS1_30default_config_static_selectorELNS0_4arch9wavefront6targetE0EEEvS11_,comdat
	.protected	_ZN7rocprim17ROCPRIM_400000_NS6detail17trampoline_kernelINS0_14default_configENS1_21merge_config_selectorINS0_5tupleIJxxEEENS0_10empty_typeEEEZNS1_10merge_implIS3_NS0_12zip_iteratorINS5_IJN6thrust23THRUST_200600_302600_NS6detail15normal_iteratorINSC_10device_ptrIKxEEEESI_EEEEESK_NSA_INS5_IJNSC_16discard_iteratorINSC_11use_defaultEEESN_EEEEEPS7_SQ_SQ_NSC_11hip_rocprim7__merge17predicate_wrapperIxxNSC_4lessIxEEEEEE10hipError_tPvRmT0_T1_T2_T3_T4_T5_mmT6_P12ihipStream_tbEUlT_E_NS1_11comp_targetILNS1_3genE10ELNS1_11target_archE1200ELNS1_3gpuE4ELNS1_3repE0EEENS1_30default_config_static_selectorELNS0_4arch9wavefront6targetE0EEEvS11_ ; -- Begin function _ZN7rocprim17ROCPRIM_400000_NS6detail17trampoline_kernelINS0_14default_configENS1_21merge_config_selectorINS0_5tupleIJxxEEENS0_10empty_typeEEEZNS1_10merge_implIS3_NS0_12zip_iteratorINS5_IJN6thrust23THRUST_200600_302600_NS6detail15normal_iteratorINSC_10device_ptrIKxEEEESI_EEEEESK_NSA_INS5_IJNSC_16discard_iteratorINSC_11use_defaultEEESN_EEEEEPS7_SQ_SQ_NSC_11hip_rocprim7__merge17predicate_wrapperIxxNSC_4lessIxEEEEEE10hipError_tPvRmT0_T1_T2_T3_T4_T5_mmT6_P12ihipStream_tbEUlT_E_NS1_11comp_targetILNS1_3genE10ELNS1_11target_archE1200ELNS1_3gpuE4ELNS1_3repE0EEENS1_30default_config_static_selectorELNS0_4arch9wavefront6targetE0EEEvS11_
	.globl	_ZN7rocprim17ROCPRIM_400000_NS6detail17trampoline_kernelINS0_14default_configENS1_21merge_config_selectorINS0_5tupleIJxxEEENS0_10empty_typeEEEZNS1_10merge_implIS3_NS0_12zip_iteratorINS5_IJN6thrust23THRUST_200600_302600_NS6detail15normal_iteratorINSC_10device_ptrIKxEEEESI_EEEEESK_NSA_INS5_IJNSC_16discard_iteratorINSC_11use_defaultEEESN_EEEEEPS7_SQ_SQ_NSC_11hip_rocprim7__merge17predicate_wrapperIxxNSC_4lessIxEEEEEE10hipError_tPvRmT0_T1_T2_T3_T4_T5_mmT6_P12ihipStream_tbEUlT_E_NS1_11comp_targetILNS1_3genE10ELNS1_11target_archE1200ELNS1_3gpuE4ELNS1_3repE0EEENS1_30default_config_static_selectorELNS0_4arch9wavefront6targetE0EEEvS11_
	.p2align	8
	.type	_ZN7rocprim17ROCPRIM_400000_NS6detail17trampoline_kernelINS0_14default_configENS1_21merge_config_selectorINS0_5tupleIJxxEEENS0_10empty_typeEEEZNS1_10merge_implIS3_NS0_12zip_iteratorINS5_IJN6thrust23THRUST_200600_302600_NS6detail15normal_iteratorINSC_10device_ptrIKxEEEESI_EEEEESK_NSA_INS5_IJNSC_16discard_iteratorINSC_11use_defaultEEESN_EEEEEPS7_SQ_SQ_NSC_11hip_rocprim7__merge17predicate_wrapperIxxNSC_4lessIxEEEEEE10hipError_tPvRmT0_T1_T2_T3_T4_T5_mmT6_P12ihipStream_tbEUlT_E_NS1_11comp_targetILNS1_3genE10ELNS1_11target_archE1200ELNS1_3gpuE4ELNS1_3repE0EEENS1_30default_config_static_selectorELNS0_4arch9wavefront6targetE0EEEvS11_,@function
_ZN7rocprim17ROCPRIM_400000_NS6detail17trampoline_kernelINS0_14default_configENS1_21merge_config_selectorINS0_5tupleIJxxEEENS0_10empty_typeEEEZNS1_10merge_implIS3_NS0_12zip_iteratorINS5_IJN6thrust23THRUST_200600_302600_NS6detail15normal_iteratorINSC_10device_ptrIKxEEEESI_EEEEESK_NSA_INS5_IJNSC_16discard_iteratorINSC_11use_defaultEEESN_EEEEEPS7_SQ_SQ_NSC_11hip_rocprim7__merge17predicate_wrapperIxxNSC_4lessIxEEEEEE10hipError_tPvRmT0_T1_T2_T3_T4_T5_mmT6_P12ihipStream_tbEUlT_E_NS1_11comp_targetILNS1_3genE10ELNS1_11target_archE1200ELNS1_3gpuE4ELNS1_3repE0EEENS1_30default_config_static_selectorELNS0_4arch9wavefront6targetE0EEEvS11_: ; @_ZN7rocprim17ROCPRIM_400000_NS6detail17trampoline_kernelINS0_14default_configENS1_21merge_config_selectorINS0_5tupleIJxxEEENS0_10empty_typeEEEZNS1_10merge_implIS3_NS0_12zip_iteratorINS5_IJN6thrust23THRUST_200600_302600_NS6detail15normal_iteratorINSC_10device_ptrIKxEEEESI_EEEEESK_NSA_INS5_IJNSC_16discard_iteratorINSC_11use_defaultEEESN_EEEEEPS7_SQ_SQ_NSC_11hip_rocprim7__merge17predicate_wrapperIxxNSC_4lessIxEEEEEE10hipError_tPvRmT0_T1_T2_T3_T4_T5_mmT6_P12ihipStream_tbEUlT_E_NS1_11comp_targetILNS1_3genE10ELNS1_11target_archE1200ELNS1_3gpuE4ELNS1_3repE0EEENS1_30default_config_static_selectorELNS0_4arch9wavefront6targetE0EEEvS11_
; %bb.0:
	.section	.rodata,"a",@progbits
	.p2align	6, 0x0
	.amdhsa_kernel _ZN7rocprim17ROCPRIM_400000_NS6detail17trampoline_kernelINS0_14default_configENS1_21merge_config_selectorINS0_5tupleIJxxEEENS0_10empty_typeEEEZNS1_10merge_implIS3_NS0_12zip_iteratorINS5_IJN6thrust23THRUST_200600_302600_NS6detail15normal_iteratorINSC_10device_ptrIKxEEEESI_EEEEESK_NSA_INS5_IJNSC_16discard_iteratorINSC_11use_defaultEEESN_EEEEEPS7_SQ_SQ_NSC_11hip_rocprim7__merge17predicate_wrapperIxxNSC_4lessIxEEEEEE10hipError_tPvRmT0_T1_T2_T3_T4_T5_mmT6_P12ihipStream_tbEUlT_E_NS1_11comp_targetILNS1_3genE10ELNS1_11target_archE1200ELNS1_3gpuE4ELNS1_3repE0EEENS1_30default_config_static_selectorELNS0_4arch9wavefront6targetE0EEEvS11_
		.amdhsa_group_segment_fixed_size 0
		.amdhsa_private_segment_fixed_size 0
		.amdhsa_kernarg_size 64
		.amdhsa_user_sgpr_count 6
		.amdhsa_user_sgpr_private_segment_buffer 1
		.amdhsa_user_sgpr_dispatch_ptr 0
		.amdhsa_user_sgpr_queue_ptr 0
		.amdhsa_user_sgpr_kernarg_segment_ptr 1
		.amdhsa_user_sgpr_dispatch_id 0
		.amdhsa_user_sgpr_flat_scratch_init 0
		.amdhsa_user_sgpr_private_segment_size 0
		.amdhsa_wavefront_size32 1
		.amdhsa_uses_dynamic_stack 0
		.amdhsa_system_sgpr_private_segment_wavefront_offset 0
		.amdhsa_system_sgpr_workgroup_id_x 1
		.amdhsa_system_sgpr_workgroup_id_y 0
		.amdhsa_system_sgpr_workgroup_id_z 0
		.amdhsa_system_sgpr_workgroup_info 0
		.amdhsa_system_vgpr_workitem_id 0
		.amdhsa_next_free_vgpr 1
		.amdhsa_next_free_sgpr 1
		.amdhsa_reserve_vcc 0
		.amdhsa_reserve_flat_scratch 0
		.amdhsa_float_round_mode_32 0
		.amdhsa_float_round_mode_16_64 0
		.amdhsa_float_denorm_mode_32 3
		.amdhsa_float_denorm_mode_16_64 3
		.amdhsa_dx10_clamp 1
		.amdhsa_ieee_mode 1
		.amdhsa_fp16_overflow 0
		.amdhsa_workgroup_processor_mode 1
		.amdhsa_memory_ordered 1
		.amdhsa_forward_progress 1
		.amdhsa_shared_vgpr_count 0
		.amdhsa_exception_fp_ieee_invalid_op 0
		.amdhsa_exception_fp_denorm_src 0
		.amdhsa_exception_fp_ieee_div_zero 0
		.amdhsa_exception_fp_ieee_overflow 0
		.amdhsa_exception_fp_ieee_underflow 0
		.amdhsa_exception_fp_ieee_inexact 0
		.amdhsa_exception_int_div_zero 0
	.end_amdhsa_kernel
	.section	.text._ZN7rocprim17ROCPRIM_400000_NS6detail17trampoline_kernelINS0_14default_configENS1_21merge_config_selectorINS0_5tupleIJxxEEENS0_10empty_typeEEEZNS1_10merge_implIS3_NS0_12zip_iteratorINS5_IJN6thrust23THRUST_200600_302600_NS6detail15normal_iteratorINSC_10device_ptrIKxEEEESI_EEEEESK_NSA_INS5_IJNSC_16discard_iteratorINSC_11use_defaultEEESN_EEEEEPS7_SQ_SQ_NSC_11hip_rocprim7__merge17predicate_wrapperIxxNSC_4lessIxEEEEEE10hipError_tPvRmT0_T1_T2_T3_T4_T5_mmT6_P12ihipStream_tbEUlT_E_NS1_11comp_targetILNS1_3genE10ELNS1_11target_archE1200ELNS1_3gpuE4ELNS1_3repE0EEENS1_30default_config_static_selectorELNS0_4arch9wavefront6targetE0EEEvS11_,"axG",@progbits,_ZN7rocprim17ROCPRIM_400000_NS6detail17trampoline_kernelINS0_14default_configENS1_21merge_config_selectorINS0_5tupleIJxxEEENS0_10empty_typeEEEZNS1_10merge_implIS3_NS0_12zip_iteratorINS5_IJN6thrust23THRUST_200600_302600_NS6detail15normal_iteratorINSC_10device_ptrIKxEEEESI_EEEEESK_NSA_INS5_IJNSC_16discard_iteratorINSC_11use_defaultEEESN_EEEEEPS7_SQ_SQ_NSC_11hip_rocprim7__merge17predicate_wrapperIxxNSC_4lessIxEEEEEE10hipError_tPvRmT0_T1_T2_T3_T4_T5_mmT6_P12ihipStream_tbEUlT_E_NS1_11comp_targetILNS1_3genE10ELNS1_11target_archE1200ELNS1_3gpuE4ELNS1_3repE0EEENS1_30default_config_static_selectorELNS0_4arch9wavefront6targetE0EEEvS11_,comdat
.Lfunc_end575:
	.size	_ZN7rocprim17ROCPRIM_400000_NS6detail17trampoline_kernelINS0_14default_configENS1_21merge_config_selectorINS0_5tupleIJxxEEENS0_10empty_typeEEEZNS1_10merge_implIS3_NS0_12zip_iteratorINS5_IJN6thrust23THRUST_200600_302600_NS6detail15normal_iteratorINSC_10device_ptrIKxEEEESI_EEEEESK_NSA_INS5_IJNSC_16discard_iteratorINSC_11use_defaultEEESN_EEEEEPS7_SQ_SQ_NSC_11hip_rocprim7__merge17predicate_wrapperIxxNSC_4lessIxEEEEEE10hipError_tPvRmT0_T1_T2_T3_T4_T5_mmT6_P12ihipStream_tbEUlT_E_NS1_11comp_targetILNS1_3genE10ELNS1_11target_archE1200ELNS1_3gpuE4ELNS1_3repE0EEENS1_30default_config_static_selectorELNS0_4arch9wavefront6targetE0EEEvS11_, .Lfunc_end575-_ZN7rocprim17ROCPRIM_400000_NS6detail17trampoline_kernelINS0_14default_configENS1_21merge_config_selectorINS0_5tupleIJxxEEENS0_10empty_typeEEEZNS1_10merge_implIS3_NS0_12zip_iteratorINS5_IJN6thrust23THRUST_200600_302600_NS6detail15normal_iteratorINSC_10device_ptrIKxEEEESI_EEEEESK_NSA_INS5_IJNSC_16discard_iteratorINSC_11use_defaultEEESN_EEEEEPS7_SQ_SQ_NSC_11hip_rocprim7__merge17predicate_wrapperIxxNSC_4lessIxEEEEEE10hipError_tPvRmT0_T1_T2_T3_T4_T5_mmT6_P12ihipStream_tbEUlT_E_NS1_11comp_targetILNS1_3genE10ELNS1_11target_archE1200ELNS1_3gpuE4ELNS1_3repE0EEENS1_30default_config_static_selectorELNS0_4arch9wavefront6targetE0EEEvS11_
                                        ; -- End function
	.set _ZN7rocprim17ROCPRIM_400000_NS6detail17trampoline_kernelINS0_14default_configENS1_21merge_config_selectorINS0_5tupleIJxxEEENS0_10empty_typeEEEZNS1_10merge_implIS3_NS0_12zip_iteratorINS5_IJN6thrust23THRUST_200600_302600_NS6detail15normal_iteratorINSC_10device_ptrIKxEEEESI_EEEEESK_NSA_INS5_IJNSC_16discard_iteratorINSC_11use_defaultEEESN_EEEEEPS7_SQ_SQ_NSC_11hip_rocprim7__merge17predicate_wrapperIxxNSC_4lessIxEEEEEE10hipError_tPvRmT0_T1_T2_T3_T4_T5_mmT6_P12ihipStream_tbEUlT_E_NS1_11comp_targetILNS1_3genE10ELNS1_11target_archE1200ELNS1_3gpuE4ELNS1_3repE0EEENS1_30default_config_static_selectorELNS0_4arch9wavefront6targetE0EEEvS11_.num_vgpr, 0
	.set _ZN7rocprim17ROCPRIM_400000_NS6detail17trampoline_kernelINS0_14default_configENS1_21merge_config_selectorINS0_5tupleIJxxEEENS0_10empty_typeEEEZNS1_10merge_implIS3_NS0_12zip_iteratorINS5_IJN6thrust23THRUST_200600_302600_NS6detail15normal_iteratorINSC_10device_ptrIKxEEEESI_EEEEESK_NSA_INS5_IJNSC_16discard_iteratorINSC_11use_defaultEEESN_EEEEEPS7_SQ_SQ_NSC_11hip_rocprim7__merge17predicate_wrapperIxxNSC_4lessIxEEEEEE10hipError_tPvRmT0_T1_T2_T3_T4_T5_mmT6_P12ihipStream_tbEUlT_E_NS1_11comp_targetILNS1_3genE10ELNS1_11target_archE1200ELNS1_3gpuE4ELNS1_3repE0EEENS1_30default_config_static_selectorELNS0_4arch9wavefront6targetE0EEEvS11_.num_agpr, 0
	.set _ZN7rocprim17ROCPRIM_400000_NS6detail17trampoline_kernelINS0_14default_configENS1_21merge_config_selectorINS0_5tupleIJxxEEENS0_10empty_typeEEEZNS1_10merge_implIS3_NS0_12zip_iteratorINS5_IJN6thrust23THRUST_200600_302600_NS6detail15normal_iteratorINSC_10device_ptrIKxEEEESI_EEEEESK_NSA_INS5_IJNSC_16discard_iteratorINSC_11use_defaultEEESN_EEEEEPS7_SQ_SQ_NSC_11hip_rocprim7__merge17predicate_wrapperIxxNSC_4lessIxEEEEEE10hipError_tPvRmT0_T1_T2_T3_T4_T5_mmT6_P12ihipStream_tbEUlT_E_NS1_11comp_targetILNS1_3genE10ELNS1_11target_archE1200ELNS1_3gpuE4ELNS1_3repE0EEENS1_30default_config_static_selectorELNS0_4arch9wavefront6targetE0EEEvS11_.numbered_sgpr, 0
	.set _ZN7rocprim17ROCPRIM_400000_NS6detail17trampoline_kernelINS0_14default_configENS1_21merge_config_selectorINS0_5tupleIJxxEEENS0_10empty_typeEEEZNS1_10merge_implIS3_NS0_12zip_iteratorINS5_IJN6thrust23THRUST_200600_302600_NS6detail15normal_iteratorINSC_10device_ptrIKxEEEESI_EEEEESK_NSA_INS5_IJNSC_16discard_iteratorINSC_11use_defaultEEESN_EEEEEPS7_SQ_SQ_NSC_11hip_rocprim7__merge17predicate_wrapperIxxNSC_4lessIxEEEEEE10hipError_tPvRmT0_T1_T2_T3_T4_T5_mmT6_P12ihipStream_tbEUlT_E_NS1_11comp_targetILNS1_3genE10ELNS1_11target_archE1200ELNS1_3gpuE4ELNS1_3repE0EEENS1_30default_config_static_selectorELNS0_4arch9wavefront6targetE0EEEvS11_.num_named_barrier, 0
	.set _ZN7rocprim17ROCPRIM_400000_NS6detail17trampoline_kernelINS0_14default_configENS1_21merge_config_selectorINS0_5tupleIJxxEEENS0_10empty_typeEEEZNS1_10merge_implIS3_NS0_12zip_iteratorINS5_IJN6thrust23THRUST_200600_302600_NS6detail15normal_iteratorINSC_10device_ptrIKxEEEESI_EEEEESK_NSA_INS5_IJNSC_16discard_iteratorINSC_11use_defaultEEESN_EEEEEPS7_SQ_SQ_NSC_11hip_rocprim7__merge17predicate_wrapperIxxNSC_4lessIxEEEEEE10hipError_tPvRmT0_T1_T2_T3_T4_T5_mmT6_P12ihipStream_tbEUlT_E_NS1_11comp_targetILNS1_3genE10ELNS1_11target_archE1200ELNS1_3gpuE4ELNS1_3repE0EEENS1_30default_config_static_selectorELNS0_4arch9wavefront6targetE0EEEvS11_.private_seg_size, 0
	.set _ZN7rocprim17ROCPRIM_400000_NS6detail17trampoline_kernelINS0_14default_configENS1_21merge_config_selectorINS0_5tupleIJxxEEENS0_10empty_typeEEEZNS1_10merge_implIS3_NS0_12zip_iteratorINS5_IJN6thrust23THRUST_200600_302600_NS6detail15normal_iteratorINSC_10device_ptrIKxEEEESI_EEEEESK_NSA_INS5_IJNSC_16discard_iteratorINSC_11use_defaultEEESN_EEEEEPS7_SQ_SQ_NSC_11hip_rocprim7__merge17predicate_wrapperIxxNSC_4lessIxEEEEEE10hipError_tPvRmT0_T1_T2_T3_T4_T5_mmT6_P12ihipStream_tbEUlT_E_NS1_11comp_targetILNS1_3genE10ELNS1_11target_archE1200ELNS1_3gpuE4ELNS1_3repE0EEENS1_30default_config_static_selectorELNS0_4arch9wavefront6targetE0EEEvS11_.uses_vcc, 0
	.set _ZN7rocprim17ROCPRIM_400000_NS6detail17trampoline_kernelINS0_14default_configENS1_21merge_config_selectorINS0_5tupleIJxxEEENS0_10empty_typeEEEZNS1_10merge_implIS3_NS0_12zip_iteratorINS5_IJN6thrust23THRUST_200600_302600_NS6detail15normal_iteratorINSC_10device_ptrIKxEEEESI_EEEEESK_NSA_INS5_IJNSC_16discard_iteratorINSC_11use_defaultEEESN_EEEEEPS7_SQ_SQ_NSC_11hip_rocprim7__merge17predicate_wrapperIxxNSC_4lessIxEEEEEE10hipError_tPvRmT0_T1_T2_T3_T4_T5_mmT6_P12ihipStream_tbEUlT_E_NS1_11comp_targetILNS1_3genE10ELNS1_11target_archE1200ELNS1_3gpuE4ELNS1_3repE0EEENS1_30default_config_static_selectorELNS0_4arch9wavefront6targetE0EEEvS11_.uses_flat_scratch, 0
	.set _ZN7rocprim17ROCPRIM_400000_NS6detail17trampoline_kernelINS0_14default_configENS1_21merge_config_selectorINS0_5tupleIJxxEEENS0_10empty_typeEEEZNS1_10merge_implIS3_NS0_12zip_iteratorINS5_IJN6thrust23THRUST_200600_302600_NS6detail15normal_iteratorINSC_10device_ptrIKxEEEESI_EEEEESK_NSA_INS5_IJNSC_16discard_iteratorINSC_11use_defaultEEESN_EEEEEPS7_SQ_SQ_NSC_11hip_rocprim7__merge17predicate_wrapperIxxNSC_4lessIxEEEEEE10hipError_tPvRmT0_T1_T2_T3_T4_T5_mmT6_P12ihipStream_tbEUlT_E_NS1_11comp_targetILNS1_3genE10ELNS1_11target_archE1200ELNS1_3gpuE4ELNS1_3repE0EEENS1_30default_config_static_selectorELNS0_4arch9wavefront6targetE0EEEvS11_.has_dyn_sized_stack, 0
	.set _ZN7rocprim17ROCPRIM_400000_NS6detail17trampoline_kernelINS0_14default_configENS1_21merge_config_selectorINS0_5tupleIJxxEEENS0_10empty_typeEEEZNS1_10merge_implIS3_NS0_12zip_iteratorINS5_IJN6thrust23THRUST_200600_302600_NS6detail15normal_iteratorINSC_10device_ptrIKxEEEESI_EEEEESK_NSA_INS5_IJNSC_16discard_iteratorINSC_11use_defaultEEESN_EEEEEPS7_SQ_SQ_NSC_11hip_rocprim7__merge17predicate_wrapperIxxNSC_4lessIxEEEEEE10hipError_tPvRmT0_T1_T2_T3_T4_T5_mmT6_P12ihipStream_tbEUlT_E_NS1_11comp_targetILNS1_3genE10ELNS1_11target_archE1200ELNS1_3gpuE4ELNS1_3repE0EEENS1_30default_config_static_selectorELNS0_4arch9wavefront6targetE0EEEvS11_.has_recursion, 0
	.set _ZN7rocprim17ROCPRIM_400000_NS6detail17trampoline_kernelINS0_14default_configENS1_21merge_config_selectorINS0_5tupleIJxxEEENS0_10empty_typeEEEZNS1_10merge_implIS3_NS0_12zip_iteratorINS5_IJN6thrust23THRUST_200600_302600_NS6detail15normal_iteratorINSC_10device_ptrIKxEEEESI_EEEEESK_NSA_INS5_IJNSC_16discard_iteratorINSC_11use_defaultEEESN_EEEEEPS7_SQ_SQ_NSC_11hip_rocprim7__merge17predicate_wrapperIxxNSC_4lessIxEEEEEE10hipError_tPvRmT0_T1_T2_T3_T4_T5_mmT6_P12ihipStream_tbEUlT_E_NS1_11comp_targetILNS1_3genE10ELNS1_11target_archE1200ELNS1_3gpuE4ELNS1_3repE0EEENS1_30default_config_static_selectorELNS0_4arch9wavefront6targetE0EEEvS11_.has_indirect_call, 0
	.section	.AMDGPU.csdata,"",@progbits
; Kernel info:
; codeLenInByte = 0
; TotalNumSgprs: 0
; NumVgprs: 0
; ScratchSize: 0
; MemoryBound: 0
; FloatMode: 240
; IeeeMode: 1
; LDSByteSize: 0 bytes/workgroup (compile time only)
; SGPRBlocks: 0
; VGPRBlocks: 0
; NumSGPRsForWavesPerEU: 1
; NumVGPRsForWavesPerEU: 1
; Occupancy: 16
; WaveLimiterHint : 0
; COMPUTE_PGM_RSRC2:SCRATCH_EN: 0
; COMPUTE_PGM_RSRC2:USER_SGPR: 6
; COMPUTE_PGM_RSRC2:TRAP_HANDLER: 0
; COMPUTE_PGM_RSRC2:TGID_X_EN: 1
; COMPUTE_PGM_RSRC2:TGID_Y_EN: 0
; COMPUTE_PGM_RSRC2:TGID_Z_EN: 0
; COMPUTE_PGM_RSRC2:TIDIG_COMP_CNT: 0
	.section	.text._ZN7rocprim17ROCPRIM_400000_NS6detail17trampoline_kernelINS0_14default_configENS1_21merge_config_selectorINS0_5tupleIJxxEEENS0_10empty_typeEEEZNS1_10merge_implIS3_NS0_12zip_iteratorINS5_IJN6thrust23THRUST_200600_302600_NS6detail15normal_iteratorINSC_10device_ptrIKxEEEESI_EEEEESK_NSA_INS5_IJNSC_16discard_iteratorINSC_11use_defaultEEESN_EEEEEPS7_SQ_SQ_NSC_11hip_rocprim7__merge17predicate_wrapperIxxNSC_4lessIxEEEEEE10hipError_tPvRmT0_T1_T2_T3_T4_T5_mmT6_P12ihipStream_tbEUlT_E_NS1_11comp_targetILNS1_3genE9ELNS1_11target_archE1100ELNS1_3gpuE3ELNS1_3repE0EEENS1_30default_config_static_selectorELNS0_4arch9wavefront6targetE0EEEvS11_,"axG",@progbits,_ZN7rocprim17ROCPRIM_400000_NS6detail17trampoline_kernelINS0_14default_configENS1_21merge_config_selectorINS0_5tupleIJxxEEENS0_10empty_typeEEEZNS1_10merge_implIS3_NS0_12zip_iteratorINS5_IJN6thrust23THRUST_200600_302600_NS6detail15normal_iteratorINSC_10device_ptrIKxEEEESI_EEEEESK_NSA_INS5_IJNSC_16discard_iteratorINSC_11use_defaultEEESN_EEEEEPS7_SQ_SQ_NSC_11hip_rocprim7__merge17predicate_wrapperIxxNSC_4lessIxEEEEEE10hipError_tPvRmT0_T1_T2_T3_T4_T5_mmT6_P12ihipStream_tbEUlT_E_NS1_11comp_targetILNS1_3genE9ELNS1_11target_archE1100ELNS1_3gpuE3ELNS1_3repE0EEENS1_30default_config_static_selectorELNS0_4arch9wavefront6targetE0EEEvS11_,comdat
	.protected	_ZN7rocprim17ROCPRIM_400000_NS6detail17trampoline_kernelINS0_14default_configENS1_21merge_config_selectorINS0_5tupleIJxxEEENS0_10empty_typeEEEZNS1_10merge_implIS3_NS0_12zip_iteratorINS5_IJN6thrust23THRUST_200600_302600_NS6detail15normal_iteratorINSC_10device_ptrIKxEEEESI_EEEEESK_NSA_INS5_IJNSC_16discard_iteratorINSC_11use_defaultEEESN_EEEEEPS7_SQ_SQ_NSC_11hip_rocprim7__merge17predicate_wrapperIxxNSC_4lessIxEEEEEE10hipError_tPvRmT0_T1_T2_T3_T4_T5_mmT6_P12ihipStream_tbEUlT_E_NS1_11comp_targetILNS1_3genE9ELNS1_11target_archE1100ELNS1_3gpuE3ELNS1_3repE0EEENS1_30default_config_static_selectorELNS0_4arch9wavefront6targetE0EEEvS11_ ; -- Begin function _ZN7rocprim17ROCPRIM_400000_NS6detail17trampoline_kernelINS0_14default_configENS1_21merge_config_selectorINS0_5tupleIJxxEEENS0_10empty_typeEEEZNS1_10merge_implIS3_NS0_12zip_iteratorINS5_IJN6thrust23THRUST_200600_302600_NS6detail15normal_iteratorINSC_10device_ptrIKxEEEESI_EEEEESK_NSA_INS5_IJNSC_16discard_iteratorINSC_11use_defaultEEESN_EEEEEPS7_SQ_SQ_NSC_11hip_rocprim7__merge17predicate_wrapperIxxNSC_4lessIxEEEEEE10hipError_tPvRmT0_T1_T2_T3_T4_T5_mmT6_P12ihipStream_tbEUlT_E_NS1_11comp_targetILNS1_3genE9ELNS1_11target_archE1100ELNS1_3gpuE3ELNS1_3repE0EEENS1_30default_config_static_selectorELNS0_4arch9wavefront6targetE0EEEvS11_
	.globl	_ZN7rocprim17ROCPRIM_400000_NS6detail17trampoline_kernelINS0_14default_configENS1_21merge_config_selectorINS0_5tupleIJxxEEENS0_10empty_typeEEEZNS1_10merge_implIS3_NS0_12zip_iteratorINS5_IJN6thrust23THRUST_200600_302600_NS6detail15normal_iteratorINSC_10device_ptrIKxEEEESI_EEEEESK_NSA_INS5_IJNSC_16discard_iteratorINSC_11use_defaultEEESN_EEEEEPS7_SQ_SQ_NSC_11hip_rocprim7__merge17predicate_wrapperIxxNSC_4lessIxEEEEEE10hipError_tPvRmT0_T1_T2_T3_T4_T5_mmT6_P12ihipStream_tbEUlT_E_NS1_11comp_targetILNS1_3genE9ELNS1_11target_archE1100ELNS1_3gpuE3ELNS1_3repE0EEENS1_30default_config_static_selectorELNS0_4arch9wavefront6targetE0EEEvS11_
	.p2align	8
	.type	_ZN7rocprim17ROCPRIM_400000_NS6detail17trampoline_kernelINS0_14default_configENS1_21merge_config_selectorINS0_5tupleIJxxEEENS0_10empty_typeEEEZNS1_10merge_implIS3_NS0_12zip_iteratorINS5_IJN6thrust23THRUST_200600_302600_NS6detail15normal_iteratorINSC_10device_ptrIKxEEEESI_EEEEESK_NSA_INS5_IJNSC_16discard_iteratorINSC_11use_defaultEEESN_EEEEEPS7_SQ_SQ_NSC_11hip_rocprim7__merge17predicate_wrapperIxxNSC_4lessIxEEEEEE10hipError_tPvRmT0_T1_T2_T3_T4_T5_mmT6_P12ihipStream_tbEUlT_E_NS1_11comp_targetILNS1_3genE9ELNS1_11target_archE1100ELNS1_3gpuE3ELNS1_3repE0EEENS1_30default_config_static_selectorELNS0_4arch9wavefront6targetE0EEEvS11_,@function
_ZN7rocprim17ROCPRIM_400000_NS6detail17trampoline_kernelINS0_14default_configENS1_21merge_config_selectorINS0_5tupleIJxxEEENS0_10empty_typeEEEZNS1_10merge_implIS3_NS0_12zip_iteratorINS5_IJN6thrust23THRUST_200600_302600_NS6detail15normal_iteratorINSC_10device_ptrIKxEEEESI_EEEEESK_NSA_INS5_IJNSC_16discard_iteratorINSC_11use_defaultEEESN_EEEEEPS7_SQ_SQ_NSC_11hip_rocprim7__merge17predicate_wrapperIxxNSC_4lessIxEEEEEE10hipError_tPvRmT0_T1_T2_T3_T4_T5_mmT6_P12ihipStream_tbEUlT_E_NS1_11comp_targetILNS1_3genE9ELNS1_11target_archE1100ELNS1_3gpuE3ELNS1_3repE0EEENS1_30default_config_static_selectorELNS0_4arch9wavefront6targetE0EEEvS11_: ; @_ZN7rocprim17ROCPRIM_400000_NS6detail17trampoline_kernelINS0_14default_configENS1_21merge_config_selectorINS0_5tupleIJxxEEENS0_10empty_typeEEEZNS1_10merge_implIS3_NS0_12zip_iteratorINS5_IJN6thrust23THRUST_200600_302600_NS6detail15normal_iteratorINSC_10device_ptrIKxEEEESI_EEEEESK_NSA_INS5_IJNSC_16discard_iteratorINSC_11use_defaultEEESN_EEEEEPS7_SQ_SQ_NSC_11hip_rocprim7__merge17predicate_wrapperIxxNSC_4lessIxEEEEEE10hipError_tPvRmT0_T1_T2_T3_T4_T5_mmT6_P12ihipStream_tbEUlT_E_NS1_11comp_targetILNS1_3genE9ELNS1_11target_archE1100ELNS1_3gpuE3ELNS1_3repE0EEENS1_30default_config_static_selectorELNS0_4arch9wavefront6targetE0EEEvS11_
; %bb.0:
	.section	.rodata,"a",@progbits
	.p2align	6, 0x0
	.amdhsa_kernel _ZN7rocprim17ROCPRIM_400000_NS6detail17trampoline_kernelINS0_14default_configENS1_21merge_config_selectorINS0_5tupleIJxxEEENS0_10empty_typeEEEZNS1_10merge_implIS3_NS0_12zip_iteratorINS5_IJN6thrust23THRUST_200600_302600_NS6detail15normal_iteratorINSC_10device_ptrIKxEEEESI_EEEEESK_NSA_INS5_IJNSC_16discard_iteratorINSC_11use_defaultEEESN_EEEEEPS7_SQ_SQ_NSC_11hip_rocprim7__merge17predicate_wrapperIxxNSC_4lessIxEEEEEE10hipError_tPvRmT0_T1_T2_T3_T4_T5_mmT6_P12ihipStream_tbEUlT_E_NS1_11comp_targetILNS1_3genE9ELNS1_11target_archE1100ELNS1_3gpuE3ELNS1_3repE0EEENS1_30default_config_static_selectorELNS0_4arch9wavefront6targetE0EEEvS11_
		.amdhsa_group_segment_fixed_size 0
		.amdhsa_private_segment_fixed_size 0
		.amdhsa_kernarg_size 64
		.amdhsa_user_sgpr_count 6
		.amdhsa_user_sgpr_private_segment_buffer 1
		.amdhsa_user_sgpr_dispatch_ptr 0
		.amdhsa_user_sgpr_queue_ptr 0
		.amdhsa_user_sgpr_kernarg_segment_ptr 1
		.amdhsa_user_sgpr_dispatch_id 0
		.amdhsa_user_sgpr_flat_scratch_init 0
		.amdhsa_user_sgpr_private_segment_size 0
		.amdhsa_wavefront_size32 1
		.amdhsa_uses_dynamic_stack 0
		.amdhsa_system_sgpr_private_segment_wavefront_offset 0
		.amdhsa_system_sgpr_workgroup_id_x 1
		.amdhsa_system_sgpr_workgroup_id_y 0
		.amdhsa_system_sgpr_workgroup_id_z 0
		.amdhsa_system_sgpr_workgroup_info 0
		.amdhsa_system_vgpr_workitem_id 0
		.amdhsa_next_free_vgpr 1
		.amdhsa_next_free_sgpr 1
		.amdhsa_reserve_vcc 0
		.amdhsa_reserve_flat_scratch 0
		.amdhsa_float_round_mode_32 0
		.amdhsa_float_round_mode_16_64 0
		.amdhsa_float_denorm_mode_32 3
		.amdhsa_float_denorm_mode_16_64 3
		.amdhsa_dx10_clamp 1
		.amdhsa_ieee_mode 1
		.amdhsa_fp16_overflow 0
		.amdhsa_workgroup_processor_mode 1
		.amdhsa_memory_ordered 1
		.amdhsa_forward_progress 1
		.amdhsa_shared_vgpr_count 0
		.amdhsa_exception_fp_ieee_invalid_op 0
		.amdhsa_exception_fp_denorm_src 0
		.amdhsa_exception_fp_ieee_div_zero 0
		.amdhsa_exception_fp_ieee_overflow 0
		.amdhsa_exception_fp_ieee_underflow 0
		.amdhsa_exception_fp_ieee_inexact 0
		.amdhsa_exception_int_div_zero 0
	.end_amdhsa_kernel
	.section	.text._ZN7rocprim17ROCPRIM_400000_NS6detail17trampoline_kernelINS0_14default_configENS1_21merge_config_selectorINS0_5tupleIJxxEEENS0_10empty_typeEEEZNS1_10merge_implIS3_NS0_12zip_iteratorINS5_IJN6thrust23THRUST_200600_302600_NS6detail15normal_iteratorINSC_10device_ptrIKxEEEESI_EEEEESK_NSA_INS5_IJNSC_16discard_iteratorINSC_11use_defaultEEESN_EEEEEPS7_SQ_SQ_NSC_11hip_rocprim7__merge17predicate_wrapperIxxNSC_4lessIxEEEEEE10hipError_tPvRmT0_T1_T2_T3_T4_T5_mmT6_P12ihipStream_tbEUlT_E_NS1_11comp_targetILNS1_3genE9ELNS1_11target_archE1100ELNS1_3gpuE3ELNS1_3repE0EEENS1_30default_config_static_selectorELNS0_4arch9wavefront6targetE0EEEvS11_,"axG",@progbits,_ZN7rocprim17ROCPRIM_400000_NS6detail17trampoline_kernelINS0_14default_configENS1_21merge_config_selectorINS0_5tupleIJxxEEENS0_10empty_typeEEEZNS1_10merge_implIS3_NS0_12zip_iteratorINS5_IJN6thrust23THRUST_200600_302600_NS6detail15normal_iteratorINSC_10device_ptrIKxEEEESI_EEEEESK_NSA_INS5_IJNSC_16discard_iteratorINSC_11use_defaultEEESN_EEEEEPS7_SQ_SQ_NSC_11hip_rocprim7__merge17predicate_wrapperIxxNSC_4lessIxEEEEEE10hipError_tPvRmT0_T1_T2_T3_T4_T5_mmT6_P12ihipStream_tbEUlT_E_NS1_11comp_targetILNS1_3genE9ELNS1_11target_archE1100ELNS1_3gpuE3ELNS1_3repE0EEENS1_30default_config_static_selectorELNS0_4arch9wavefront6targetE0EEEvS11_,comdat
.Lfunc_end576:
	.size	_ZN7rocprim17ROCPRIM_400000_NS6detail17trampoline_kernelINS0_14default_configENS1_21merge_config_selectorINS0_5tupleIJxxEEENS0_10empty_typeEEEZNS1_10merge_implIS3_NS0_12zip_iteratorINS5_IJN6thrust23THRUST_200600_302600_NS6detail15normal_iteratorINSC_10device_ptrIKxEEEESI_EEEEESK_NSA_INS5_IJNSC_16discard_iteratorINSC_11use_defaultEEESN_EEEEEPS7_SQ_SQ_NSC_11hip_rocprim7__merge17predicate_wrapperIxxNSC_4lessIxEEEEEE10hipError_tPvRmT0_T1_T2_T3_T4_T5_mmT6_P12ihipStream_tbEUlT_E_NS1_11comp_targetILNS1_3genE9ELNS1_11target_archE1100ELNS1_3gpuE3ELNS1_3repE0EEENS1_30default_config_static_selectorELNS0_4arch9wavefront6targetE0EEEvS11_, .Lfunc_end576-_ZN7rocprim17ROCPRIM_400000_NS6detail17trampoline_kernelINS0_14default_configENS1_21merge_config_selectorINS0_5tupleIJxxEEENS0_10empty_typeEEEZNS1_10merge_implIS3_NS0_12zip_iteratorINS5_IJN6thrust23THRUST_200600_302600_NS6detail15normal_iteratorINSC_10device_ptrIKxEEEESI_EEEEESK_NSA_INS5_IJNSC_16discard_iteratorINSC_11use_defaultEEESN_EEEEEPS7_SQ_SQ_NSC_11hip_rocprim7__merge17predicate_wrapperIxxNSC_4lessIxEEEEEE10hipError_tPvRmT0_T1_T2_T3_T4_T5_mmT6_P12ihipStream_tbEUlT_E_NS1_11comp_targetILNS1_3genE9ELNS1_11target_archE1100ELNS1_3gpuE3ELNS1_3repE0EEENS1_30default_config_static_selectorELNS0_4arch9wavefront6targetE0EEEvS11_
                                        ; -- End function
	.set _ZN7rocprim17ROCPRIM_400000_NS6detail17trampoline_kernelINS0_14default_configENS1_21merge_config_selectorINS0_5tupleIJxxEEENS0_10empty_typeEEEZNS1_10merge_implIS3_NS0_12zip_iteratorINS5_IJN6thrust23THRUST_200600_302600_NS6detail15normal_iteratorINSC_10device_ptrIKxEEEESI_EEEEESK_NSA_INS5_IJNSC_16discard_iteratorINSC_11use_defaultEEESN_EEEEEPS7_SQ_SQ_NSC_11hip_rocprim7__merge17predicate_wrapperIxxNSC_4lessIxEEEEEE10hipError_tPvRmT0_T1_T2_T3_T4_T5_mmT6_P12ihipStream_tbEUlT_E_NS1_11comp_targetILNS1_3genE9ELNS1_11target_archE1100ELNS1_3gpuE3ELNS1_3repE0EEENS1_30default_config_static_selectorELNS0_4arch9wavefront6targetE0EEEvS11_.num_vgpr, 0
	.set _ZN7rocprim17ROCPRIM_400000_NS6detail17trampoline_kernelINS0_14default_configENS1_21merge_config_selectorINS0_5tupleIJxxEEENS0_10empty_typeEEEZNS1_10merge_implIS3_NS0_12zip_iteratorINS5_IJN6thrust23THRUST_200600_302600_NS6detail15normal_iteratorINSC_10device_ptrIKxEEEESI_EEEEESK_NSA_INS5_IJNSC_16discard_iteratorINSC_11use_defaultEEESN_EEEEEPS7_SQ_SQ_NSC_11hip_rocprim7__merge17predicate_wrapperIxxNSC_4lessIxEEEEEE10hipError_tPvRmT0_T1_T2_T3_T4_T5_mmT6_P12ihipStream_tbEUlT_E_NS1_11comp_targetILNS1_3genE9ELNS1_11target_archE1100ELNS1_3gpuE3ELNS1_3repE0EEENS1_30default_config_static_selectorELNS0_4arch9wavefront6targetE0EEEvS11_.num_agpr, 0
	.set _ZN7rocprim17ROCPRIM_400000_NS6detail17trampoline_kernelINS0_14default_configENS1_21merge_config_selectorINS0_5tupleIJxxEEENS0_10empty_typeEEEZNS1_10merge_implIS3_NS0_12zip_iteratorINS5_IJN6thrust23THRUST_200600_302600_NS6detail15normal_iteratorINSC_10device_ptrIKxEEEESI_EEEEESK_NSA_INS5_IJNSC_16discard_iteratorINSC_11use_defaultEEESN_EEEEEPS7_SQ_SQ_NSC_11hip_rocprim7__merge17predicate_wrapperIxxNSC_4lessIxEEEEEE10hipError_tPvRmT0_T1_T2_T3_T4_T5_mmT6_P12ihipStream_tbEUlT_E_NS1_11comp_targetILNS1_3genE9ELNS1_11target_archE1100ELNS1_3gpuE3ELNS1_3repE0EEENS1_30default_config_static_selectorELNS0_4arch9wavefront6targetE0EEEvS11_.numbered_sgpr, 0
	.set _ZN7rocprim17ROCPRIM_400000_NS6detail17trampoline_kernelINS0_14default_configENS1_21merge_config_selectorINS0_5tupleIJxxEEENS0_10empty_typeEEEZNS1_10merge_implIS3_NS0_12zip_iteratorINS5_IJN6thrust23THRUST_200600_302600_NS6detail15normal_iteratorINSC_10device_ptrIKxEEEESI_EEEEESK_NSA_INS5_IJNSC_16discard_iteratorINSC_11use_defaultEEESN_EEEEEPS7_SQ_SQ_NSC_11hip_rocprim7__merge17predicate_wrapperIxxNSC_4lessIxEEEEEE10hipError_tPvRmT0_T1_T2_T3_T4_T5_mmT6_P12ihipStream_tbEUlT_E_NS1_11comp_targetILNS1_3genE9ELNS1_11target_archE1100ELNS1_3gpuE3ELNS1_3repE0EEENS1_30default_config_static_selectorELNS0_4arch9wavefront6targetE0EEEvS11_.num_named_barrier, 0
	.set _ZN7rocprim17ROCPRIM_400000_NS6detail17trampoline_kernelINS0_14default_configENS1_21merge_config_selectorINS0_5tupleIJxxEEENS0_10empty_typeEEEZNS1_10merge_implIS3_NS0_12zip_iteratorINS5_IJN6thrust23THRUST_200600_302600_NS6detail15normal_iteratorINSC_10device_ptrIKxEEEESI_EEEEESK_NSA_INS5_IJNSC_16discard_iteratorINSC_11use_defaultEEESN_EEEEEPS7_SQ_SQ_NSC_11hip_rocprim7__merge17predicate_wrapperIxxNSC_4lessIxEEEEEE10hipError_tPvRmT0_T1_T2_T3_T4_T5_mmT6_P12ihipStream_tbEUlT_E_NS1_11comp_targetILNS1_3genE9ELNS1_11target_archE1100ELNS1_3gpuE3ELNS1_3repE0EEENS1_30default_config_static_selectorELNS0_4arch9wavefront6targetE0EEEvS11_.private_seg_size, 0
	.set _ZN7rocprim17ROCPRIM_400000_NS6detail17trampoline_kernelINS0_14default_configENS1_21merge_config_selectorINS0_5tupleIJxxEEENS0_10empty_typeEEEZNS1_10merge_implIS3_NS0_12zip_iteratorINS5_IJN6thrust23THRUST_200600_302600_NS6detail15normal_iteratorINSC_10device_ptrIKxEEEESI_EEEEESK_NSA_INS5_IJNSC_16discard_iteratorINSC_11use_defaultEEESN_EEEEEPS7_SQ_SQ_NSC_11hip_rocprim7__merge17predicate_wrapperIxxNSC_4lessIxEEEEEE10hipError_tPvRmT0_T1_T2_T3_T4_T5_mmT6_P12ihipStream_tbEUlT_E_NS1_11comp_targetILNS1_3genE9ELNS1_11target_archE1100ELNS1_3gpuE3ELNS1_3repE0EEENS1_30default_config_static_selectorELNS0_4arch9wavefront6targetE0EEEvS11_.uses_vcc, 0
	.set _ZN7rocprim17ROCPRIM_400000_NS6detail17trampoline_kernelINS0_14default_configENS1_21merge_config_selectorINS0_5tupleIJxxEEENS0_10empty_typeEEEZNS1_10merge_implIS3_NS0_12zip_iteratorINS5_IJN6thrust23THRUST_200600_302600_NS6detail15normal_iteratorINSC_10device_ptrIKxEEEESI_EEEEESK_NSA_INS5_IJNSC_16discard_iteratorINSC_11use_defaultEEESN_EEEEEPS7_SQ_SQ_NSC_11hip_rocprim7__merge17predicate_wrapperIxxNSC_4lessIxEEEEEE10hipError_tPvRmT0_T1_T2_T3_T4_T5_mmT6_P12ihipStream_tbEUlT_E_NS1_11comp_targetILNS1_3genE9ELNS1_11target_archE1100ELNS1_3gpuE3ELNS1_3repE0EEENS1_30default_config_static_selectorELNS0_4arch9wavefront6targetE0EEEvS11_.uses_flat_scratch, 0
	.set _ZN7rocprim17ROCPRIM_400000_NS6detail17trampoline_kernelINS0_14default_configENS1_21merge_config_selectorINS0_5tupleIJxxEEENS0_10empty_typeEEEZNS1_10merge_implIS3_NS0_12zip_iteratorINS5_IJN6thrust23THRUST_200600_302600_NS6detail15normal_iteratorINSC_10device_ptrIKxEEEESI_EEEEESK_NSA_INS5_IJNSC_16discard_iteratorINSC_11use_defaultEEESN_EEEEEPS7_SQ_SQ_NSC_11hip_rocprim7__merge17predicate_wrapperIxxNSC_4lessIxEEEEEE10hipError_tPvRmT0_T1_T2_T3_T4_T5_mmT6_P12ihipStream_tbEUlT_E_NS1_11comp_targetILNS1_3genE9ELNS1_11target_archE1100ELNS1_3gpuE3ELNS1_3repE0EEENS1_30default_config_static_selectorELNS0_4arch9wavefront6targetE0EEEvS11_.has_dyn_sized_stack, 0
	.set _ZN7rocprim17ROCPRIM_400000_NS6detail17trampoline_kernelINS0_14default_configENS1_21merge_config_selectorINS0_5tupleIJxxEEENS0_10empty_typeEEEZNS1_10merge_implIS3_NS0_12zip_iteratorINS5_IJN6thrust23THRUST_200600_302600_NS6detail15normal_iteratorINSC_10device_ptrIKxEEEESI_EEEEESK_NSA_INS5_IJNSC_16discard_iteratorINSC_11use_defaultEEESN_EEEEEPS7_SQ_SQ_NSC_11hip_rocprim7__merge17predicate_wrapperIxxNSC_4lessIxEEEEEE10hipError_tPvRmT0_T1_T2_T3_T4_T5_mmT6_P12ihipStream_tbEUlT_E_NS1_11comp_targetILNS1_3genE9ELNS1_11target_archE1100ELNS1_3gpuE3ELNS1_3repE0EEENS1_30default_config_static_selectorELNS0_4arch9wavefront6targetE0EEEvS11_.has_recursion, 0
	.set _ZN7rocprim17ROCPRIM_400000_NS6detail17trampoline_kernelINS0_14default_configENS1_21merge_config_selectorINS0_5tupleIJxxEEENS0_10empty_typeEEEZNS1_10merge_implIS3_NS0_12zip_iteratorINS5_IJN6thrust23THRUST_200600_302600_NS6detail15normal_iteratorINSC_10device_ptrIKxEEEESI_EEEEESK_NSA_INS5_IJNSC_16discard_iteratorINSC_11use_defaultEEESN_EEEEEPS7_SQ_SQ_NSC_11hip_rocprim7__merge17predicate_wrapperIxxNSC_4lessIxEEEEEE10hipError_tPvRmT0_T1_T2_T3_T4_T5_mmT6_P12ihipStream_tbEUlT_E_NS1_11comp_targetILNS1_3genE9ELNS1_11target_archE1100ELNS1_3gpuE3ELNS1_3repE0EEENS1_30default_config_static_selectorELNS0_4arch9wavefront6targetE0EEEvS11_.has_indirect_call, 0
	.section	.AMDGPU.csdata,"",@progbits
; Kernel info:
; codeLenInByte = 0
; TotalNumSgprs: 0
; NumVgprs: 0
; ScratchSize: 0
; MemoryBound: 0
; FloatMode: 240
; IeeeMode: 1
; LDSByteSize: 0 bytes/workgroup (compile time only)
; SGPRBlocks: 0
; VGPRBlocks: 0
; NumSGPRsForWavesPerEU: 1
; NumVGPRsForWavesPerEU: 1
; Occupancy: 16
; WaveLimiterHint : 0
; COMPUTE_PGM_RSRC2:SCRATCH_EN: 0
; COMPUTE_PGM_RSRC2:USER_SGPR: 6
; COMPUTE_PGM_RSRC2:TRAP_HANDLER: 0
; COMPUTE_PGM_RSRC2:TGID_X_EN: 1
; COMPUTE_PGM_RSRC2:TGID_Y_EN: 0
; COMPUTE_PGM_RSRC2:TGID_Z_EN: 0
; COMPUTE_PGM_RSRC2:TIDIG_COMP_CNT: 0
	.section	.text._ZN7rocprim17ROCPRIM_400000_NS6detail17trampoline_kernelINS0_14default_configENS1_21merge_config_selectorINS0_5tupleIJxxEEENS0_10empty_typeEEEZNS1_10merge_implIS3_NS0_12zip_iteratorINS5_IJN6thrust23THRUST_200600_302600_NS6detail15normal_iteratorINSC_10device_ptrIKxEEEESI_EEEEESK_NSA_INS5_IJNSC_16discard_iteratorINSC_11use_defaultEEESN_EEEEEPS7_SQ_SQ_NSC_11hip_rocprim7__merge17predicate_wrapperIxxNSC_4lessIxEEEEEE10hipError_tPvRmT0_T1_T2_T3_T4_T5_mmT6_P12ihipStream_tbEUlT_E_NS1_11comp_targetILNS1_3genE8ELNS1_11target_archE1030ELNS1_3gpuE2ELNS1_3repE0EEENS1_30default_config_static_selectorELNS0_4arch9wavefront6targetE0EEEvS11_,"axG",@progbits,_ZN7rocprim17ROCPRIM_400000_NS6detail17trampoline_kernelINS0_14default_configENS1_21merge_config_selectorINS0_5tupleIJxxEEENS0_10empty_typeEEEZNS1_10merge_implIS3_NS0_12zip_iteratorINS5_IJN6thrust23THRUST_200600_302600_NS6detail15normal_iteratorINSC_10device_ptrIKxEEEESI_EEEEESK_NSA_INS5_IJNSC_16discard_iteratorINSC_11use_defaultEEESN_EEEEEPS7_SQ_SQ_NSC_11hip_rocprim7__merge17predicate_wrapperIxxNSC_4lessIxEEEEEE10hipError_tPvRmT0_T1_T2_T3_T4_T5_mmT6_P12ihipStream_tbEUlT_E_NS1_11comp_targetILNS1_3genE8ELNS1_11target_archE1030ELNS1_3gpuE2ELNS1_3repE0EEENS1_30default_config_static_selectorELNS0_4arch9wavefront6targetE0EEEvS11_,comdat
	.protected	_ZN7rocprim17ROCPRIM_400000_NS6detail17trampoline_kernelINS0_14default_configENS1_21merge_config_selectorINS0_5tupleIJxxEEENS0_10empty_typeEEEZNS1_10merge_implIS3_NS0_12zip_iteratorINS5_IJN6thrust23THRUST_200600_302600_NS6detail15normal_iteratorINSC_10device_ptrIKxEEEESI_EEEEESK_NSA_INS5_IJNSC_16discard_iteratorINSC_11use_defaultEEESN_EEEEEPS7_SQ_SQ_NSC_11hip_rocprim7__merge17predicate_wrapperIxxNSC_4lessIxEEEEEE10hipError_tPvRmT0_T1_T2_T3_T4_T5_mmT6_P12ihipStream_tbEUlT_E_NS1_11comp_targetILNS1_3genE8ELNS1_11target_archE1030ELNS1_3gpuE2ELNS1_3repE0EEENS1_30default_config_static_selectorELNS0_4arch9wavefront6targetE0EEEvS11_ ; -- Begin function _ZN7rocprim17ROCPRIM_400000_NS6detail17trampoline_kernelINS0_14default_configENS1_21merge_config_selectorINS0_5tupleIJxxEEENS0_10empty_typeEEEZNS1_10merge_implIS3_NS0_12zip_iteratorINS5_IJN6thrust23THRUST_200600_302600_NS6detail15normal_iteratorINSC_10device_ptrIKxEEEESI_EEEEESK_NSA_INS5_IJNSC_16discard_iteratorINSC_11use_defaultEEESN_EEEEEPS7_SQ_SQ_NSC_11hip_rocprim7__merge17predicate_wrapperIxxNSC_4lessIxEEEEEE10hipError_tPvRmT0_T1_T2_T3_T4_T5_mmT6_P12ihipStream_tbEUlT_E_NS1_11comp_targetILNS1_3genE8ELNS1_11target_archE1030ELNS1_3gpuE2ELNS1_3repE0EEENS1_30default_config_static_selectorELNS0_4arch9wavefront6targetE0EEEvS11_
	.globl	_ZN7rocprim17ROCPRIM_400000_NS6detail17trampoline_kernelINS0_14default_configENS1_21merge_config_selectorINS0_5tupleIJxxEEENS0_10empty_typeEEEZNS1_10merge_implIS3_NS0_12zip_iteratorINS5_IJN6thrust23THRUST_200600_302600_NS6detail15normal_iteratorINSC_10device_ptrIKxEEEESI_EEEEESK_NSA_INS5_IJNSC_16discard_iteratorINSC_11use_defaultEEESN_EEEEEPS7_SQ_SQ_NSC_11hip_rocprim7__merge17predicate_wrapperIxxNSC_4lessIxEEEEEE10hipError_tPvRmT0_T1_T2_T3_T4_T5_mmT6_P12ihipStream_tbEUlT_E_NS1_11comp_targetILNS1_3genE8ELNS1_11target_archE1030ELNS1_3gpuE2ELNS1_3repE0EEENS1_30default_config_static_selectorELNS0_4arch9wavefront6targetE0EEEvS11_
	.p2align	8
	.type	_ZN7rocprim17ROCPRIM_400000_NS6detail17trampoline_kernelINS0_14default_configENS1_21merge_config_selectorINS0_5tupleIJxxEEENS0_10empty_typeEEEZNS1_10merge_implIS3_NS0_12zip_iteratorINS5_IJN6thrust23THRUST_200600_302600_NS6detail15normal_iteratorINSC_10device_ptrIKxEEEESI_EEEEESK_NSA_INS5_IJNSC_16discard_iteratorINSC_11use_defaultEEESN_EEEEEPS7_SQ_SQ_NSC_11hip_rocprim7__merge17predicate_wrapperIxxNSC_4lessIxEEEEEE10hipError_tPvRmT0_T1_T2_T3_T4_T5_mmT6_P12ihipStream_tbEUlT_E_NS1_11comp_targetILNS1_3genE8ELNS1_11target_archE1030ELNS1_3gpuE2ELNS1_3repE0EEENS1_30default_config_static_selectorELNS0_4arch9wavefront6targetE0EEEvS11_,@function
_ZN7rocprim17ROCPRIM_400000_NS6detail17trampoline_kernelINS0_14default_configENS1_21merge_config_selectorINS0_5tupleIJxxEEENS0_10empty_typeEEEZNS1_10merge_implIS3_NS0_12zip_iteratorINS5_IJN6thrust23THRUST_200600_302600_NS6detail15normal_iteratorINSC_10device_ptrIKxEEEESI_EEEEESK_NSA_INS5_IJNSC_16discard_iteratorINSC_11use_defaultEEESN_EEEEEPS7_SQ_SQ_NSC_11hip_rocprim7__merge17predicate_wrapperIxxNSC_4lessIxEEEEEE10hipError_tPvRmT0_T1_T2_T3_T4_T5_mmT6_P12ihipStream_tbEUlT_E_NS1_11comp_targetILNS1_3genE8ELNS1_11target_archE1030ELNS1_3gpuE2ELNS1_3repE0EEENS1_30default_config_static_selectorELNS0_4arch9wavefront6targetE0EEEvS11_: ; @_ZN7rocprim17ROCPRIM_400000_NS6detail17trampoline_kernelINS0_14default_configENS1_21merge_config_selectorINS0_5tupleIJxxEEENS0_10empty_typeEEEZNS1_10merge_implIS3_NS0_12zip_iteratorINS5_IJN6thrust23THRUST_200600_302600_NS6detail15normal_iteratorINSC_10device_ptrIKxEEEESI_EEEEESK_NSA_INS5_IJNSC_16discard_iteratorINSC_11use_defaultEEESN_EEEEEPS7_SQ_SQ_NSC_11hip_rocprim7__merge17predicate_wrapperIxxNSC_4lessIxEEEEEE10hipError_tPvRmT0_T1_T2_T3_T4_T5_mmT6_P12ihipStream_tbEUlT_E_NS1_11comp_targetILNS1_3genE8ELNS1_11target_archE1030ELNS1_3gpuE2ELNS1_3repE0EEENS1_30default_config_static_selectorELNS0_4arch9wavefront6targetE0EEEvS11_
; %bb.0:
	s_clause 0x2
	s_load_dword s2, s[4:5], 0x38
	s_load_dword s0, s[4:5], 0x4c
	s_load_dwordx4 s[12:15], s[4:5], 0x28
	s_waitcnt lgkmcnt(0)
	v_cvt_f32_u32_e32 v1, s2
	s_and_b32 s3, s0, 0xffff
	s_add_u32 s0, s14, s12
	s_addc_u32 s1, s15, s13
	s_sub_i32 s8, 0, s2
	v_rcp_iflag_f32_e32 v1, v1
	s_add_i32 s9, s2, s0
	s_add_i32 s9, s9, -1
	v_mul_f32_e32 v1, 0x4f7ffffe, v1
	v_cvt_u32_f32_e32 v1, v1
	v_readfirstlane_b32 s7, v1
	v_mad_u64_u32 v[0:1], null, s6, s3, v[0:1]
	s_mul_i32 s8, s8, s7
	s_mul_hi_u32 s8, s7, s8
	s_add_i32 s7, s7, s8
	s_mul_hi_u32 s7, s9, s7
	s_mul_i32 s8, s7, s2
	s_sub_i32 s8, s9, s8
	s_add_i32 s9, s7, 1
	s_sub_i32 s10, s8, s2
	s_cmp_ge_u32 s8, s2
	s_cselect_b32 s3, s9, s7
	s_cselect_b32 s6, s10, s8
	s_add_i32 s7, s3, 1
	s_cmp_ge_u32 s6, s2
	s_cselect_b32 s3, s7, s3
	v_cmp_ge_u32_e32 vcc_lo, s3, v0
	s_and_saveexec_b32 s3, vcc_lo
	s_cbranch_execz .LBB577_6
; %bb.1:
	v_mul_lo_u32 v1, v0, s2
	v_mov_b32_e32 v2, 0
	s_load_dwordx4 s[8:11], s[4:5], 0x0
	v_cmp_gt_u64_e32 vcc_lo, s[0:1], v[1:2]
	v_cndmask_b32_e32 v6, s0, v1, vcc_lo
	v_cndmask_b32_e64 v7, s1, 0, vcc_lo
	s_mov_b32 s1, exec_lo
	v_sub_co_u32 v1, vcc_lo, v6, s14
	v_subrev_co_ci_u32_e64 v2, null, s15, v7, vcc_lo
	v_cmp_gt_u64_e64 s0, s[12:13], v[6:7]
	v_cmp_gt_u64_e32 vcc_lo, v[1:2], v[6:7]
	v_cndmask_b32_e64 v5, s13, v7, s0
	v_cndmask_b32_e64 v4, s12, v6, s0
	v_cndmask_b32_e64 v3, v2, 0, vcc_lo
	v_cndmask_b32_e64 v2, v1, 0, vcc_lo
	v_cmpx_lt_u64_e64 v[2:3], v[4:5]
	s_cbranch_execz .LBB577_5
; %bb.2:
	s_load_dwordx2 s[2:3], s[4:5], 0x18
	v_lshlrev_b64 v[6:7], 3, v[6:7]
	s_waitcnt lgkmcnt(0)
	v_add_co_u32 v1, vcc_lo, s2, v6
	v_add_co_ci_u32_e64 v6, null, s3, v7, vcc_lo
	s_mov_b32 s2, 0
	s_inst_prefetch 0x1
	.p2align	6
.LBB577_3:                              ; =>This Inner Loop Header: Depth=1
	v_add_co_u32 v7, vcc_lo, v4, v2
	v_add_co_ci_u32_e64 v8, null, v5, v3, vcc_lo
	v_lshrrev_b64 v[7:8], 1, v[7:8]
	v_lshlrev_b64 v[9:10], 3, v[7:8]
	v_xor_b32_e32 v11, -8, v9
	v_xor_b32_e32 v12, -1, v10
	v_add_co_u32 v9, vcc_lo, s10, v9
	v_add_co_ci_u32_e64 v10, null, s11, v10, vcc_lo
	v_add_co_u32 v11, vcc_lo, v1, v11
	v_add_co_ci_u32_e64 v12, null, v6, v12, vcc_lo
	v_add_co_u32 v13, vcc_lo, v7, 1
	global_load_dwordx2 v[9:10], v[9:10], off
	global_load_dwordx2 v[11:12], v[11:12], off
	s_waitcnt vmcnt(0)
	v_cmp_lt_i64_e64 s0, v[11:12], v[9:10]
	v_add_co_ci_u32_e64 v9, null, 0, v8, vcc_lo
	v_cndmask_b32_e64 v5, v5, v8, s0
	v_cndmask_b32_e64 v4, v4, v7, s0
	v_cndmask_b32_e64 v3, v9, v3, s0
	v_cndmask_b32_e64 v2, v13, v2, s0
	v_cmp_ge_u64_e32 vcc_lo, v[2:3], v[4:5]
	s_or_b32 s2, vcc_lo, s2
	s_andn2_b32 exec_lo, exec_lo, s2
	s_cbranch_execnz .LBB577_3
; %bb.4:
	s_inst_prefetch 0x2
	s_or_b32 exec_lo, exec_lo, s2
.LBB577_5:
	s_or_b32 exec_lo, exec_lo, s1
	v_mov_b32_e32 v1, 0
	v_lshlrev_b64 v[0:1], 2, v[0:1]
	s_waitcnt lgkmcnt(0)
	v_add_co_u32 v0, vcc_lo, s8, v0
	v_add_co_ci_u32_e64 v1, null, s9, v1, vcc_lo
	global_store_dword v[0:1], v2, off
.LBB577_6:
	s_endpgm
	.section	.rodata,"a",@progbits
	.p2align	6, 0x0
	.amdhsa_kernel _ZN7rocprim17ROCPRIM_400000_NS6detail17trampoline_kernelINS0_14default_configENS1_21merge_config_selectorINS0_5tupleIJxxEEENS0_10empty_typeEEEZNS1_10merge_implIS3_NS0_12zip_iteratorINS5_IJN6thrust23THRUST_200600_302600_NS6detail15normal_iteratorINSC_10device_ptrIKxEEEESI_EEEEESK_NSA_INS5_IJNSC_16discard_iteratorINSC_11use_defaultEEESN_EEEEEPS7_SQ_SQ_NSC_11hip_rocprim7__merge17predicate_wrapperIxxNSC_4lessIxEEEEEE10hipError_tPvRmT0_T1_T2_T3_T4_T5_mmT6_P12ihipStream_tbEUlT_E_NS1_11comp_targetILNS1_3genE8ELNS1_11target_archE1030ELNS1_3gpuE2ELNS1_3repE0EEENS1_30default_config_static_selectorELNS0_4arch9wavefront6targetE0EEEvS11_
		.amdhsa_group_segment_fixed_size 0
		.amdhsa_private_segment_fixed_size 0
		.amdhsa_kernarg_size 320
		.amdhsa_user_sgpr_count 6
		.amdhsa_user_sgpr_private_segment_buffer 1
		.amdhsa_user_sgpr_dispatch_ptr 0
		.amdhsa_user_sgpr_queue_ptr 0
		.amdhsa_user_sgpr_kernarg_segment_ptr 1
		.amdhsa_user_sgpr_dispatch_id 0
		.amdhsa_user_sgpr_flat_scratch_init 0
		.amdhsa_user_sgpr_private_segment_size 0
		.amdhsa_wavefront_size32 1
		.amdhsa_uses_dynamic_stack 0
		.amdhsa_system_sgpr_private_segment_wavefront_offset 0
		.amdhsa_system_sgpr_workgroup_id_x 1
		.amdhsa_system_sgpr_workgroup_id_y 0
		.amdhsa_system_sgpr_workgroup_id_z 0
		.amdhsa_system_sgpr_workgroup_info 0
		.amdhsa_system_vgpr_workitem_id 0
		.amdhsa_next_free_vgpr 14
		.amdhsa_next_free_sgpr 16
		.amdhsa_reserve_vcc 1
		.amdhsa_reserve_flat_scratch 0
		.amdhsa_float_round_mode_32 0
		.amdhsa_float_round_mode_16_64 0
		.amdhsa_float_denorm_mode_32 3
		.amdhsa_float_denorm_mode_16_64 3
		.amdhsa_dx10_clamp 1
		.amdhsa_ieee_mode 1
		.amdhsa_fp16_overflow 0
		.amdhsa_workgroup_processor_mode 1
		.amdhsa_memory_ordered 1
		.amdhsa_forward_progress 1
		.amdhsa_shared_vgpr_count 0
		.amdhsa_exception_fp_ieee_invalid_op 0
		.amdhsa_exception_fp_denorm_src 0
		.amdhsa_exception_fp_ieee_div_zero 0
		.amdhsa_exception_fp_ieee_overflow 0
		.amdhsa_exception_fp_ieee_underflow 0
		.amdhsa_exception_fp_ieee_inexact 0
		.amdhsa_exception_int_div_zero 0
	.end_amdhsa_kernel
	.section	.text._ZN7rocprim17ROCPRIM_400000_NS6detail17trampoline_kernelINS0_14default_configENS1_21merge_config_selectorINS0_5tupleIJxxEEENS0_10empty_typeEEEZNS1_10merge_implIS3_NS0_12zip_iteratorINS5_IJN6thrust23THRUST_200600_302600_NS6detail15normal_iteratorINSC_10device_ptrIKxEEEESI_EEEEESK_NSA_INS5_IJNSC_16discard_iteratorINSC_11use_defaultEEESN_EEEEEPS7_SQ_SQ_NSC_11hip_rocprim7__merge17predicate_wrapperIxxNSC_4lessIxEEEEEE10hipError_tPvRmT0_T1_T2_T3_T4_T5_mmT6_P12ihipStream_tbEUlT_E_NS1_11comp_targetILNS1_3genE8ELNS1_11target_archE1030ELNS1_3gpuE2ELNS1_3repE0EEENS1_30default_config_static_selectorELNS0_4arch9wavefront6targetE0EEEvS11_,"axG",@progbits,_ZN7rocprim17ROCPRIM_400000_NS6detail17trampoline_kernelINS0_14default_configENS1_21merge_config_selectorINS0_5tupleIJxxEEENS0_10empty_typeEEEZNS1_10merge_implIS3_NS0_12zip_iteratorINS5_IJN6thrust23THRUST_200600_302600_NS6detail15normal_iteratorINSC_10device_ptrIKxEEEESI_EEEEESK_NSA_INS5_IJNSC_16discard_iteratorINSC_11use_defaultEEESN_EEEEEPS7_SQ_SQ_NSC_11hip_rocprim7__merge17predicate_wrapperIxxNSC_4lessIxEEEEEE10hipError_tPvRmT0_T1_T2_T3_T4_T5_mmT6_P12ihipStream_tbEUlT_E_NS1_11comp_targetILNS1_3genE8ELNS1_11target_archE1030ELNS1_3gpuE2ELNS1_3repE0EEENS1_30default_config_static_selectorELNS0_4arch9wavefront6targetE0EEEvS11_,comdat
.Lfunc_end577:
	.size	_ZN7rocprim17ROCPRIM_400000_NS6detail17trampoline_kernelINS0_14default_configENS1_21merge_config_selectorINS0_5tupleIJxxEEENS0_10empty_typeEEEZNS1_10merge_implIS3_NS0_12zip_iteratorINS5_IJN6thrust23THRUST_200600_302600_NS6detail15normal_iteratorINSC_10device_ptrIKxEEEESI_EEEEESK_NSA_INS5_IJNSC_16discard_iteratorINSC_11use_defaultEEESN_EEEEEPS7_SQ_SQ_NSC_11hip_rocprim7__merge17predicate_wrapperIxxNSC_4lessIxEEEEEE10hipError_tPvRmT0_T1_T2_T3_T4_T5_mmT6_P12ihipStream_tbEUlT_E_NS1_11comp_targetILNS1_3genE8ELNS1_11target_archE1030ELNS1_3gpuE2ELNS1_3repE0EEENS1_30default_config_static_selectorELNS0_4arch9wavefront6targetE0EEEvS11_, .Lfunc_end577-_ZN7rocprim17ROCPRIM_400000_NS6detail17trampoline_kernelINS0_14default_configENS1_21merge_config_selectorINS0_5tupleIJxxEEENS0_10empty_typeEEEZNS1_10merge_implIS3_NS0_12zip_iteratorINS5_IJN6thrust23THRUST_200600_302600_NS6detail15normal_iteratorINSC_10device_ptrIKxEEEESI_EEEEESK_NSA_INS5_IJNSC_16discard_iteratorINSC_11use_defaultEEESN_EEEEEPS7_SQ_SQ_NSC_11hip_rocprim7__merge17predicate_wrapperIxxNSC_4lessIxEEEEEE10hipError_tPvRmT0_T1_T2_T3_T4_T5_mmT6_P12ihipStream_tbEUlT_E_NS1_11comp_targetILNS1_3genE8ELNS1_11target_archE1030ELNS1_3gpuE2ELNS1_3repE0EEENS1_30default_config_static_selectorELNS0_4arch9wavefront6targetE0EEEvS11_
                                        ; -- End function
	.set _ZN7rocprim17ROCPRIM_400000_NS6detail17trampoline_kernelINS0_14default_configENS1_21merge_config_selectorINS0_5tupleIJxxEEENS0_10empty_typeEEEZNS1_10merge_implIS3_NS0_12zip_iteratorINS5_IJN6thrust23THRUST_200600_302600_NS6detail15normal_iteratorINSC_10device_ptrIKxEEEESI_EEEEESK_NSA_INS5_IJNSC_16discard_iteratorINSC_11use_defaultEEESN_EEEEEPS7_SQ_SQ_NSC_11hip_rocprim7__merge17predicate_wrapperIxxNSC_4lessIxEEEEEE10hipError_tPvRmT0_T1_T2_T3_T4_T5_mmT6_P12ihipStream_tbEUlT_E_NS1_11comp_targetILNS1_3genE8ELNS1_11target_archE1030ELNS1_3gpuE2ELNS1_3repE0EEENS1_30default_config_static_selectorELNS0_4arch9wavefront6targetE0EEEvS11_.num_vgpr, 14
	.set _ZN7rocprim17ROCPRIM_400000_NS6detail17trampoline_kernelINS0_14default_configENS1_21merge_config_selectorINS0_5tupleIJxxEEENS0_10empty_typeEEEZNS1_10merge_implIS3_NS0_12zip_iteratorINS5_IJN6thrust23THRUST_200600_302600_NS6detail15normal_iteratorINSC_10device_ptrIKxEEEESI_EEEEESK_NSA_INS5_IJNSC_16discard_iteratorINSC_11use_defaultEEESN_EEEEEPS7_SQ_SQ_NSC_11hip_rocprim7__merge17predicate_wrapperIxxNSC_4lessIxEEEEEE10hipError_tPvRmT0_T1_T2_T3_T4_T5_mmT6_P12ihipStream_tbEUlT_E_NS1_11comp_targetILNS1_3genE8ELNS1_11target_archE1030ELNS1_3gpuE2ELNS1_3repE0EEENS1_30default_config_static_selectorELNS0_4arch9wavefront6targetE0EEEvS11_.num_agpr, 0
	.set _ZN7rocprim17ROCPRIM_400000_NS6detail17trampoline_kernelINS0_14default_configENS1_21merge_config_selectorINS0_5tupleIJxxEEENS0_10empty_typeEEEZNS1_10merge_implIS3_NS0_12zip_iteratorINS5_IJN6thrust23THRUST_200600_302600_NS6detail15normal_iteratorINSC_10device_ptrIKxEEEESI_EEEEESK_NSA_INS5_IJNSC_16discard_iteratorINSC_11use_defaultEEESN_EEEEEPS7_SQ_SQ_NSC_11hip_rocprim7__merge17predicate_wrapperIxxNSC_4lessIxEEEEEE10hipError_tPvRmT0_T1_T2_T3_T4_T5_mmT6_P12ihipStream_tbEUlT_E_NS1_11comp_targetILNS1_3genE8ELNS1_11target_archE1030ELNS1_3gpuE2ELNS1_3repE0EEENS1_30default_config_static_selectorELNS0_4arch9wavefront6targetE0EEEvS11_.numbered_sgpr, 16
	.set _ZN7rocprim17ROCPRIM_400000_NS6detail17trampoline_kernelINS0_14default_configENS1_21merge_config_selectorINS0_5tupleIJxxEEENS0_10empty_typeEEEZNS1_10merge_implIS3_NS0_12zip_iteratorINS5_IJN6thrust23THRUST_200600_302600_NS6detail15normal_iteratorINSC_10device_ptrIKxEEEESI_EEEEESK_NSA_INS5_IJNSC_16discard_iteratorINSC_11use_defaultEEESN_EEEEEPS7_SQ_SQ_NSC_11hip_rocprim7__merge17predicate_wrapperIxxNSC_4lessIxEEEEEE10hipError_tPvRmT0_T1_T2_T3_T4_T5_mmT6_P12ihipStream_tbEUlT_E_NS1_11comp_targetILNS1_3genE8ELNS1_11target_archE1030ELNS1_3gpuE2ELNS1_3repE0EEENS1_30default_config_static_selectorELNS0_4arch9wavefront6targetE0EEEvS11_.num_named_barrier, 0
	.set _ZN7rocprim17ROCPRIM_400000_NS6detail17trampoline_kernelINS0_14default_configENS1_21merge_config_selectorINS0_5tupleIJxxEEENS0_10empty_typeEEEZNS1_10merge_implIS3_NS0_12zip_iteratorINS5_IJN6thrust23THRUST_200600_302600_NS6detail15normal_iteratorINSC_10device_ptrIKxEEEESI_EEEEESK_NSA_INS5_IJNSC_16discard_iteratorINSC_11use_defaultEEESN_EEEEEPS7_SQ_SQ_NSC_11hip_rocprim7__merge17predicate_wrapperIxxNSC_4lessIxEEEEEE10hipError_tPvRmT0_T1_T2_T3_T4_T5_mmT6_P12ihipStream_tbEUlT_E_NS1_11comp_targetILNS1_3genE8ELNS1_11target_archE1030ELNS1_3gpuE2ELNS1_3repE0EEENS1_30default_config_static_selectorELNS0_4arch9wavefront6targetE0EEEvS11_.private_seg_size, 0
	.set _ZN7rocprim17ROCPRIM_400000_NS6detail17trampoline_kernelINS0_14default_configENS1_21merge_config_selectorINS0_5tupleIJxxEEENS0_10empty_typeEEEZNS1_10merge_implIS3_NS0_12zip_iteratorINS5_IJN6thrust23THRUST_200600_302600_NS6detail15normal_iteratorINSC_10device_ptrIKxEEEESI_EEEEESK_NSA_INS5_IJNSC_16discard_iteratorINSC_11use_defaultEEESN_EEEEEPS7_SQ_SQ_NSC_11hip_rocprim7__merge17predicate_wrapperIxxNSC_4lessIxEEEEEE10hipError_tPvRmT0_T1_T2_T3_T4_T5_mmT6_P12ihipStream_tbEUlT_E_NS1_11comp_targetILNS1_3genE8ELNS1_11target_archE1030ELNS1_3gpuE2ELNS1_3repE0EEENS1_30default_config_static_selectorELNS0_4arch9wavefront6targetE0EEEvS11_.uses_vcc, 1
	.set _ZN7rocprim17ROCPRIM_400000_NS6detail17trampoline_kernelINS0_14default_configENS1_21merge_config_selectorINS0_5tupleIJxxEEENS0_10empty_typeEEEZNS1_10merge_implIS3_NS0_12zip_iteratorINS5_IJN6thrust23THRUST_200600_302600_NS6detail15normal_iteratorINSC_10device_ptrIKxEEEESI_EEEEESK_NSA_INS5_IJNSC_16discard_iteratorINSC_11use_defaultEEESN_EEEEEPS7_SQ_SQ_NSC_11hip_rocprim7__merge17predicate_wrapperIxxNSC_4lessIxEEEEEE10hipError_tPvRmT0_T1_T2_T3_T4_T5_mmT6_P12ihipStream_tbEUlT_E_NS1_11comp_targetILNS1_3genE8ELNS1_11target_archE1030ELNS1_3gpuE2ELNS1_3repE0EEENS1_30default_config_static_selectorELNS0_4arch9wavefront6targetE0EEEvS11_.uses_flat_scratch, 0
	.set _ZN7rocprim17ROCPRIM_400000_NS6detail17trampoline_kernelINS0_14default_configENS1_21merge_config_selectorINS0_5tupleIJxxEEENS0_10empty_typeEEEZNS1_10merge_implIS3_NS0_12zip_iteratorINS5_IJN6thrust23THRUST_200600_302600_NS6detail15normal_iteratorINSC_10device_ptrIKxEEEESI_EEEEESK_NSA_INS5_IJNSC_16discard_iteratorINSC_11use_defaultEEESN_EEEEEPS7_SQ_SQ_NSC_11hip_rocprim7__merge17predicate_wrapperIxxNSC_4lessIxEEEEEE10hipError_tPvRmT0_T1_T2_T3_T4_T5_mmT6_P12ihipStream_tbEUlT_E_NS1_11comp_targetILNS1_3genE8ELNS1_11target_archE1030ELNS1_3gpuE2ELNS1_3repE0EEENS1_30default_config_static_selectorELNS0_4arch9wavefront6targetE0EEEvS11_.has_dyn_sized_stack, 0
	.set _ZN7rocprim17ROCPRIM_400000_NS6detail17trampoline_kernelINS0_14default_configENS1_21merge_config_selectorINS0_5tupleIJxxEEENS0_10empty_typeEEEZNS1_10merge_implIS3_NS0_12zip_iteratorINS5_IJN6thrust23THRUST_200600_302600_NS6detail15normal_iteratorINSC_10device_ptrIKxEEEESI_EEEEESK_NSA_INS5_IJNSC_16discard_iteratorINSC_11use_defaultEEESN_EEEEEPS7_SQ_SQ_NSC_11hip_rocprim7__merge17predicate_wrapperIxxNSC_4lessIxEEEEEE10hipError_tPvRmT0_T1_T2_T3_T4_T5_mmT6_P12ihipStream_tbEUlT_E_NS1_11comp_targetILNS1_3genE8ELNS1_11target_archE1030ELNS1_3gpuE2ELNS1_3repE0EEENS1_30default_config_static_selectorELNS0_4arch9wavefront6targetE0EEEvS11_.has_recursion, 0
	.set _ZN7rocprim17ROCPRIM_400000_NS6detail17trampoline_kernelINS0_14default_configENS1_21merge_config_selectorINS0_5tupleIJxxEEENS0_10empty_typeEEEZNS1_10merge_implIS3_NS0_12zip_iteratorINS5_IJN6thrust23THRUST_200600_302600_NS6detail15normal_iteratorINSC_10device_ptrIKxEEEESI_EEEEESK_NSA_INS5_IJNSC_16discard_iteratorINSC_11use_defaultEEESN_EEEEEPS7_SQ_SQ_NSC_11hip_rocprim7__merge17predicate_wrapperIxxNSC_4lessIxEEEEEE10hipError_tPvRmT0_T1_T2_T3_T4_T5_mmT6_P12ihipStream_tbEUlT_E_NS1_11comp_targetILNS1_3genE8ELNS1_11target_archE1030ELNS1_3gpuE2ELNS1_3repE0EEENS1_30default_config_static_selectorELNS0_4arch9wavefront6targetE0EEEvS11_.has_indirect_call, 0
	.section	.AMDGPU.csdata,"",@progbits
; Kernel info:
; codeLenInByte = 540
; TotalNumSgprs: 18
; NumVgprs: 14
; ScratchSize: 0
; MemoryBound: 0
; FloatMode: 240
; IeeeMode: 1
; LDSByteSize: 0 bytes/workgroup (compile time only)
; SGPRBlocks: 0
; VGPRBlocks: 1
; NumSGPRsForWavesPerEU: 18
; NumVGPRsForWavesPerEU: 14
; Occupancy: 16
; WaveLimiterHint : 0
; COMPUTE_PGM_RSRC2:SCRATCH_EN: 0
; COMPUTE_PGM_RSRC2:USER_SGPR: 6
; COMPUTE_PGM_RSRC2:TRAP_HANDLER: 0
; COMPUTE_PGM_RSRC2:TGID_X_EN: 1
; COMPUTE_PGM_RSRC2:TGID_Y_EN: 0
; COMPUTE_PGM_RSRC2:TGID_Z_EN: 0
; COMPUTE_PGM_RSRC2:TIDIG_COMP_CNT: 0
	.section	.text._ZN7rocprim17ROCPRIM_400000_NS6detail17trampoline_kernelINS0_14default_configENS1_21merge_config_selectorINS0_5tupleIJxxEEENS0_10empty_typeEEEZNS1_10merge_implIS3_NS0_12zip_iteratorINS5_IJN6thrust23THRUST_200600_302600_NS6detail15normal_iteratorINSC_10device_ptrIKxEEEESI_EEEEESK_NSA_INS5_IJNSC_16discard_iteratorINSC_11use_defaultEEESN_EEEEEPS7_SQ_SQ_NSC_11hip_rocprim7__merge17predicate_wrapperIxxNSC_4lessIxEEEEEE10hipError_tPvRmT0_T1_T2_T3_T4_T5_mmT6_P12ihipStream_tbEUlT_E0_NS1_11comp_targetILNS1_3genE0ELNS1_11target_archE4294967295ELNS1_3gpuE0ELNS1_3repE0EEENS1_30default_config_static_selectorELNS0_4arch9wavefront6targetE0EEEvS11_,"axG",@progbits,_ZN7rocprim17ROCPRIM_400000_NS6detail17trampoline_kernelINS0_14default_configENS1_21merge_config_selectorINS0_5tupleIJxxEEENS0_10empty_typeEEEZNS1_10merge_implIS3_NS0_12zip_iteratorINS5_IJN6thrust23THRUST_200600_302600_NS6detail15normal_iteratorINSC_10device_ptrIKxEEEESI_EEEEESK_NSA_INS5_IJNSC_16discard_iteratorINSC_11use_defaultEEESN_EEEEEPS7_SQ_SQ_NSC_11hip_rocprim7__merge17predicate_wrapperIxxNSC_4lessIxEEEEEE10hipError_tPvRmT0_T1_T2_T3_T4_T5_mmT6_P12ihipStream_tbEUlT_E0_NS1_11comp_targetILNS1_3genE0ELNS1_11target_archE4294967295ELNS1_3gpuE0ELNS1_3repE0EEENS1_30default_config_static_selectorELNS0_4arch9wavefront6targetE0EEEvS11_,comdat
	.protected	_ZN7rocprim17ROCPRIM_400000_NS6detail17trampoline_kernelINS0_14default_configENS1_21merge_config_selectorINS0_5tupleIJxxEEENS0_10empty_typeEEEZNS1_10merge_implIS3_NS0_12zip_iteratorINS5_IJN6thrust23THRUST_200600_302600_NS6detail15normal_iteratorINSC_10device_ptrIKxEEEESI_EEEEESK_NSA_INS5_IJNSC_16discard_iteratorINSC_11use_defaultEEESN_EEEEEPS7_SQ_SQ_NSC_11hip_rocprim7__merge17predicate_wrapperIxxNSC_4lessIxEEEEEE10hipError_tPvRmT0_T1_T2_T3_T4_T5_mmT6_P12ihipStream_tbEUlT_E0_NS1_11comp_targetILNS1_3genE0ELNS1_11target_archE4294967295ELNS1_3gpuE0ELNS1_3repE0EEENS1_30default_config_static_selectorELNS0_4arch9wavefront6targetE0EEEvS11_ ; -- Begin function _ZN7rocprim17ROCPRIM_400000_NS6detail17trampoline_kernelINS0_14default_configENS1_21merge_config_selectorINS0_5tupleIJxxEEENS0_10empty_typeEEEZNS1_10merge_implIS3_NS0_12zip_iteratorINS5_IJN6thrust23THRUST_200600_302600_NS6detail15normal_iteratorINSC_10device_ptrIKxEEEESI_EEEEESK_NSA_INS5_IJNSC_16discard_iteratorINSC_11use_defaultEEESN_EEEEEPS7_SQ_SQ_NSC_11hip_rocprim7__merge17predicate_wrapperIxxNSC_4lessIxEEEEEE10hipError_tPvRmT0_T1_T2_T3_T4_T5_mmT6_P12ihipStream_tbEUlT_E0_NS1_11comp_targetILNS1_3genE0ELNS1_11target_archE4294967295ELNS1_3gpuE0ELNS1_3repE0EEENS1_30default_config_static_selectorELNS0_4arch9wavefront6targetE0EEEvS11_
	.globl	_ZN7rocprim17ROCPRIM_400000_NS6detail17trampoline_kernelINS0_14default_configENS1_21merge_config_selectorINS0_5tupleIJxxEEENS0_10empty_typeEEEZNS1_10merge_implIS3_NS0_12zip_iteratorINS5_IJN6thrust23THRUST_200600_302600_NS6detail15normal_iteratorINSC_10device_ptrIKxEEEESI_EEEEESK_NSA_INS5_IJNSC_16discard_iteratorINSC_11use_defaultEEESN_EEEEEPS7_SQ_SQ_NSC_11hip_rocprim7__merge17predicate_wrapperIxxNSC_4lessIxEEEEEE10hipError_tPvRmT0_T1_T2_T3_T4_T5_mmT6_P12ihipStream_tbEUlT_E0_NS1_11comp_targetILNS1_3genE0ELNS1_11target_archE4294967295ELNS1_3gpuE0ELNS1_3repE0EEENS1_30default_config_static_selectorELNS0_4arch9wavefront6targetE0EEEvS11_
	.p2align	8
	.type	_ZN7rocprim17ROCPRIM_400000_NS6detail17trampoline_kernelINS0_14default_configENS1_21merge_config_selectorINS0_5tupleIJxxEEENS0_10empty_typeEEEZNS1_10merge_implIS3_NS0_12zip_iteratorINS5_IJN6thrust23THRUST_200600_302600_NS6detail15normal_iteratorINSC_10device_ptrIKxEEEESI_EEEEESK_NSA_INS5_IJNSC_16discard_iteratorINSC_11use_defaultEEESN_EEEEEPS7_SQ_SQ_NSC_11hip_rocprim7__merge17predicate_wrapperIxxNSC_4lessIxEEEEEE10hipError_tPvRmT0_T1_T2_T3_T4_T5_mmT6_P12ihipStream_tbEUlT_E0_NS1_11comp_targetILNS1_3genE0ELNS1_11target_archE4294967295ELNS1_3gpuE0ELNS1_3repE0EEENS1_30default_config_static_selectorELNS0_4arch9wavefront6targetE0EEEvS11_,@function
_ZN7rocprim17ROCPRIM_400000_NS6detail17trampoline_kernelINS0_14default_configENS1_21merge_config_selectorINS0_5tupleIJxxEEENS0_10empty_typeEEEZNS1_10merge_implIS3_NS0_12zip_iteratorINS5_IJN6thrust23THRUST_200600_302600_NS6detail15normal_iteratorINSC_10device_ptrIKxEEEESI_EEEEESK_NSA_INS5_IJNSC_16discard_iteratorINSC_11use_defaultEEESN_EEEEEPS7_SQ_SQ_NSC_11hip_rocprim7__merge17predicate_wrapperIxxNSC_4lessIxEEEEEE10hipError_tPvRmT0_T1_T2_T3_T4_T5_mmT6_P12ihipStream_tbEUlT_E0_NS1_11comp_targetILNS1_3genE0ELNS1_11target_archE4294967295ELNS1_3gpuE0ELNS1_3repE0EEENS1_30default_config_static_selectorELNS0_4arch9wavefront6targetE0EEEvS11_: ; @_ZN7rocprim17ROCPRIM_400000_NS6detail17trampoline_kernelINS0_14default_configENS1_21merge_config_selectorINS0_5tupleIJxxEEENS0_10empty_typeEEEZNS1_10merge_implIS3_NS0_12zip_iteratorINS5_IJN6thrust23THRUST_200600_302600_NS6detail15normal_iteratorINSC_10device_ptrIKxEEEESI_EEEEESK_NSA_INS5_IJNSC_16discard_iteratorINSC_11use_defaultEEESN_EEEEEPS7_SQ_SQ_NSC_11hip_rocprim7__merge17predicate_wrapperIxxNSC_4lessIxEEEEEE10hipError_tPvRmT0_T1_T2_T3_T4_T5_mmT6_P12ihipStream_tbEUlT_E0_NS1_11comp_targetILNS1_3genE0ELNS1_11target_archE4294967295ELNS1_3gpuE0ELNS1_3repE0EEENS1_30default_config_static_selectorELNS0_4arch9wavefront6targetE0EEEvS11_
; %bb.0:
	.section	.rodata,"a",@progbits
	.p2align	6, 0x0
	.amdhsa_kernel _ZN7rocprim17ROCPRIM_400000_NS6detail17trampoline_kernelINS0_14default_configENS1_21merge_config_selectorINS0_5tupleIJxxEEENS0_10empty_typeEEEZNS1_10merge_implIS3_NS0_12zip_iteratorINS5_IJN6thrust23THRUST_200600_302600_NS6detail15normal_iteratorINSC_10device_ptrIKxEEEESI_EEEEESK_NSA_INS5_IJNSC_16discard_iteratorINSC_11use_defaultEEESN_EEEEEPS7_SQ_SQ_NSC_11hip_rocprim7__merge17predicate_wrapperIxxNSC_4lessIxEEEEEE10hipError_tPvRmT0_T1_T2_T3_T4_T5_mmT6_P12ihipStream_tbEUlT_E0_NS1_11comp_targetILNS1_3genE0ELNS1_11target_archE4294967295ELNS1_3gpuE0ELNS1_3repE0EEENS1_30default_config_static_selectorELNS0_4arch9wavefront6targetE0EEEvS11_
		.amdhsa_group_segment_fixed_size 0
		.amdhsa_private_segment_fixed_size 0
		.amdhsa_kernarg_size 128
		.amdhsa_user_sgpr_count 6
		.amdhsa_user_sgpr_private_segment_buffer 1
		.amdhsa_user_sgpr_dispatch_ptr 0
		.amdhsa_user_sgpr_queue_ptr 0
		.amdhsa_user_sgpr_kernarg_segment_ptr 1
		.amdhsa_user_sgpr_dispatch_id 0
		.amdhsa_user_sgpr_flat_scratch_init 0
		.amdhsa_user_sgpr_private_segment_size 0
		.amdhsa_wavefront_size32 1
		.amdhsa_uses_dynamic_stack 0
		.amdhsa_system_sgpr_private_segment_wavefront_offset 0
		.amdhsa_system_sgpr_workgroup_id_x 1
		.amdhsa_system_sgpr_workgroup_id_y 0
		.amdhsa_system_sgpr_workgroup_id_z 0
		.amdhsa_system_sgpr_workgroup_info 0
		.amdhsa_system_vgpr_workitem_id 0
		.amdhsa_next_free_vgpr 1
		.amdhsa_next_free_sgpr 1
		.amdhsa_reserve_vcc 0
		.amdhsa_reserve_flat_scratch 0
		.amdhsa_float_round_mode_32 0
		.amdhsa_float_round_mode_16_64 0
		.amdhsa_float_denorm_mode_32 3
		.amdhsa_float_denorm_mode_16_64 3
		.amdhsa_dx10_clamp 1
		.amdhsa_ieee_mode 1
		.amdhsa_fp16_overflow 0
		.amdhsa_workgroup_processor_mode 1
		.amdhsa_memory_ordered 1
		.amdhsa_forward_progress 1
		.amdhsa_shared_vgpr_count 0
		.amdhsa_exception_fp_ieee_invalid_op 0
		.amdhsa_exception_fp_denorm_src 0
		.amdhsa_exception_fp_ieee_div_zero 0
		.amdhsa_exception_fp_ieee_overflow 0
		.amdhsa_exception_fp_ieee_underflow 0
		.amdhsa_exception_fp_ieee_inexact 0
		.amdhsa_exception_int_div_zero 0
	.end_amdhsa_kernel
	.section	.text._ZN7rocprim17ROCPRIM_400000_NS6detail17trampoline_kernelINS0_14default_configENS1_21merge_config_selectorINS0_5tupleIJxxEEENS0_10empty_typeEEEZNS1_10merge_implIS3_NS0_12zip_iteratorINS5_IJN6thrust23THRUST_200600_302600_NS6detail15normal_iteratorINSC_10device_ptrIKxEEEESI_EEEEESK_NSA_INS5_IJNSC_16discard_iteratorINSC_11use_defaultEEESN_EEEEEPS7_SQ_SQ_NSC_11hip_rocprim7__merge17predicate_wrapperIxxNSC_4lessIxEEEEEE10hipError_tPvRmT0_T1_T2_T3_T4_T5_mmT6_P12ihipStream_tbEUlT_E0_NS1_11comp_targetILNS1_3genE0ELNS1_11target_archE4294967295ELNS1_3gpuE0ELNS1_3repE0EEENS1_30default_config_static_selectorELNS0_4arch9wavefront6targetE0EEEvS11_,"axG",@progbits,_ZN7rocprim17ROCPRIM_400000_NS6detail17trampoline_kernelINS0_14default_configENS1_21merge_config_selectorINS0_5tupleIJxxEEENS0_10empty_typeEEEZNS1_10merge_implIS3_NS0_12zip_iteratorINS5_IJN6thrust23THRUST_200600_302600_NS6detail15normal_iteratorINSC_10device_ptrIKxEEEESI_EEEEESK_NSA_INS5_IJNSC_16discard_iteratorINSC_11use_defaultEEESN_EEEEEPS7_SQ_SQ_NSC_11hip_rocprim7__merge17predicate_wrapperIxxNSC_4lessIxEEEEEE10hipError_tPvRmT0_T1_T2_T3_T4_T5_mmT6_P12ihipStream_tbEUlT_E0_NS1_11comp_targetILNS1_3genE0ELNS1_11target_archE4294967295ELNS1_3gpuE0ELNS1_3repE0EEENS1_30default_config_static_selectorELNS0_4arch9wavefront6targetE0EEEvS11_,comdat
.Lfunc_end578:
	.size	_ZN7rocprim17ROCPRIM_400000_NS6detail17trampoline_kernelINS0_14default_configENS1_21merge_config_selectorINS0_5tupleIJxxEEENS0_10empty_typeEEEZNS1_10merge_implIS3_NS0_12zip_iteratorINS5_IJN6thrust23THRUST_200600_302600_NS6detail15normal_iteratorINSC_10device_ptrIKxEEEESI_EEEEESK_NSA_INS5_IJNSC_16discard_iteratorINSC_11use_defaultEEESN_EEEEEPS7_SQ_SQ_NSC_11hip_rocprim7__merge17predicate_wrapperIxxNSC_4lessIxEEEEEE10hipError_tPvRmT0_T1_T2_T3_T4_T5_mmT6_P12ihipStream_tbEUlT_E0_NS1_11comp_targetILNS1_3genE0ELNS1_11target_archE4294967295ELNS1_3gpuE0ELNS1_3repE0EEENS1_30default_config_static_selectorELNS0_4arch9wavefront6targetE0EEEvS11_, .Lfunc_end578-_ZN7rocprim17ROCPRIM_400000_NS6detail17trampoline_kernelINS0_14default_configENS1_21merge_config_selectorINS0_5tupleIJxxEEENS0_10empty_typeEEEZNS1_10merge_implIS3_NS0_12zip_iteratorINS5_IJN6thrust23THRUST_200600_302600_NS6detail15normal_iteratorINSC_10device_ptrIKxEEEESI_EEEEESK_NSA_INS5_IJNSC_16discard_iteratorINSC_11use_defaultEEESN_EEEEEPS7_SQ_SQ_NSC_11hip_rocprim7__merge17predicate_wrapperIxxNSC_4lessIxEEEEEE10hipError_tPvRmT0_T1_T2_T3_T4_T5_mmT6_P12ihipStream_tbEUlT_E0_NS1_11comp_targetILNS1_3genE0ELNS1_11target_archE4294967295ELNS1_3gpuE0ELNS1_3repE0EEENS1_30default_config_static_selectorELNS0_4arch9wavefront6targetE0EEEvS11_
                                        ; -- End function
	.set _ZN7rocprim17ROCPRIM_400000_NS6detail17trampoline_kernelINS0_14default_configENS1_21merge_config_selectorINS0_5tupleIJxxEEENS0_10empty_typeEEEZNS1_10merge_implIS3_NS0_12zip_iteratorINS5_IJN6thrust23THRUST_200600_302600_NS6detail15normal_iteratorINSC_10device_ptrIKxEEEESI_EEEEESK_NSA_INS5_IJNSC_16discard_iteratorINSC_11use_defaultEEESN_EEEEEPS7_SQ_SQ_NSC_11hip_rocprim7__merge17predicate_wrapperIxxNSC_4lessIxEEEEEE10hipError_tPvRmT0_T1_T2_T3_T4_T5_mmT6_P12ihipStream_tbEUlT_E0_NS1_11comp_targetILNS1_3genE0ELNS1_11target_archE4294967295ELNS1_3gpuE0ELNS1_3repE0EEENS1_30default_config_static_selectorELNS0_4arch9wavefront6targetE0EEEvS11_.num_vgpr, 0
	.set _ZN7rocprim17ROCPRIM_400000_NS6detail17trampoline_kernelINS0_14default_configENS1_21merge_config_selectorINS0_5tupleIJxxEEENS0_10empty_typeEEEZNS1_10merge_implIS3_NS0_12zip_iteratorINS5_IJN6thrust23THRUST_200600_302600_NS6detail15normal_iteratorINSC_10device_ptrIKxEEEESI_EEEEESK_NSA_INS5_IJNSC_16discard_iteratorINSC_11use_defaultEEESN_EEEEEPS7_SQ_SQ_NSC_11hip_rocprim7__merge17predicate_wrapperIxxNSC_4lessIxEEEEEE10hipError_tPvRmT0_T1_T2_T3_T4_T5_mmT6_P12ihipStream_tbEUlT_E0_NS1_11comp_targetILNS1_3genE0ELNS1_11target_archE4294967295ELNS1_3gpuE0ELNS1_3repE0EEENS1_30default_config_static_selectorELNS0_4arch9wavefront6targetE0EEEvS11_.num_agpr, 0
	.set _ZN7rocprim17ROCPRIM_400000_NS6detail17trampoline_kernelINS0_14default_configENS1_21merge_config_selectorINS0_5tupleIJxxEEENS0_10empty_typeEEEZNS1_10merge_implIS3_NS0_12zip_iteratorINS5_IJN6thrust23THRUST_200600_302600_NS6detail15normal_iteratorINSC_10device_ptrIKxEEEESI_EEEEESK_NSA_INS5_IJNSC_16discard_iteratorINSC_11use_defaultEEESN_EEEEEPS7_SQ_SQ_NSC_11hip_rocprim7__merge17predicate_wrapperIxxNSC_4lessIxEEEEEE10hipError_tPvRmT0_T1_T2_T3_T4_T5_mmT6_P12ihipStream_tbEUlT_E0_NS1_11comp_targetILNS1_3genE0ELNS1_11target_archE4294967295ELNS1_3gpuE0ELNS1_3repE0EEENS1_30default_config_static_selectorELNS0_4arch9wavefront6targetE0EEEvS11_.numbered_sgpr, 0
	.set _ZN7rocprim17ROCPRIM_400000_NS6detail17trampoline_kernelINS0_14default_configENS1_21merge_config_selectorINS0_5tupleIJxxEEENS0_10empty_typeEEEZNS1_10merge_implIS3_NS0_12zip_iteratorINS5_IJN6thrust23THRUST_200600_302600_NS6detail15normal_iteratorINSC_10device_ptrIKxEEEESI_EEEEESK_NSA_INS5_IJNSC_16discard_iteratorINSC_11use_defaultEEESN_EEEEEPS7_SQ_SQ_NSC_11hip_rocprim7__merge17predicate_wrapperIxxNSC_4lessIxEEEEEE10hipError_tPvRmT0_T1_T2_T3_T4_T5_mmT6_P12ihipStream_tbEUlT_E0_NS1_11comp_targetILNS1_3genE0ELNS1_11target_archE4294967295ELNS1_3gpuE0ELNS1_3repE0EEENS1_30default_config_static_selectorELNS0_4arch9wavefront6targetE0EEEvS11_.num_named_barrier, 0
	.set _ZN7rocprim17ROCPRIM_400000_NS6detail17trampoline_kernelINS0_14default_configENS1_21merge_config_selectorINS0_5tupleIJxxEEENS0_10empty_typeEEEZNS1_10merge_implIS3_NS0_12zip_iteratorINS5_IJN6thrust23THRUST_200600_302600_NS6detail15normal_iteratorINSC_10device_ptrIKxEEEESI_EEEEESK_NSA_INS5_IJNSC_16discard_iteratorINSC_11use_defaultEEESN_EEEEEPS7_SQ_SQ_NSC_11hip_rocprim7__merge17predicate_wrapperIxxNSC_4lessIxEEEEEE10hipError_tPvRmT0_T1_T2_T3_T4_T5_mmT6_P12ihipStream_tbEUlT_E0_NS1_11comp_targetILNS1_3genE0ELNS1_11target_archE4294967295ELNS1_3gpuE0ELNS1_3repE0EEENS1_30default_config_static_selectorELNS0_4arch9wavefront6targetE0EEEvS11_.private_seg_size, 0
	.set _ZN7rocprim17ROCPRIM_400000_NS6detail17trampoline_kernelINS0_14default_configENS1_21merge_config_selectorINS0_5tupleIJxxEEENS0_10empty_typeEEEZNS1_10merge_implIS3_NS0_12zip_iteratorINS5_IJN6thrust23THRUST_200600_302600_NS6detail15normal_iteratorINSC_10device_ptrIKxEEEESI_EEEEESK_NSA_INS5_IJNSC_16discard_iteratorINSC_11use_defaultEEESN_EEEEEPS7_SQ_SQ_NSC_11hip_rocprim7__merge17predicate_wrapperIxxNSC_4lessIxEEEEEE10hipError_tPvRmT0_T1_T2_T3_T4_T5_mmT6_P12ihipStream_tbEUlT_E0_NS1_11comp_targetILNS1_3genE0ELNS1_11target_archE4294967295ELNS1_3gpuE0ELNS1_3repE0EEENS1_30default_config_static_selectorELNS0_4arch9wavefront6targetE0EEEvS11_.uses_vcc, 0
	.set _ZN7rocprim17ROCPRIM_400000_NS6detail17trampoline_kernelINS0_14default_configENS1_21merge_config_selectorINS0_5tupleIJxxEEENS0_10empty_typeEEEZNS1_10merge_implIS3_NS0_12zip_iteratorINS5_IJN6thrust23THRUST_200600_302600_NS6detail15normal_iteratorINSC_10device_ptrIKxEEEESI_EEEEESK_NSA_INS5_IJNSC_16discard_iteratorINSC_11use_defaultEEESN_EEEEEPS7_SQ_SQ_NSC_11hip_rocprim7__merge17predicate_wrapperIxxNSC_4lessIxEEEEEE10hipError_tPvRmT0_T1_T2_T3_T4_T5_mmT6_P12ihipStream_tbEUlT_E0_NS1_11comp_targetILNS1_3genE0ELNS1_11target_archE4294967295ELNS1_3gpuE0ELNS1_3repE0EEENS1_30default_config_static_selectorELNS0_4arch9wavefront6targetE0EEEvS11_.uses_flat_scratch, 0
	.set _ZN7rocprim17ROCPRIM_400000_NS6detail17trampoline_kernelINS0_14default_configENS1_21merge_config_selectorINS0_5tupleIJxxEEENS0_10empty_typeEEEZNS1_10merge_implIS3_NS0_12zip_iteratorINS5_IJN6thrust23THRUST_200600_302600_NS6detail15normal_iteratorINSC_10device_ptrIKxEEEESI_EEEEESK_NSA_INS5_IJNSC_16discard_iteratorINSC_11use_defaultEEESN_EEEEEPS7_SQ_SQ_NSC_11hip_rocprim7__merge17predicate_wrapperIxxNSC_4lessIxEEEEEE10hipError_tPvRmT0_T1_T2_T3_T4_T5_mmT6_P12ihipStream_tbEUlT_E0_NS1_11comp_targetILNS1_3genE0ELNS1_11target_archE4294967295ELNS1_3gpuE0ELNS1_3repE0EEENS1_30default_config_static_selectorELNS0_4arch9wavefront6targetE0EEEvS11_.has_dyn_sized_stack, 0
	.set _ZN7rocprim17ROCPRIM_400000_NS6detail17trampoline_kernelINS0_14default_configENS1_21merge_config_selectorINS0_5tupleIJxxEEENS0_10empty_typeEEEZNS1_10merge_implIS3_NS0_12zip_iteratorINS5_IJN6thrust23THRUST_200600_302600_NS6detail15normal_iteratorINSC_10device_ptrIKxEEEESI_EEEEESK_NSA_INS5_IJNSC_16discard_iteratorINSC_11use_defaultEEESN_EEEEEPS7_SQ_SQ_NSC_11hip_rocprim7__merge17predicate_wrapperIxxNSC_4lessIxEEEEEE10hipError_tPvRmT0_T1_T2_T3_T4_T5_mmT6_P12ihipStream_tbEUlT_E0_NS1_11comp_targetILNS1_3genE0ELNS1_11target_archE4294967295ELNS1_3gpuE0ELNS1_3repE0EEENS1_30default_config_static_selectorELNS0_4arch9wavefront6targetE0EEEvS11_.has_recursion, 0
	.set _ZN7rocprim17ROCPRIM_400000_NS6detail17trampoline_kernelINS0_14default_configENS1_21merge_config_selectorINS0_5tupleIJxxEEENS0_10empty_typeEEEZNS1_10merge_implIS3_NS0_12zip_iteratorINS5_IJN6thrust23THRUST_200600_302600_NS6detail15normal_iteratorINSC_10device_ptrIKxEEEESI_EEEEESK_NSA_INS5_IJNSC_16discard_iteratorINSC_11use_defaultEEESN_EEEEEPS7_SQ_SQ_NSC_11hip_rocprim7__merge17predicate_wrapperIxxNSC_4lessIxEEEEEE10hipError_tPvRmT0_T1_T2_T3_T4_T5_mmT6_P12ihipStream_tbEUlT_E0_NS1_11comp_targetILNS1_3genE0ELNS1_11target_archE4294967295ELNS1_3gpuE0ELNS1_3repE0EEENS1_30default_config_static_selectorELNS0_4arch9wavefront6targetE0EEEvS11_.has_indirect_call, 0
	.section	.AMDGPU.csdata,"",@progbits
; Kernel info:
; codeLenInByte = 0
; TotalNumSgprs: 0
; NumVgprs: 0
; ScratchSize: 0
; MemoryBound: 0
; FloatMode: 240
; IeeeMode: 1
; LDSByteSize: 0 bytes/workgroup (compile time only)
; SGPRBlocks: 0
; VGPRBlocks: 0
; NumSGPRsForWavesPerEU: 1
; NumVGPRsForWavesPerEU: 1
; Occupancy: 16
; WaveLimiterHint : 0
; COMPUTE_PGM_RSRC2:SCRATCH_EN: 0
; COMPUTE_PGM_RSRC2:USER_SGPR: 6
; COMPUTE_PGM_RSRC2:TRAP_HANDLER: 0
; COMPUTE_PGM_RSRC2:TGID_X_EN: 1
; COMPUTE_PGM_RSRC2:TGID_Y_EN: 0
; COMPUTE_PGM_RSRC2:TGID_Z_EN: 0
; COMPUTE_PGM_RSRC2:TIDIG_COMP_CNT: 0
	.section	.text._ZN7rocprim17ROCPRIM_400000_NS6detail17trampoline_kernelINS0_14default_configENS1_21merge_config_selectorINS0_5tupleIJxxEEENS0_10empty_typeEEEZNS1_10merge_implIS3_NS0_12zip_iteratorINS5_IJN6thrust23THRUST_200600_302600_NS6detail15normal_iteratorINSC_10device_ptrIKxEEEESI_EEEEESK_NSA_INS5_IJNSC_16discard_iteratorINSC_11use_defaultEEESN_EEEEEPS7_SQ_SQ_NSC_11hip_rocprim7__merge17predicate_wrapperIxxNSC_4lessIxEEEEEE10hipError_tPvRmT0_T1_T2_T3_T4_T5_mmT6_P12ihipStream_tbEUlT_E0_NS1_11comp_targetILNS1_3genE5ELNS1_11target_archE942ELNS1_3gpuE9ELNS1_3repE0EEENS1_30default_config_static_selectorELNS0_4arch9wavefront6targetE0EEEvS11_,"axG",@progbits,_ZN7rocprim17ROCPRIM_400000_NS6detail17trampoline_kernelINS0_14default_configENS1_21merge_config_selectorINS0_5tupleIJxxEEENS0_10empty_typeEEEZNS1_10merge_implIS3_NS0_12zip_iteratorINS5_IJN6thrust23THRUST_200600_302600_NS6detail15normal_iteratorINSC_10device_ptrIKxEEEESI_EEEEESK_NSA_INS5_IJNSC_16discard_iteratorINSC_11use_defaultEEESN_EEEEEPS7_SQ_SQ_NSC_11hip_rocprim7__merge17predicate_wrapperIxxNSC_4lessIxEEEEEE10hipError_tPvRmT0_T1_T2_T3_T4_T5_mmT6_P12ihipStream_tbEUlT_E0_NS1_11comp_targetILNS1_3genE5ELNS1_11target_archE942ELNS1_3gpuE9ELNS1_3repE0EEENS1_30default_config_static_selectorELNS0_4arch9wavefront6targetE0EEEvS11_,comdat
	.protected	_ZN7rocprim17ROCPRIM_400000_NS6detail17trampoline_kernelINS0_14default_configENS1_21merge_config_selectorINS0_5tupleIJxxEEENS0_10empty_typeEEEZNS1_10merge_implIS3_NS0_12zip_iteratorINS5_IJN6thrust23THRUST_200600_302600_NS6detail15normal_iteratorINSC_10device_ptrIKxEEEESI_EEEEESK_NSA_INS5_IJNSC_16discard_iteratorINSC_11use_defaultEEESN_EEEEEPS7_SQ_SQ_NSC_11hip_rocprim7__merge17predicate_wrapperIxxNSC_4lessIxEEEEEE10hipError_tPvRmT0_T1_T2_T3_T4_T5_mmT6_P12ihipStream_tbEUlT_E0_NS1_11comp_targetILNS1_3genE5ELNS1_11target_archE942ELNS1_3gpuE9ELNS1_3repE0EEENS1_30default_config_static_selectorELNS0_4arch9wavefront6targetE0EEEvS11_ ; -- Begin function _ZN7rocprim17ROCPRIM_400000_NS6detail17trampoline_kernelINS0_14default_configENS1_21merge_config_selectorINS0_5tupleIJxxEEENS0_10empty_typeEEEZNS1_10merge_implIS3_NS0_12zip_iteratorINS5_IJN6thrust23THRUST_200600_302600_NS6detail15normal_iteratorINSC_10device_ptrIKxEEEESI_EEEEESK_NSA_INS5_IJNSC_16discard_iteratorINSC_11use_defaultEEESN_EEEEEPS7_SQ_SQ_NSC_11hip_rocprim7__merge17predicate_wrapperIxxNSC_4lessIxEEEEEE10hipError_tPvRmT0_T1_T2_T3_T4_T5_mmT6_P12ihipStream_tbEUlT_E0_NS1_11comp_targetILNS1_3genE5ELNS1_11target_archE942ELNS1_3gpuE9ELNS1_3repE0EEENS1_30default_config_static_selectorELNS0_4arch9wavefront6targetE0EEEvS11_
	.globl	_ZN7rocprim17ROCPRIM_400000_NS6detail17trampoline_kernelINS0_14default_configENS1_21merge_config_selectorINS0_5tupleIJxxEEENS0_10empty_typeEEEZNS1_10merge_implIS3_NS0_12zip_iteratorINS5_IJN6thrust23THRUST_200600_302600_NS6detail15normal_iteratorINSC_10device_ptrIKxEEEESI_EEEEESK_NSA_INS5_IJNSC_16discard_iteratorINSC_11use_defaultEEESN_EEEEEPS7_SQ_SQ_NSC_11hip_rocprim7__merge17predicate_wrapperIxxNSC_4lessIxEEEEEE10hipError_tPvRmT0_T1_T2_T3_T4_T5_mmT6_P12ihipStream_tbEUlT_E0_NS1_11comp_targetILNS1_3genE5ELNS1_11target_archE942ELNS1_3gpuE9ELNS1_3repE0EEENS1_30default_config_static_selectorELNS0_4arch9wavefront6targetE0EEEvS11_
	.p2align	8
	.type	_ZN7rocprim17ROCPRIM_400000_NS6detail17trampoline_kernelINS0_14default_configENS1_21merge_config_selectorINS0_5tupleIJxxEEENS0_10empty_typeEEEZNS1_10merge_implIS3_NS0_12zip_iteratorINS5_IJN6thrust23THRUST_200600_302600_NS6detail15normal_iteratorINSC_10device_ptrIKxEEEESI_EEEEESK_NSA_INS5_IJNSC_16discard_iteratorINSC_11use_defaultEEESN_EEEEEPS7_SQ_SQ_NSC_11hip_rocprim7__merge17predicate_wrapperIxxNSC_4lessIxEEEEEE10hipError_tPvRmT0_T1_T2_T3_T4_T5_mmT6_P12ihipStream_tbEUlT_E0_NS1_11comp_targetILNS1_3genE5ELNS1_11target_archE942ELNS1_3gpuE9ELNS1_3repE0EEENS1_30default_config_static_selectorELNS0_4arch9wavefront6targetE0EEEvS11_,@function
_ZN7rocprim17ROCPRIM_400000_NS6detail17trampoline_kernelINS0_14default_configENS1_21merge_config_selectorINS0_5tupleIJxxEEENS0_10empty_typeEEEZNS1_10merge_implIS3_NS0_12zip_iteratorINS5_IJN6thrust23THRUST_200600_302600_NS6detail15normal_iteratorINSC_10device_ptrIKxEEEESI_EEEEESK_NSA_INS5_IJNSC_16discard_iteratorINSC_11use_defaultEEESN_EEEEEPS7_SQ_SQ_NSC_11hip_rocprim7__merge17predicate_wrapperIxxNSC_4lessIxEEEEEE10hipError_tPvRmT0_T1_T2_T3_T4_T5_mmT6_P12ihipStream_tbEUlT_E0_NS1_11comp_targetILNS1_3genE5ELNS1_11target_archE942ELNS1_3gpuE9ELNS1_3repE0EEENS1_30default_config_static_selectorELNS0_4arch9wavefront6targetE0EEEvS11_: ; @_ZN7rocprim17ROCPRIM_400000_NS6detail17trampoline_kernelINS0_14default_configENS1_21merge_config_selectorINS0_5tupleIJxxEEENS0_10empty_typeEEEZNS1_10merge_implIS3_NS0_12zip_iteratorINS5_IJN6thrust23THRUST_200600_302600_NS6detail15normal_iteratorINSC_10device_ptrIKxEEEESI_EEEEESK_NSA_INS5_IJNSC_16discard_iteratorINSC_11use_defaultEEESN_EEEEEPS7_SQ_SQ_NSC_11hip_rocprim7__merge17predicate_wrapperIxxNSC_4lessIxEEEEEE10hipError_tPvRmT0_T1_T2_T3_T4_T5_mmT6_P12ihipStream_tbEUlT_E0_NS1_11comp_targetILNS1_3genE5ELNS1_11target_archE942ELNS1_3gpuE9ELNS1_3repE0EEENS1_30default_config_static_selectorELNS0_4arch9wavefront6targetE0EEEvS11_
; %bb.0:
	.section	.rodata,"a",@progbits
	.p2align	6, 0x0
	.amdhsa_kernel _ZN7rocprim17ROCPRIM_400000_NS6detail17trampoline_kernelINS0_14default_configENS1_21merge_config_selectorINS0_5tupleIJxxEEENS0_10empty_typeEEEZNS1_10merge_implIS3_NS0_12zip_iteratorINS5_IJN6thrust23THRUST_200600_302600_NS6detail15normal_iteratorINSC_10device_ptrIKxEEEESI_EEEEESK_NSA_INS5_IJNSC_16discard_iteratorINSC_11use_defaultEEESN_EEEEEPS7_SQ_SQ_NSC_11hip_rocprim7__merge17predicate_wrapperIxxNSC_4lessIxEEEEEE10hipError_tPvRmT0_T1_T2_T3_T4_T5_mmT6_P12ihipStream_tbEUlT_E0_NS1_11comp_targetILNS1_3genE5ELNS1_11target_archE942ELNS1_3gpuE9ELNS1_3repE0EEENS1_30default_config_static_selectorELNS0_4arch9wavefront6targetE0EEEvS11_
		.amdhsa_group_segment_fixed_size 0
		.amdhsa_private_segment_fixed_size 0
		.amdhsa_kernarg_size 128
		.amdhsa_user_sgpr_count 6
		.amdhsa_user_sgpr_private_segment_buffer 1
		.amdhsa_user_sgpr_dispatch_ptr 0
		.amdhsa_user_sgpr_queue_ptr 0
		.amdhsa_user_sgpr_kernarg_segment_ptr 1
		.amdhsa_user_sgpr_dispatch_id 0
		.amdhsa_user_sgpr_flat_scratch_init 0
		.amdhsa_user_sgpr_private_segment_size 0
		.amdhsa_wavefront_size32 1
		.amdhsa_uses_dynamic_stack 0
		.amdhsa_system_sgpr_private_segment_wavefront_offset 0
		.amdhsa_system_sgpr_workgroup_id_x 1
		.amdhsa_system_sgpr_workgroup_id_y 0
		.amdhsa_system_sgpr_workgroup_id_z 0
		.amdhsa_system_sgpr_workgroup_info 0
		.amdhsa_system_vgpr_workitem_id 0
		.amdhsa_next_free_vgpr 1
		.amdhsa_next_free_sgpr 1
		.amdhsa_reserve_vcc 0
		.amdhsa_reserve_flat_scratch 0
		.amdhsa_float_round_mode_32 0
		.amdhsa_float_round_mode_16_64 0
		.amdhsa_float_denorm_mode_32 3
		.amdhsa_float_denorm_mode_16_64 3
		.amdhsa_dx10_clamp 1
		.amdhsa_ieee_mode 1
		.amdhsa_fp16_overflow 0
		.amdhsa_workgroup_processor_mode 1
		.amdhsa_memory_ordered 1
		.amdhsa_forward_progress 1
		.amdhsa_shared_vgpr_count 0
		.amdhsa_exception_fp_ieee_invalid_op 0
		.amdhsa_exception_fp_denorm_src 0
		.amdhsa_exception_fp_ieee_div_zero 0
		.amdhsa_exception_fp_ieee_overflow 0
		.amdhsa_exception_fp_ieee_underflow 0
		.amdhsa_exception_fp_ieee_inexact 0
		.amdhsa_exception_int_div_zero 0
	.end_amdhsa_kernel
	.section	.text._ZN7rocprim17ROCPRIM_400000_NS6detail17trampoline_kernelINS0_14default_configENS1_21merge_config_selectorINS0_5tupleIJxxEEENS0_10empty_typeEEEZNS1_10merge_implIS3_NS0_12zip_iteratorINS5_IJN6thrust23THRUST_200600_302600_NS6detail15normal_iteratorINSC_10device_ptrIKxEEEESI_EEEEESK_NSA_INS5_IJNSC_16discard_iteratorINSC_11use_defaultEEESN_EEEEEPS7_SQ_SQ_NSC_11hip_rocprim7__merge17predicate_wrapperIxxNSC_4lessIxEEEEEE10hipError_tPvRmT0_T1_T2_T3_T4_T5_mmT6_P12ihipStream_tbEUlT_E0_NS1_11comp_targetILNS1_3genE5ELNS1_11target_archE942ELNS1_3gpuE9ELNS1_3repE0EEENS1_30default_config_static_selectorELNS0_4arch9wavefront6targetE0EEEvS11_,"axG",@progbits,_ZN7rocprim17ROCPRIM_400000_NS6detail17trampoline_kernelINS0_14default_configENS1_21merge_config_selectorINS0_5tupleIJxxEEENS0_10empty_typeEEEZNS1_10merge_implIS3_NS0_12zip_iteratorINS5_IJN6thrust23THRUST_200600_302600_NS6detail15normal_iteratorINSC_10device_ptrIKxEEEESI_EEEEESK_NSA_INS5_IJNSC_16discard_iteratorINSC_11use_defaultEEESN_EEEEEPS7_SQ_SQ_NSC_11hip_rocprim7__merge17predicate_wrapperIxxNSC_4lessIxEEEEEE10hipError_tPvRmT0_T1_T2_T3_T4_T5_mmT6_P12ihipStream_tbEUlT_E0_NS1_11comp_targetILNS1_3genE5ELNS1_11target_archE942ELNS1_3gpuE9ELNS1_3repE0EEENS1_30default_config_static_selectorELNS0_4arch9wavefront6targetE0EEEvS11_,comdat
.Lfunc_end579:
	.size	_ZN7rocprim17ROCPRIM_400000_NS6detail17trampoline_kernelINS0_14default_configENS1_21merge_config_selectorINS0_5tupleIJxxEEENS0_10empty_typeEEEZNS1_10merge_implIS3_NS0_12zip_iteratorINS5_IJN6thrust23THRUST_200600_302600_NS6detail15normal_iteratorINSC_10device_ptrIKxEEEESI_EEEEESK_NSA_INS5_IJNSC_16discard_iteratorINSC_11use_defaultEEESN_EEEEEPS7_SQ_SQ_NSC_11hip_rocprim7__merge17predicate_wrapperIxxNSC_4lessIxEEEEEE10hipError_tPvRmT0_T1_T2_T3_T4_T5_mmT6_P12ihipStream_tbEUlT_E0_NS1_11comp_targetILNS1_3genE5ELNS1_11target_archE942ELNS1_3gpuE9ELNS1_3repE0EEENS1_30default_config_static_selectorELNS0_4arch9wavefront6targetE0EEEvS11_, .Lfunc_end579-_ZN7rocprim17ROCPRIM_400000_NS6detail17trampoline_kernelINS0_14default_configENS1_21merge_config_selectorINS0_5tupleIJxxEEENS0_10empty_typeEEEZNS1_10merge_implIS3_NS0_12zip_iteratorINS5_IJN6thrust23THRUST_200600_302600_NS6detail15normal_iteratorINSC_10device_ptrIKxEEEESI_EEEEESK_NSA_INS5_IJNSC_16discard_iteratorINSC_11use_defaultEEESN_EEEEEPS7_SQ_SQ_NSC_11hip_rocprim7__merge17predicate_wrapperIxxNSC_4lessIxEEEEEE10hipError_tPvRmT0_T1_T2_T3_T4_T5_mmT6_P12ihipStream_tbEUlT_E0_NS1_11comp_targetILNS1_3genE5ELNS1_11target_archE942ELNS1_3gpuE9ELNS1_3repE0EEENS1_30default_config_static_selectorELNS0_4arch9wavefront6targetE0EEEvS11_
                                        ; -- End function
	.set _ZN7rocprim17ROCPRIM_400000_NS6detail17trampoline_kernelINS0_14default_configENS1_21merge_config_selectorINS0_5tupleIJxxEEENS0_10empty_typeEEEZNS1_10merge_implIS3_NS0_12zip_iteratorINS5_IJN6thrust23THRUST_200600_302600_NS6detail15normal_iteratorINSC_10device_ptrIKxEEEESI_EEEEESK_NSA_INS5_IJNSC_16discard_iteratorINSC_11use_defaultEEESN_EEEEEPS7_SQ_SQ_NSC_11hip_rocprim7__merge17predicate_wrapperIxxNSC_4lessIxEEEEEE10hipError_tPvRmT0_T1_T2_T3_T4_T5_mmT6_P12ihipStream_tbEUlT_E0_NS1_11comp_targetILNS1_3genE5ELNS1_11target_archE942ELNS1_3gpuE9ELNS1_3repE0EEENS1_30default_config_static_selectorELNS0_4arch9wavefront6targetE0EEEvS11_.num_vgpr, 0
	.set _ZN7rocprim17ROCPRIM_400000_NS6detail17trampoline_kernelINS0_14default_configENS1_21merge_config_selectorINS0_5tupleIJxxEEENS0_10empty_typeEEEZNS1_10merge_implIS3_NS0_12zip_iteratorINS5_IJN6thrust23THRUST_200600_302600_NS6detail15normal_iteratorINSC_10device_ptrIKxEEEESI_EEEEESK_NSA_INS5_IJNSC_16discard_iteratorINSC_11use_defaultEEESN_EEEEEPS7_SQ_SQ_NSC_11hip_rocprim7__merge17predicate_wrapperIxxNSC_4lessIxEEEEEE10hipError_tPvRmT0_T1_T2_T3_T4_T5_mmT6_P12ihipStream_tbEUlT_E0_NS1_11comp_targetILNS1_3genE5ELNS1_11target_archE942ELNS1_3gpuE9ELNS1_3repE0EEENS1_30default_config_static_selectorELNS0_4arch9wavefront6targetE0EEEvS11_.num_agpr, 0
	.set _ZN7rocprim17ROCPRIM_400000_NS6detail17trampoline_kernelINS0_14default_configENS1_21merge_config_selectorINS0_5tupleIJxxEEENS0_10empty_typeEEEZNS1_10merge_implIS3_NS0_12zip_iteratorINS5_IJN6thrust23THRUST_200600_302600_NS6detail15normal_iteratorINSC_10device_ptrIKxEEEESI_EEEEESK_NSA_INS5_IJNSC_16discard_iteratorINSC_11use_defaultEEESN_EEEEEPS7_SQ_SQ_NSC_11hip_rocprim7__merge17predicate_wrapperIxxNSC_4lessIxEEEEEE10hipError_tPvRmT0_T1_T2_T3_T4_T5_mmT6_P12ihipStream_tbEUlT_E0_NS1_11comp_targetILNS1_3genE5ELNS1_11target_archE942ELNS1_3gpuE9ELNS1_3repE0EEENS1_30default_config_static_selectorELNS0_4arch9wavefront6targetE0EEEvS11_.numbered_sgpr, 0
	.set _ZN7rocprim17ROCPRIM_400000_NS6detail17trampoline_kernelINS0_14default_configENS1_21merge_config_selectorINS0_5tupleIJxxEEENS0_10empty_typeEEEZNS1_10merge_implIS3_NS0_12zip_iteratorINS5_IJN6thrust23THRUST_200600_302600_NS6detail15normal_iteratorINSC_10device_ptrIKxEEEESI_EEEEESK_NSA_INS5_IJNSC_16discard_iteratorINSC_11use_defaultEEESN_EEEEEPS7_SQ_SQ_NSC_11hip_rocprim7__merge17predicate_wrapperIxxNSC_4lessIxEEEEEE10hipError_tPvRmT0_T1_T2_T3_T4_T5_mmT6_P12ihipStream_tbEUlT_E0_NS1_11comp_targetILNS1_3genE5ELNS1_11target_archE942ELNS1_3gpuE9ELNS1_3repE0EEENS1_30default_config_static_selectorELNS0_4arch9wavefront6targetE0EEEvS11_.num_named_barrier, 0
	.set _ZN7rocprim17ROCPRIM_400000_NS6detail17trampoline_kernelINS0_14default_configENS1_21merge_config_selectorINS0_5tupleIJxxEEENS0_10empty_typeEEEZNS1_10merge_implIS3_NS0_12zip_iteratorINS5_IJN6thrust23THRUST_200600_302600_NS6detail15normal_iteratorINSC_10device_ptrIKxEEEESI_EEEEESK_NSA_INS5_IJNSC_16discard_iteratorINSC_11use_defaultEEESN_EEEEEPS7_SQ_SQ_NSC_11hip_rocprim7__merge17predicate_wrapperIxxNSC_4lessIxEEEEEE10hipError_tPvRmT0_T1_T2_T3_T4_T5_mmT6_P12ihipStream_tbEUlT_E0_NS1_11comp_targetILNS1_3genE5ELNS1_11target_archE942ELNS1_3gpuE9ELNS1_3repE0EEENS1_30default_config_static_selectorELNS0_4arch9wavefront6targetE0EEEvS11_.private_seg_size, 0
	.set _ZN7rocprim17ROCPRIM_400000_NS6detail17trampoline_kernelINS0_14default_configENS1_21merge_config_selectorINS0_5tupleIJxxEEENS0_10empty_typeEEEZNS1_10merge_implIS3_NS0_12zip_iteratorINS5_IJN6thrust23THRUST_200600_302600_NS6detail15normal_iteratorINSC_10device_ptrIKxEEEESI_EEEEESK_NSA_INS5_IJNSC_16discard_iteratorINSC_11use_defaultEEESN_EEEEEPS7_SQ_SQ_NSC_11hip_rocprim7__merge17predicate_wrapperIxxNSC_4lessIxEEEEEE10hipError_tPvRmT0_T1_T2_T3_T4_T5_mmT6_P12ihipStream_tbEUlT_E0_NS1_11comp_targetILNS1_3genE5ELNS1_11target_archE942ELNS1_3gpuE9ELNS1_3repE0EEENS1_30default_config_static_selectorELNS0_4arch9wavefront6targetE0EEEvS11_.uses_vcc, 0
	.set _ZN7rocprim17ROCPRIM_400000_NS6detail17trampoline_kernelINS0_14default_configENS1_21merge_config_selectorINS0_5tupleIJxxEEENS0_10empty_typeEEEZNS1_10merge_implIS3_NS0_12zip_iteratorINS5_IJN6thrust23THRUST_200600_302600_NS6detail15normal_iteratorINSC_10device_ptrIKxEEEESI_EEEEESK_NSA_INS5_IJNSC_16discard_iteratorINSC_11use_defaultEEESN_EEEEEPS7_SQ_SQ_NSC_11hip_rocprim7__merge17predicate_wrapperIxxNSC_4lessIxEEEEEE10hipError_tPvRmT0_T1_T2_T3_T4_T5_mmT6_P12ihipStream_tbEUlT_E0_NS1_11comp_targetILNS1_3genE5ELNS1_11target_archE942ELNS1_3gpuE9ELNS1_3repE0EEENS1_30default_config_static_selectorELNS0_4arch9wavefront6targetE0EEEvS11_.uses_flat_scratch, 0
	.set _ZN7rocprim17ROCPRIM_400000_NS6detail17trampoline_kernelINS0_14default_configENS1_21merge_config_selectorINS0_5tupleIJxxEEENS0_10empty_typeEEEZNS1_10merge_implIS3_NS0_12zip_iteratorINS5_IJN6thrust23THRUST_200600_302600_NS6detail15normal_iteratorINSC_10device_ptrIKxEEEESI_EEEEESK_NSA_INS5_IJNSC_16discard_iteratorINSC_11use_defaultEEESN_EEEEEPS7_SQ_SQ_NSC_11hip_rocprim7__merge17predicate_wrapperIxxNSC_4lessIxEEEEEE10hipError_tPvRmT0_T1_T2_T3_T4_T5_mmT6_P12ihipStream_tbEUlT_E0_NS1_11comp_targetILNS1_3genE5ELNS1_11target_archE942ELNS1_3gpuE9ELNS1_3repE0EEENS1_30default_config_static_selectorELNS0_4arch9wavefront6targetE0EEEvS11_.has_dyn_sized_stack, 0
	.set _ZN7rocprim17ROCPRIM_400000_NS6detail17trampoline_kernelINS0_14default_configENS1_21merge_config_selectorINS0_5tupleIJxxEEENS0_10empty_typeEEEZNS1_10merge_implIS3_NS0_12zip_iteratorINS5_IJN6thrust23THRUST_200600_302600_NS6detail15normal_iteratorINSC_10device_ptrIKxEEEESI_EEEEESK_NSA_INS5_IJNSC_16discard_iteratorINSC_11use_defaultEEESN_EEEEEPS7_SQ_SQ_NSC_11hip_rocprim7__merge17predicate_wrapperIxxNSC_4lessIxEEEEEE10hipError_tPvRmT0_T1_T2_T3_T4_T5_mmT6_P12ihipStream_tbEUlT_E0_NS1_11comp_targetILNS1_3genE5ELNS1_11target_archE942ELNS1_3gpuE9ELNS1_3repE0EEENS1_30default_config_static_selectorELNS0_4arch9wavefront6targetE0EEEvS11_.has_recursion, 0
	.set _ZN7rocprim17ROCPRIM_400000_NS6detail17trampoline_kernelINS0_14default_configENS1_21merge_config_selectorINS0_5tupleIJxxEEENS0_10empty_typeEEEZNS1_10merge_implIS3_NS0_12zip_iteratorINS5_IJN6thrust23THRUST_200600_302600_NS6detail15normal_iteratorINSC_10device_ptrIKxEEEESI_EEEEESK_NSA_INS5_IJNSC_16discard_iteratorINSC_11use_defaultEEESN_EEEEEPS7_SQ_SQ_NSC_11hip_rocprim7__merge17predicate_wrapperIxxNSC_4lessIxEEEEEE10hipError_tPvRmT0_T1_T2_T3_T4_T5_mmT6_P12ihipStream_tbEUlT_E0_NS1_11comp_targetILNS1_3genE5ELNS1_11target_archE942ELNS1_3gpuE9ELNS1_3repE0EEENS1_30default_config_static_selectorELNS0_4arch9wavefront6targetE0EEEvS11_.has_indirect_call, 0
	.section	.AMDGPU.csdata,"",@progbits
; Kernel info:
; codeLenInByte = 0
; TotalNumSgprs: 0
; NumVgprs: 0
; ScratchSize: 0
; MemoryBound: 0
; FloatMode: 240
; IeeeMode: 1
; LDSByteSize: 0 bytes/workgroup (compile time only)
; SGPRBlocks: 0
; VGPRBlocks: 0
; NumSGPRsForWavesPerEU: 1
; NumVGPRsForWavesPerEU: 1
; Occupancy: 16
; WaveLimiterHint : 0
; COMPUTE_PGM_RSRC2:SCRATCH_EN: 0
; COMPUTE_PGM_RSRC2:USER_SGPR: 6
; COMPUTE_PGM_RSRC2:TRAP_HANDLER: 0
; COMPUTE_PGM_RSRC2:TGID_X_EN: 1
; COMPUTE_PGM_RSRC2:TGID_Y_EN: 0
; COMPUTE_PGM_RSRC2:TGID_Z_EN: 0
; COMPUTE_PGM_RSRC2:TIDIG_COMP_CNT: 0
	.section	.text._ZN7rocprim17ROCPRIM_400000_NS6detail17trampoline_kernelINS0_14default_configENS1_21merge_config_selectorINS0_5tupleIJxxEEENS0_10empty_typeEEEZNS1_10merge_implIS3_NS0_12zip_iteratorINS5_IJN6thrust23THRUST_200600_302600_NS6detail15normal_iteratorINSC_10device_ptrIKxEEEESI_EEEEESK_NSA_INS5_IJNSC_16discard_iteratorINSC_11use_defaultEEESN_EEEEEPS7_SQ_SQ_NSC_11hip_rocprim7__merge17predicate_wrapperIxxNSC_4lessIxEEEEEE10hipError_tPvRmT0_T1_T2_T3_T4_T5_mmT6_P12ihipStream_tbEUlT_E0_NS1_11comp_targetILNS1_3genE4ELNS1_11target_archE910ELNS1_3gpuE8ELNS1_3repE0EEENS1_30default_config_static_selectorELNS0_4arch9wavefront6targetE0EEEvS11_,"axG",@progbits,_ZN7rocprim17ROCPRIM_400000_NS6detail17trampoline_kernelINS0_14default_configENS1_21merge_config_selectorINS0_5tupleIJxxEEENS0_10empty_typeEEEZNS1_10merge_implIS3_NS0_12zip_iteratorINS5_IJN6thrust23THRUST_200600_302600_NS6detail15normal_iteratorINSC_10device_ptrIKxEEEESI_EEEEESK_NSA_INS5_IJNSC_16discard_iteratorINSC_11use_defaultEEESN_EEEEEPS7_SQ_SQ_NSC_11hip_rocprim7__merge17predicate_wrapperIxxNSC_4lessIxEEEEEE10hipError_tPvRmT0_T1_T2_T3_T4_T5_mmT6_P12ihipStream_tbEUlT_E0_NS1_11comp_targetILNS1_3genE4ELNS1_11target_archE910ELNS1_3gpuE8ELNS1_3repE0EEENS1_30default_config_static_selectorELNS0_4arch9wavefront6targetE0EEEvS11_,comdat
	.protected	_ZN7rocprim17ROCPRIM_400000_NS6detail17trampoline_kernelINS0_14default_configENS1_21merge_config_selectorINS0_5tupleIJxxEEENS0_10empty_typeEEEZNS1_10merge_implIS3_NS0_12zip_iteratorINS5_IJN6thrust23THRUST_200600_302600_NS6detail15normal_iteratorINSC_10device_ptrIKxEEEESI_EEEEESK_NSA_INS5_IJNSC_16discard_iteratorINSC_11use_defaultEEESN_EEEEEPS7_SQ_SQ_NSC_11hip_rocprim7__merge17predicate_wrapperIxxNSC_4lessIxEEEEEE10hipError_tPvRmT0_T1_T2_T3_T4_T5_mmT6_P12ihipStream_tbEUlT_E0_NS1_11comp_targetILNS1_3genE4ELNS1_11target_archE910ELNS1_3gpuE8ELNS1_3repE0EEENS1_30default_config_static_selectorELNS0_4arch9wavefront6targetE0EEEvS11_ ; -- Begin function _ZN7rocprim17ROCPRIM_400000_NS6detail17trampoline_kernelINS0_14default_configENS1_21merge_config_selectorINS0_5tupleIJxxEEENS0_10empty_typeEEEZNS1_10merge_implIS3_NS0_12zip_iteratorINS5_IJN6thrust23THRUST_200600_302600_NS6detail15normal_iteratorINSC_10device_ptrIKxEEEESI_EEEEESK_NSA_INS5_IJNSC_16discard_iteratorINSC_11use_defaultEEESN_EEEEEPS7_SQ_SQ_NSC_11hip_rocprim7__merge17predicate_wrapperIxxNSC_4lessIxEEEEEE10hipError_tPvRmT0_T1_T2_T3_T4_T5_mmT6_P12ihipStream_tbEUlT_E0_NS1_11comp_targetILNS1_3genE4ELNS1_11target_archE910ELNS1_3gpuE8ELNS1_3repE0EEENS1_30default_config_static_selectorELNS0_4arch9wavefront6targetE0EEEvS11_
	.globl	_ZN7rocprim17ROCPRIM_400000_NS6detail17trampoline_kernelINS0_14default_configENS1_21merge_config_selectorINS0_5tupleIJxxEEENS0_10empty_typeEEEZNS1_10merge_implIS3_NS0_12zip_iteratorINS5_IJN6thrust23THRUST_200600_302600_NS6detail15normal_iteratorINSC_10device_ptrIKxEEEESI_EEEEESK_NSA_INS5_IJNSC_16discard_iteratorINSC_11use_defaultEEESN_EEEEEPS7_SQ_SQ_NSC_11hip_rocprim7__merge17predicate_wrapperIxxNSC_4lessIxEEEEEE10hipError_tPvRmT0_T1_T2_T3_T4_T5_mmT6_P12ihipStream_tbEUlT_E0_NS1_11comp_targetILNS1_3genE4ELNS1_11target_archE910ELNS1_3gpuE8ELNS1_3repE0EEENS1_30default_config_static_selectorELNS0_4arch9wavefront6targetE0EEEvS11_
	.p2align	8
	.type	_ZN7rocprim17ROCPRIM_400000_NS6detail17trampoline_kernelINS0_14default_configENS1_21merge_config_selectorINS0_5tupleIJxxEEENS0_10empty_typeEEEZNS1_10merge_implIS3_NS0_12zip_iteratorINS5_IJN6thrust23THRUST_200600_302600_NS6detail15normal_iteratorINSC_10device_ptrIKxEEEESI_EEEEESK_NSA_INS5_IJNSC_16discard_iteratorINSC_11use_defaultEEESN_EEEEEPS7_SQ_SQ_NSC_11hip_rocprim7__merge17predicate_wrapperIxxNSC_4lessIxEEEEEE10hipError_tPvRmT0_T1_T2_T3_T4_T5_mmT6_P12ihipStream_tbEUlT_E0_NS1_11comp_targetILNS1_3genE4ELNS1_11target_archE910ELNS1_3gpuE8ELNS1_3repE0EEENS1_30default_config_static_selectorELNS0_4arch9wavefront6targetE0EEEvS11_,@function
_ZN7rocprim17ROCPRIM_400000_NS6detail17trampoline_kernelINS0_14default_configENS1_21merge_config_selectorINS0_5tupleIJxxEEENS0_10empty_typeEEEZNS1_10merge_implIS3_NS0_12zip_iteratorINS5_IJN6thrust23THRUST_200600_302600_NS6detail15normal_iteratorINSC_10device_ptrIKxEEEESI_EEEEESK_NSA_INS5_IJNSC_16discard_iteratorINSC_11use_defaultEEESN_EEEEEPS7_SQ_SQ_NSC_11hip_rocprim7__merge17predicate_wrapperIxxNSC_4lessIxEEEEEE10hipError_tPvRmT0_T1_T2_T3_T4_T5_mmT6_P12ihipStream_tbEUlT_E0_NS1_11comp_targetILNS1_3genE4ELNS1_11target_archE910ELNS1_3gpuE8ELNS1_3repE0EEENS1_30default_config_static_selectorELNS0_4arch9wavefront6targetE0EEEvS11_: ; @_ZN7rocprim17ROCPRIM_400000_NS6detail17trampoline_kernelINS0_14default_configENS1_21merge_config_selectorINS0_5tupleIJxxEEENS0_10empty_typeEEEZNS1_10merge_implIS3_NS0_12zip_iteratorINS5_IJN6thrust23THRUST_200600_302600_NS6detail15normal_iteratorINSC_10device_ptrIKxEEEESI_EEEEESK_NSA_INS5_IJNSC_16discard_iteratorINSC_11use_defaultEEESN_EEEEEPS7_SQ_SQ_NSC_11hip_rocprim7__merge17predicate_wrapperIxxNSC_4lessIxEEEEEE10hipError_tPvRmT0_T1_T2_T3_T4_T5_mmT6_P12ihipStream_tbEUlT_E0_NS1_11comp_targetILNS1_3genE4ELNS1_11target_archE910ELNS1_3gpuE8ELNS1_3repE0EEENS1_30default_config_static_selectorELNS0_4arch9wavefront6targetE0EEEvS11_
; %bb.0:
	.section	.rodata,"a",@progbits
	.p2align	6, 0x0
	.amdhsa_kernel _ZN7rocprim17ROCPRIM_400000_NS6detail17trampoline_kernelINS0_14default_configENS1_21merge_config_selectorINS0_5tupleIJxxEEENS0_10empty_typeEEEZNS1_10merge_implIS3_NS0_12zip_iteratorINS5_IJN6thrust23THRUST_200600_302600_NS6detail15normal_iteratorINSC_10device_ptrIKxEEEESI_EEEEESK_NSA_INS5_IJNSC_16discard_iteratorINSC_11use_defaultEEESN_EEEEEPS7_SQ_SQ_NSC_11hip_rocprim7__merge17predicate_wrapperIxxNSC_4lessIxEEEEEE10hipError_tPvRmT0_T1_T2_T3_T4_T5_mmT6_P12ihipStream_tbEUlT_E0_NS1_11comp_targetILNS1_3genE4ELNS1_11target_archE910ELNS1_3gpuE8ELNS1_3repE0EEENS1_30default_config_static_selectorELNS0_4arch9wavefront6targetE0EEEvS11_
		.amdhsa_group_segment_fixed_size 0
		.amdhsa_private_segment_fixed_size 0
		.amdhsa_kernarg_size 128
		.amdhsa_user_sgpr_count 6
		.amdhsa_user_sgpr_private_segment_buffer 1
		.amdhsa_user_sgpr_dispatch_ptr 0
		.amdhsa_user_sgpr_queue_ptr 0
		.amdhsa_user_sgpr_kernarg_segment_ptr 1
		.amdhsa_user_sgpr_dispatch_id 0
		.amdhsa_user_sgpr_flat_scratch_init 0
		.amdhsa_user_sgpr_private_segment_size 0
		.amdhsa_wavefront_size32 1
		.amdhsa_uses_dynamic_stack 0
		.amdhsa_system_sgpr_private_segment_wavefront_offset 0
		.amdhsa_system_sgpr_workgroup_id_x 1
		.amdhsa_system_sgpr_workgroup_id_y 0
		.amdhsa_system_sgpr_workgroup_id_z 0
		.amdhsa_system_sgpr_workgroup_info 0
		.amdhsa_system_vgpr_workitem_id 0
		.amdhsa_next_free_vgpr 1
		.amdhsa_next_free_sgpr 1
		.amdhsa_reserve_vcc 0
		.amdhsa_reserve_flat_scratch 0
		.amdhsa_float_round_mode_32 0
		.amdhsa_float_round_mode_16_64 0
		.amdhsa_float_denorm_mode_32 3
		.amdhsa_float_denorm_mode_16_64 3
		.amdhsa_dx10_clamp 1
		.amdhsa_ieee_mode 1
		.amdhsa_fp16_overflow 0
		.amdhsa_workgroup_processor_mode 1
		.amdhsa_memory_ordered 1
		.amdhsa_forward_progress 1
		.amdhsa_shared_vgpr_count 0
		.amdhsa_exception_fp_ieee_invalid_op 0
		.amdhsa_exception_fp_denorm_src 0
		.amdhsa_exception_fp_ieee_div_zero 0
		.amdhsa_exception_fp_ieee_overflow 0
		.amdhsa_exception_fp_ieee_underflow 0
		.amdhsa_exception_fp_ieee_inexact 0
		.amdhsa_exception_int_div_zero 0
	.end_amdhsa_kernel
	.section	.text._ZN7rocprim17ROCPRIM_400000_NS6detail17trampoline_kernelINS0_14default_configENS1_21merge_config_selectorINS0_5tupleIJxxEEENS0_10empty_typeEEEZNS1_10merge_implIS3_NS0_12zip_iteratorINS5_IJN6thrust23THRUST_200600_302600_NS6detail15normal_iteratorINSC_10device_ptrIKxEEEESI_EEEEESK_NSA_INS5_IJNSC_16discard_iteratorINSC_11use_defaultEEESN_EEEEEPS7_SQ_SQ_NSC_11hip_rocprim7__merge17predicate_wrapperIxxNSC_4lessIxEEEEEE10hipError_tPvRmT0_T1_T2_T3_T4_T5_mmT6_P12ihipStream_tbEUlT_E0_NS1_11comp_targetILNS1_3genE4ELNS1_11target_archE910ELNS1_3gpuE8ELNS1_3repE0EEENS1_30default_config_static_selectorELNS0_4arch9wavefront6targetE0EEEvS11_,"axG",@progbits,_ZN7rocprim17ROCPRIM_400000_NS6detail17trampoline_kernelINS0_14default_configENS1_21merge_config_selectorINS0_5tupleIJxxEEENS0_10empty_typeEEEZNS1_10merge_implIS3_NS0_12zip_iteratorINS5_IJN6thrust23THRUST_200600_302600_NS6detail15normal_iteratorINSC_10device_ptrIKxEEEESI_EEEEESK_NSA_INS5_IJNSC_16discard_iteratorINSC_11use_defaultEEESN_EEEEEPS7_SQ_SQ_NSC_11hip_rocprim7__merge17predicate_wrapperIxxNSC_4lessIxEEEEEE10hipError_tPvRmT0_T1_T2_T3_T4_T5_mmT6_P12ihipStream_tbEUlT_E0_NS1_11comp_targetILNS1_3genE4ELNS1_11target_archE910ELNS1_3gpuE8ELNS1_3repE0EEENS1_30default_config_static_selectorELNS0_4arch9wavefront6targetE0EEEvS11_,comdat
.Lfunc_end580:
	.size	_ZN7rocprim17ROCPRIM_400000_NS6detail17trampoline_kernelINS0_14default_configENS1_21merge_config_selectorINS0_5tupleIJxxEEENS0_10empty_typeEEEZNS1_10merge_implIS3_NS0_12zip_iteratorINS5_IJN6thrust23THRUST_200600_302600_NS6detail15normal_iteratorINSC_10device_ptrIKxEEEESI_EEEEESK_NSA_INS5_IJNSC_16discard_iteratorINSC_11use_defaultEEESN_EEEEEPS7_SQ_SQ_NSC_11hip_rocprim7__merge17predicate_wrapperIxxNSC_4lessIxEEEEEE10hipError_tPvRmT0_T1_T2_T3_T4_T5_mmT6_P12ihipStream_tbEUlT_E0_NS1_11comp_targetILNS1_3genE4ELNS1_11target_archE910ELNS1_3gpuE8ELNS1_3repE0EEENS1_30default_config_static_selectorELNS0_4arch9wavefront6targetE0EEEvS11_, .Lfunc_end580-_ZN7rocprim17ROCPRIM_400000_NS6detail17trampoline_kernelINS0_14default_configENS1_21merge_config_selectorINS0_5tupleIJxxEEENS0_10empty_typeEEEZNS1_10merge_implIS3_NS0_12zip_iteratorINS5_IJN6thrust23THRUST_200600_302600_NS6detail15normal_iteratorINSC_10device_ptrIKxEEEESI_EEEEESK_NSA_INS5_IJNSC_16discard_iteratorINSC_11use_defaultEEESN_EEEEEPS7_SQ_SQ_NSC_11hip_rocprim7__merge17predicate_wrapperIxxNSC_4lessIxEEEEEE10hipError_tPvRmT0_T1_T2_T3_T4_T5_mmT6_P12ihipStream_tbEUlT_E0_NS1_11comp_targetILNS1_3genE4ELNS1_11target_archE910ELNS1_3gpuE8ELNS1_3repE0EEENS1_30default_config_static_selectorELNS0_4arch9wavefront6targetE0EEEvS11_
                                        ; -- End function
	.set _ZN7rocprim17ROCPRIM_400000_NS6detail17trampoline_kernelINS0_14default_configENS1_21merge_config_selectorINS0_5tupleIJxxEEENS0_10empty_typeEEEZNS1_10merge_implIS3_NS0_12zip_iteratorINS5_IJN6thrust23THRUST_200600_302600_NS6detail15normal_iteratorINSC_10device_ptrIKxEEEESI_EEEEESK_NSA_INS5_IJNSC_16discard_iteratorINSC_11use_defaultEEESN_EEEEEPS7_SQ_SQ_NSC_11hip_rocprim7__merge17predicate_wrapperIxxNSC_4lessIxEEEEEE10hipError_tPvRmT0_T1_T2_T3_T4_T5_mmT6_P12ihipStream_tbEUlT_E0_NS1_11comp_targetILNS1_3genE4ELNS1_11target_archE910ELNS1_3gpuE8ELNS1_3repE0EEENS1_30default_config_static_selectorELNS0_4arch9wavefront6targetE0EEEvS11_.num_vgpr, 0
	.set _ZN7rocprim17ROCPRIM_400000_NS6detail17trampoline_kernelINS0_14default_configENS1_21merge_config_selectorINS0_5tupleIJxxEEENS0_10empty_typeEEEZNS1_10merge_implIS3_NS0_12zip_iteratorINS5_IJN6thrust23THRUST_200600_302600_NS6detail15normal_iteratorINSC_10device_ptrIKxEEEESI_EEEEESK_NSA_INS5_IJNSC_16discard_iteratorINSC_11use_defaultEEESN_EEEEEPS7_SQ_SQ_NSC_11hip_rocprim7__merge17predicate_wrapperIxxNSC_4lessIxEEEEEE10hipError_tPvRmT0_T1_T2_T3_T4_T5_mmT6_P12ihipStream_tbEUlT_E0_NS1_11comp_targetILNS1_3genE4ELNS1_11target_archE910ELNS1_3gpuE8ELNS1_3repE0EEENS1_30default_config_static_selectorELNS0_4arch9wavefront6targetE0EEEvS11_.num_agpr, 0
	.set _ZN7rocprim17ROCPRIM_400000_NS6detail17trampoline_kernelINS0_14default_configENS1_21merge_config_selectorINS0_5tupleIJxxEEENS0_10empty_typeEEEZNS1_10merge_implIS3_NS0_12zip_iteratorINS5_IJN6thrust23THRUST_200600_302600_NS6detail15normal_iteratorINSC_10device_ptrIKxEEEESI_EEEEESK_NSA_INS5_IJNSC_16discard_iteratorINSC_11use_defaultEEESN_EEEEEPS7_SQ_SQ_NSC_11hip_rocprim7__merge17predicate_wrapperIxxNSC_4lessIxEEEEEE10hipError_tPvRmT0_T1_T2_T3_T4_T5_mmT6_P12ihipStream_tbEUlT_E0_NS1_11comp_targetILNS1_3genE4ELNS1_11target_archE910ELNS1_3gpuE8ELNS1_3repE0EEENS1_30default_config_static_selectorELNS0_4arch9wavefront6targetE0EEEvS11_.numbered_sgpr, 0
	.set _ZN7rocprim17ROCPRIM_400000_NS6detail17trampoline_kernelINS0_14default_configENS1_21merge_config_selectorINS0_5tupleIJxxEEENS0_10empty_typeEEEZNS1_10merge_implIS3_NS0_12zip_iteratorINS5_IJN6thrust23THRUST_200600_302600_NS6detail15normal_iteratorINSC_10device_ptrIKxEEEESI_EEEEESK_NSA_INS5_IJNSC_16discard_iteratorINSC_11use_defaultEEESN_EEEEEPS7_SQ_SQ_NSC_11hip_rocprim7__merge17predicate_wrapperIxxNSC_4lessIxEEEEEE10hipError_tPvRmT0_T1_T2_T3_T4_T5_mmT6_P12ihipStream_tbEUlT_E0_NS1_11comp_targetILNS1_3genE4ELNS1_11target_archE910ELNS1_3gpuE8ELNS1_3repE0EEENS1_30default_config_static_selectorELNS0_4arch9wavefront6targetE0EEEvS11_.num_named_barrier, 0
	.set _ZN7rocprim17ROCPRIM_400000_NS6detail17trampoline_kernelINS0_14default_configENS1_21merge_config_selectorINS0_5tupleIJxxEEENS0_10empty_typeEEEZNS1_10merge_implIS3_NS0_12zip_iteratorINS5_IJN6thrust23THRUST_200600_302600_NS6detail15normal_iteratorINSC_10device_ptrIKxEEEESI_EEEEESK_NSA_INS5_IJNSC_16discard_iteratorINSC_11use_defaultEEESN_EEEEEPS7_SQ_SQ_NSC_11hip_rocprim7__merge17predicate_wrapperIxxNSC_4lessIxEEEEEE10hipError_tPvRmT0_T1_T2_T3_T4_T5_mmT6_P12ihipStream_tbEUlT_E0_NS1_11comp_targetILNS1_3genE4ELNS1_11target_archE910ELNS1_3gpuE8ELNS1_3repE0EEENS1_30default_config_static_selectorELNS0_4arch9wavefront6targetE0EEEvS11_.private_seg_size, 0
	.set _ZN7rocprim17ROCPRIM_400000_NS6detail17trampoline_kernelINS0_14default_configENS1_21merge_config_selectorINS0_5tupleIJxxEEENS0_10empty_typeEEEZNS1_10merge_implIS3_NS0_12zip_iteratorINS5_IJN6thrust23THRUST_200600_302600_NS6detail15normal_iteratorINSC_10device_ptrIKxEEEESI_EEEEESK_NSA_INS5_IJNSC_16discard_iteratorINSC_11use_defaultEEESN_EEEEEPS7_SQ_SQ_NSC_11hip_rocprim7__merge17predicate_wrapperIxxNSC_4lessIxEEEEEE10hipError_tPvRmT0_T1_T2_T3_T4_T5_mmT6_P12ihipStream_tbEUlT_E0_NS1_11comp_targetILNS1_3genE4ELNS1_11target_archE910ELNS1_3gpuE8ELNS1_3repE0EEENS1_30default_config_static_selectorELNS0_4arch9wavefront6targetE0EEEvS11_.uses_vcc, 0
	.set _ZN7rocprim17ROCPRIM_400000_NS6detail17trampoline_kernelINS0_14default_configENS1_21merge_config_selectorINS0_5tupleIJxxEEENS0_10empty_typeEEEZNS1_10merge_implIS3_NS0_12zip_iteratorINS5_IJN6thrust23THRUST_200600_302600_NS6detail15normal_iteratorINSC_10device_ptrIKxEEEESI_EEEEESK_NSA_INS5_IJNSC_16discard_iteratorINSC_11use_defaultEEESN_EEEEEPS7_SQ_SQ_NSC_11hip_rocprim7__merge17predicate_wrapperIxxNSC_4lessIxEEEEEE10hipError_tPvRmT0_T1_T2_T3_T4_T5_mmT6_P12ihipStream_tbEUlT_E0_NS1_11comp_targetILNS1_3genE4ELNS1_11target_archE910ELNS1_3gpuE8ELNS1_3repE0EEENS1_30default_config_static_selectorELNS0_4arch9wavefront6targetE0EEEvS11_.uses_flat_scratch, 0
	.set _ZN7rocprim17ROCPRIM_400000_NS6detail17trampoline_kernelINS0_14default_configENS1_21merge_config_selectorINS0_5tupleIJxxEEENS0_10empty_typeEEEZNS1_10merge_implIS3_NS0_12zip_iteratorINS5_IJN6thrust23THRUST_200600_302600_NS6detail15normal_iteratorINSC_10device_ptrIKxEEEESI_EEEEESK_NSA_INS5_IJNSC_16discard_iteratorINSC_11use_defaultEEESN_EEEEEPS7_SQ_SQ_NSC_11hip_rocprim7__merge17predicate_wrapperIxxNSC_4lessIxEEEEEE10hipError_tPvRmT0_T1_T2_T3_T4_T5_mmT6_P12ihipStream_tbEUlT_E0_NS1_11comp_targetILNS1_3genE4ELNS1_11target_archE910ELNS1_3gpuE8ELNS1_3repE0EEENS1_30default_config_static_selectorELNS0_4arch9wavefront6targetE0EEEvS11_.has_dyn_sized_stack, 0
	.set _ZN7rocprim17ROCPRIM_400000_NS6detail17trampoline_kernelINS0_14default_configENS1_21merge_config_selectorINS0_5tupleIJxxEEENS0_10empty_typeEEEZNS1_10merge_implIS3_NS0_12zip_iteratorINS5_IJN6thrust23THRUST_200600_302600_NS6detail15normal_iteratorINSC_10device_ptrIKxEEEESI_EEEEESK_NSA_INS5_IJNSC_16discard_iteratorINSC_11use_defaultEEESN_EEEEEPS7_SQ_SQ_NSC_11hip_rocprim7__merge17predicate_wrapperIxxNSC_4lessIxEEEEEE10hipError_tPvRmT0_T1_T2_T3_T4_T5_mmT6_P12ihipStream_tbEUlT_E0_NS1_11comp_targetILNS1_3genE4ELNS1_11target_archE910ELNS1_3gpuE8ELNS1_3repE0EEENS1_30default_config_static_selectorELNS0_4arch9wavefront6targetE0EEEvS11_.has_recursion, 0
	.set _ZN7rocprim17ROCPRIM_400000_NS6detail17trampoline_kernelINS0_14default_configENS1_21merge_config_selectorINS0_5tupleIJxxEEENS0_10empty_typeEEEZNS1_10merge_implIS3_NS0_12zip_iteratorINS5_IJN6thrust23THRUST_200600_302600_NS6detail15normal_iteratorINSC_10device_ptrIKxEEEESI_EEEEESK_NSA_INS5_IJNSC_16discard_iteratorINSC_11use_defaultEEESN_EEEEEPS7_SQ_SQ_NSC_11hip_rocprim7__merge17predicate_wrapperIxxNSC_4lessIxEEEEEE10hipError_tPvRmT0_T1_T2_T3_T4_T5_mmT6_P12ihipStream_tbEUlT_E0_NS1_11comp_targetILNS1_3genE4ELNS1_11target_archE910ELNS1_3gpuE8ELNS1_3repE0EEENS1_30default_config_static_selectorELNS0_4arch9wavefront6targetE0EEEvS11_.has_indirect_call, 0
	.section	.AMDGPU.csdata,"",@progbits
; Kernel info:
; codeLenInByte = 0
; TotalNumSgprs: 0
; NumVgprs: 0
; ScratchSize: 0
; MemoryBound: 0
; FloatMode: 240
; IeeeMode: 1
; LDSByteSize: 0 bytes/workgroup (compile time only)
; SGPRBlocks: 0
; VGPRBlocks: 0
; NumSGPRsForWavesPerEU: 1
; NumVGPRsForWavesPerEU: 1
; Occupancy: 16
; WaveLimiterHint : 0
; COMPUTE_PGM_RSRC2:SCRATCH_EN: 0
; COMPUTE_PGM_RSRC2:USER_SGPR: 6
; COMPUTE_PGM_RSRC2:TRAP_HANDLER: 0
; COMPUTE_PGM_RSRC2:TGID_X_EN: 1
; COMPUTE_PGM_RSRC2:TGID_Y_EN: 0
; COMPUTE_PGM_RSRC2:TGID_Z_EN: 0
; COMPUTE_PGM_RSRC2:TIDIG_COMP_CNT: 0
	.section	.text._ZN7rocprim17ROCPRIM_400000_NS6detail17trampoline_kernelINS0_14default_configENS1_21merge_config_selectorINS0_5tupleIJxxEEENS0_10empty_typeEEEZNS1_10merge_implIS3_NS0_12zip_iteratorINS5_IJN6thrust23THRUST_200600_302600_NS6detail15normal_iteratorINSC_10device_ptrIKxEEEESI_EEEEESK_NSA_INS5_IJNSC_16discard_iteratorINSC_11use_defaultEEESN_EEEEEPS7_SQ_SQ_NSC_11hip_rocprim7__merge17predicate_wrapperIxxNSC_4lessIxEEEEEE10hipError_tPvRmT0_T1_T2_T3_T4_T5_mmT6_P12ihipStream_tbEUlT_E0_NS1_11comp_targetILNS1_3genE3ELNS1_11target_archE908ELNS1_3gpuE7ELNS1_3repE0EEENS1_30default_config_static_selectorELNS0_4arch9wavefront6targetE0EEEvS11_,"axG",@progbits,_ZN7rocprim17ROCPRIM_400000_NS6detail17trampoline_kernelINS0_14default_configENS1_21merge_config_selectorINS0_5tupleIJxxEEENS0_10empty_typeEEEZNS1_10merge_implIS3_NS0_12zip_iteratorINS5_IJN6thrust23THRUST_200600_302600_NS6detail15normal_iteratorINSC_10device_ptrIKxEEEESI_EEEEESK_NSA_INS5_IJNSC_16discard_iteratorINSC_11use_defaultEEESN_EEEEEPS7_SQ_SQ_NSC_11hip_rocprim7__merge17predicate_wrapperIxxNSC_4lessIxEEEEEE10hipError_tPvRmT0_T1_T2_T3_T4_T5_mmT6_P12ihipStream_tbEUlT_E0_NS1_11comp_targetILNS1_3genE3ELNS1_11target_archE908ELNS1_3gpuE7ELNS1_3repE0EEENS1_30default_config_static_selectorELNS0_4arch9wavefront6targetE0EEEvS11_,comdat
	.protected	_ZN7rocprim17ROCPRIM_400000_NS6detail17trampoline_kernelINS0_14default_configENS1_21merge_config_selectorINS0_5tupleIJxxEEENS0_10empty_typeEEEZNS1_10merge_implIS3_NS0_12zip_iteratorINS5_IJN6thrust23THRUST_200600_302600_NS6detail15normal_iteratorINSC_10device_ptrIKxEEEESI_EEEEESK_NSA_INS5_IJNSC_16discard_iteratorINSC_11use_defaultEEESN_EEEEEPS7_SQ_SQ_NSC_11hip_rocprim7__merge17predicate_wrapperIxxNSC_4lessIxEEEEEE10hipError_tPvRmT0_T1_T2_T3_T4_T5_mmT6_P12ihipStream_tbEUlT_E0_NS1_11comp_targetILNS1_3genE3ELNS1_11target_archE908ELNS1_3gpuE7ELNS1_3repE0EEENS1_30default_config_static_selectorELNS0_4arch9wavefront6targetE0EEEvS11_ ; -- Begin function _ZN7rocprim17ROCPRIM_400000_NS6detail17trampoline_kernelINS0_14default_configENS1_21merge_config_selectorINS0_5tupleIJxxEEENS0_10empty_typeEEEZNS1_10merge_implIS3_NS0_12zip_iteratorINS5_IJN6thrust23THRUST_200600_302600_NS6detail15normal_iteratorINSC_10device_ptrIKxEEEESI_EEEEESK_NSA_INS5_IJNSC_16discard_iteratorINSC_11use_defaultEEESN_EEEEEPS7_SQ_SQ_NSC_11hip_rocprim7__merge17predicate_wrapperIxxNSC_4lessIxEEEEEE10hipError_tPvRmT0_T1_T2_T3_T4_T5_mmT6_P12ihipStream_tbEUlT_E0_NS1_11comp_targetILNS1_3genE3ELNS1_11target_archE908ELNS1_3gpuE7ELNS1_3repE0EEENS1_30default_config_static_selectorELNS0_4arch9wavefront6targetE0EEEvS11_
	.globl	_ZN7rocprim17ROCPRIM_400000_NS6detail17trampoline_kernelINS0_14default_configENS1_21merge_config_selectorINS0_5tupleIJxxEEENS0_10empty_typeEEEZNS1_10merge_implIS3_NS0_12zip_iteratorINS5_IJN6thrust23THRUST_200600_302600_NS6detail15normal_iteratorINSC_10device_ptrIKxEEEESI_EEEEESK_NSA_INS5_IJNSC_16discard_iteratorINSC_11use_defaultEEESN_EEEEEPS7_SQ_SQ_NSC_11hip_rocprim7__merge17predicate_wrapperIxxNSC_4lessIxEEEEEE10hipError_tPvRmT0_T1_T2_T3_T4_T5_mmT6_P12ihipStream_tbEUlT_E0_NS1_11comp_targetILNS1_3genE3ELNS1_11target_archE908ELNS1_3gpuE7ELNS1_3repE0EEENS1_30default_config_static_selectorELNS0_4arch9wavefront6targetE0EEEvS11_
	.p2align	8
	.type	_ZN7rocprim17ROCPRIM_400000_NS6detail17trampoline_kernelINS0_14default_configENS1_21merge_config_selectorINS0_5tupleIJxxEEENS0_10empty_typeEEEZNS1_10merge_implIS3_NS0_12zip_iteratorINS5_IJN6thrust23THRUST_200600_302600_NS6detail15normal_iteratorINSC_10device_ptrIKxEEEESI_EEEEESK_NSA_INS5_IJNSC_16discard_iteratorINSC_11use_defaultEEESN_EEEEEPS7_SQ_SQ_NSC_11hip_rocprim7__merge17predicate_wrapperIxxNSC_4lessIxEEEEEE10hipError_tPvRmT0_T1_T2_T3_T4_T5_mmT6_P12ihipStream_tbEUlT_E0_NS1_11comp_targetILNS1_3genE3ELNS1_11target_archE908ELNS1_3gpuE7ELNS1_3repE0EEENS1_30default_config_static_selectorELNS0_4arch9wavefront6targetE0EEEvS11_,@function
_ZN7rocprim17ROCPRIM_400000_NS6detail17trampoline_kernelINS0_14default_configENS1_21merge_config_selectorINS0_5tupleIJxxEEENS0_10empty_typeEEEZNS1_10merge_implIS3_NS0_12zip_iteratorINS5_IJN6thrust23THRUST_200600_302600_NS6detail15normal_iteratorINSC_10device_ptrIKxEEEESI_EEEEESK_NSA_INS5_IJNSC_16discard_iteratorINSC_11use_defaultEEESN_EEEEEPS7_SQ_SQ_NSC_11hip_rocprim7__merge17predicate_wrapperIxxNSC_4lessIxEEEEEE10hipError_tPvRmT0_T1_T2_T3_T4_T5_mmT6_P12ihipStream_tbEUlT_E0_NS1_11comp_targetILNS1_3genE3ELNS1_11target_archE908ELNS1_3gpuE7ELNS1_3repE0EEENS1_30default_config_static_selectorELNS0_4arch9wavefront6targetE0EEEvS11_: ; @_ZN7rocprim17ROCPRIM_400000_NS6detail17trampoline_kernelINS0_14default_configENS1_21merge_config_selectorINS0_5tupleIJxxEEENS0_10empty_typeEEEZNS1_10merge_implIS3_NS0_12zip_iteratorINS5_IJN6thrust23THRUST_200600_302600_NS6detail15normal_iteratorINSC_10device_ptrIKxEEEESI_EEEEESK_NSA_INS5_IJNSC_16discard_iteratorINSC_11use_defaultEEESN_EEEEEPS7_SQ_SQ_NSC_11hip_rocprim7__merge17predicate_wrapperIxxNSC_4lessIxEEEEEE10hipError_tPvRmT0_T1_T2_T3_T4_T5_mmT6_P12ihipStream_tbEUlT_E0_NS1_11comp_targetILNS1_3genE3ELNS1_11target_archE908ELNS1_3gpuE7ELNS1_3repE0EEENS1_30default_config_static_selectorELNS0_4arch9wavefront6targetE0EEEvS11_
; %bb.0:
	.section	.rodata,"a",@progbits
	.p2align	6, 0x0
	.amdhsa_kernel _ZN7rocprim17ROCPRIM_400000_NS6detail17trampoline_kernelINS0_14default_configENS1_21merge_config_selectorINS0_5tupleIJxxEEENS0_10empty_typeEEEZNS1_10merge_implIS3_NS0_12zip_iteratorINS5_IJN6thrust23THRUST_200600_302600_NS6detail15normal_iteratorINSC_10device_ptrIKxEEEESI_EEEEESK_NSA_INS5_IJNSC_16discard_iteratorINSC_11use_defaultEEESN_EEEEEPS7_SQ_SQ_NSC_11hip_rocprim7__merge17predicate_wrapperIxxNSC_4lessIxEEEEEE10hipError_tPvRmT0_T1_T2_T3_T4_T5_mmT6_P12ihipStream_tbEUlT_E0_NS1_11comp_targetILNS1_3genE3ELNS1_11target_archE908ELNS1_3gpuE7ELNS1_3repE0EEENS1_30default_config_static_selectorELNS0_4arch9wavefront6targetE0EEEvS11_
		.amdhsa_group_segment_fixed_size 0
		.amdhsa_private_segment_fixed_size 0
		.amdhsa_kernarg_size 128
		.amdhsa_user_sgpr_count 6
		.amdhsa_user_sgpr_private_segment_buffer 1
		.amdhsa_user_sgpr_dispatch_ptr 0
		.amdhsa_user_sgpr_queue_ptr 0
		.amdhsa_user_sgpr_kernarg_segment_ptr 1
		.amdhsa_user_sgpr_dispatch_id 0
		.amdhsa_user_sgpr_flat_scratch_init 0
		.amdhsa_user_sgpr_private_segment_size 0
		.amdhsa_wavefront_size32 1
		.amdhsa_uses_dynamic_stack 0
		.amdhsa_system_sgpr_private_segment_wavefront_offset 0
		.amdhsa_system_sgpr_workgroup_id_x 1
		.amdhsa_system_sgpr_workgroup_id_y 0
		.amdhsa_system_sgpr_workgroup_id_z 0
		.amdhsa_system_sgpr_workgroup_info 0
		.amdhsa_system_vgpr_workitem_id 0
		.amdhsa_next_free_vgpr 1
		.amdhsa_next_free_sgpr 1
		.amdhsa_reserve_vcc 0
		.amdhsa_reserve_flat_scratch 0
		.amdhsa_float_round_mode_32 0
		.amdhsa_float_round_mode_16_64 0
		.amdhsa_float_denorm_mode_32 3
		.amdhsa_float_denorm_mode_16_64 3
		.amdhsa_dx10_clamp 1
		.amdhsa_ieee_mode 1
		.amdhsa_fp16_overflow 0
		.amdhsa_workgroup_processor_mode 1
		.amdhsa_memory_ordered 1
		.amdhsa_forward_progress 1
		.amdhsa_shared_vgpr_count 0
		.amdhsa_exception_fp_ieee_invalid_op 0
		.amdhsa_exception_fp_denorm_src 0
		.amdhsa_exception_fp_ieee_div_zero 0
		.amdhsa_exception_fp_ieee_overflow 0
		.amdhsa_exception_fp_ieee_underflow 0
		.amdhsa_exception_fp_ieee_inexact 0
		.amdhsa_exception_int_div_zero 0
	.end_amdhsa_kernel
	.section	.text._ZN7rocprim17ROCPRIM_400000_NS6detail17trampoline_kernelINS0_14default_configENS1_21merge_config_selectorINS0_5tupleIJxxEEENS0_10empty_typeEEEZNS1_10merge_implIS3_NS0_12zip_iteratorINS5_IJN6thrust23THRUST_200600_302600_NS6detail15normal_iteratorINSC_10device_ptrIKxEEEESI_EEEEESK_NSA_INS5_IJNSC_16discard_iteratorINSC_11use_defaultEEESN_EEEEEPS7_SQ_SQ_NSC_11hip_rocprim7__merge17predicate_wrapperIxxNSC_4lessIxEEEEEE10hipError_tPvRmT0_T1_T2_T3_T4_T5_mmT6_P12ihipStream_tbEUlT_E0_NS1_11comp_targetILNS1_3genE3ELNS1_11target_archE908ELNS1_3gpuE7ELNS1_3repE0EEENS1_30default_config_static_selectorELNS0_4arch9wavefront6targetE0EEEvS11_,"axG",@progbits,_ZN7rocprim17ROCPRIM_400000_NS6detail17trampoline_kernelINS0_14default_configENS1_21merge_config_selectorINS0_5tupleIJxxEEENS0_10empty_typeEEEZNS1_10merge_implIS3_NS0_12zip_iteratorINS5_IJN6thrust23THRUST_200600_302600_NS6detail15normal_iteratorINSC_10device_ptrIKxEEEESI_EEEEESK_NSA_INS5_IJNSC_16discard_iteratorINSC_11use_defaultEEESN_EEEEEPS7_SQ_SQ_NSC_11hip_rocprim7__merge17predicate_wrapperIxxNSC_4lessIxEEEEEE10hipError_tPvRmT0_T1_T2_T3_T4_T5_mmT6_P12ihipStream_tbEUlT_E0_NS1_11comp_targetILNS1_3genE3ELNS1_11target_archE908ELNS1_3gpuE7ELNS1_3repE0EEENS1_30default_config_static_selectorELNS0_4arch9wavefront6targetE0EEEvS11_,comdat
.Lfunc_end581:
	.size	_ZN7rocprim17ROCPRIM_400000_NS6detail17trampoline_kernelINS0_14default_configENS1_21merge_config_selectorINS0_5tupleIJxxEEENS0_10empty_typeEEEZNS1_10merge_implIS3_NS0_12zip_iteratorINS5_IJN6thrust23THRUST_200600_302600_NS6detail15normal_iteratorINSC_10device_ptrIKxEEEESI_EEEEESK_NSA_INS5_IJNSC_16discard_iteratorINSC_11use_defaultEEESN_EEEEEPS7_SQ_SQ_NSC_11hip_rocprim7__merge17predicate_wrapperIxxNSC_4lessIxEEEEEE10hipError_tPvRmT0_T1_T2_T3_T4_T5_mmT6_P12ihipStream_tbEUlT_E0_NS1_11comp_targetILNS1_3genE3ELNS1_11target_archE908ELNS1_3gpuE7ELNS1_3repE0EEENS1_30default_config_static_selectorELNS0_4arch9wavefront6targetE0EEEvS11_, .Lfunc_end581-_ZN7rocprim17ROCPRIM_400000_NS6detail17trampoline_kernelINS0_14default_configENS1_21merge_config_selectorINS0_5tupleIJxxEEENS0_10empty_typeEEEZNS1_10merge_implIS3_NS0_12zip_iteratorINS5_IJN6thrust23THRUST_200600_302600_NS6detail15normal_iteratorINSC_10device_ptrIKxEEEESI_EEEEESK_NSA_INS5_IJNSC_16discard_iteratorINSC_11use_defaultEEESN_EEEEEPS7_SQ_SQ_NSC_11hip_rocprim7__merge17predicate_wrapperIxxNSC_4lessIxEEEEEE10hipError_tPvRmT0_T1_T2_T3_T4_T5_mmT6_P12ihipStream_tbEUlT_E0_NS1_11comp_targetILNS1_3genE3ELNS1_11target_archE908ELNS1_3gpuE7ELNS1_3repE0EEENS1_30default_config_static_selectorELNS0_4arch9wavefront6targetE0EEEvS11_
                                        ; -- End function
	.set _ZN7rocprim17ROCPRIM_400000_NS6detail17trampoline_kernelINS0_14default_configENS1_21merge_config_selectorINS0_5tupleIJxxEEENS0_10empty_typeEEEZNS1_10merge_implIS3_NS0_12zip_iteratorINS5_IJN6thrust23THRUST_200600_302600_NS6detail15normal_iteratorINSC_10device_ptrIKxEEEESI_EEEEESK_NSA_INS5_IJNSC_16discard_iteratorINSC_11use_defaultEEESN_EEEEEPS7_SQ_SQ_NSC_11hip_rocprim7__merge17predicate_wrapperIxxNSC_4lessIxEEEEEE10hipError_tPvRmT0_T1_T2_T3_T4_T5_mmT6_P12ihipStream_tbEUlT_E0_NS1_11comp_targetILNS1_3genE3ELNS1_11target_archE908ELNS1_3gpuE7ELNS1_3repE0EEENS1_30default_config_static_selectorELNS0_4arch9wavefront6targetE0EEEvS11_.num_vgpr, 0
	.set _ZN7rocprim17ROCPRIM_400000_NS6detail17trampoline_kernelINS0_14default_configENS1_21merge_config_selectorINS0_5tupleIJxxEEENS0_10empty_typeEEEZNS1_10merge_implIS3_NS0_12zip_iteratorINS5_IJN6thrust23THRUST_200600_302600_NS6detail15normal_iteratorINSC_10device_ptrIKxEEEESI_EEEEESK_NSA_INS5_IJNSC_16discard_iteratorINSC_11use_defaultEEESN_EEEEEPS7_SQ_SQ_NSC_11hip_rocprim7__merge17predicate_wrapperIxxNSC_4lessIxEEEEEE10hipError_tPvRmT0_T1_T2_T3_T4_T5_mmT6_P12ihipStream_tbEUlT_E0_NS1_11comp_targetILNS1_3genE3ELNS1_11target_archE908ELNS1_3gpuE7ELNS1_3repE0EEENS1_30default_config_static_selectorELNS0_4arch9wavefront6targetE0EEEvS11_.num_agpr, 0
	.set _ZN7rocprim17ROCPRIM_400000_NS6detail17trampoline_kernelINS0_14default_configENS1_21merge_config_selectorINS0_5tupleIJxxEEENS0_10empty_typeEEEZNS1_10merge_implIS3_NS0_12zip_iteratorINS5_IJN6thrust23THRUST_200600_302600_NS6detail15normal_iteratorINSC_10device_ptrIKxEEEESI_EEEEESK_NSA_INS5_IJNSC_16discard_iteratorINSC_11use_defaultEEESN_EEEEEPS7_SQ_SQ_NSC_11hip_rocprim7__merge17predicate_wrapperIxxNSC_4lessIxEEEEEE10hipError_tPvRmT0_T1_T2_T3_T4_T5_mmT6_P12ihipStream_tbEUlT_E0_NS1_11comp_targetILNS1_3genE3ELNS1_11target_archE908ELNS1_3gpuE7ELNS1_3repE0EEENS1_30default_config_static_selectorELNS0_4arch9wavefront6targetE0EEEvS11_.numbered_sgpr, 0
	.set _ZN7rocprim17ROCPRIM_400000_NS6detail17trampoline_kernelINS0_14default_configENS1_21merge_config_selectorINS0_5tupleIJxxEEENS0_10empty_typeEEEZNS1_10merge_implIS3_NS0_12zip_iteratorINS5_IJN6thrust23THRUST_200600_302600_NS6detail15normal_iteratorINSC_10device_ptrIKxEEEESI_EEEEESK_NSA_INS5_IJNSC_16discard_iteratorINSC_11use_defaultEEESN_EEEEEPS7_SQ_SQ_NSC_11hip_rocprim7__merge17predicate_wrapperIxxNSC_4lessIxEEEEEE10hipError_tPvRmT0_T1_T2_T3_T4_T5_mmT6_P12ihipStream_tbEUlT_E0_NS1_11comp_targetILNS1_3genE3ELNS1_11target_archE908ELNS1_3gpuE7ELNS1_3repE0EEENS1_30default_config_static_selectorELNS0_4arch9wavefront6targetE0EEEvS11_.num_named_barrier, 0
	.set _ZN7rocprim17ROCPRIM_400000_NS6detail17trampoline_kernelINS0_14default_configENS1_21merge_config_selectorINS0_5tupleIJxxEEENS0_10empty_typeEEEZNS1_10merge_implIS3_NS0_12zip_iteratorINS5_IJN6thrust23THRUST_200600_302600_NS6detail15normal_iteratorINSC_10device_ptrIKxEEEESI_EEEEESK_NSA_INS5_IJNSC_16discard_iteratorINSC_11use_defaultEEESN_EEEEEPS7_SQ_SQ_NSC_11hip_rocprim7__merge17predicate_wrapperIxxNSC_4lessIxEEEEEE10hipError_tPvRmT0_T1_T2_T3_T4_T5_mmT6_P12ihipStream_tbEUlT_E0_NS1_11comp_targetILNS1_3genE3ELNS1_11target_archE908ELNS1_3gpuE7ELNS1_3repE0EEENS1_30default_config_static_selectorELNS0_4arch9wavefront6targetE0EEEvS11_.private_seg_size, 0
	.set _ZN7rocprim17ROCPRIM_400000_NS6detail17trampoline_kernelINS0_14default_configENS1_21merge_config_selectorINS0_5tupleIJxxEEENS0_10empty_typeEEEZNS1_10merge_implIS3_NS0_12zip_iteratorINS5_IJN6thrust23THRUST_200600_302600_NS6detail15normal_iteratorINSC_10device_ptrIKxEEEESI_EEEEESK_NSA_INS5_IJNSC_16discard_iteratorINSC_11use_defaultEEESN_EEEEEPS7_SQ_SQ_NSC_11hip_rocprim7__merge17predicate_wrapperIxxNSC_4lessIxEEEEEE10hipError_tPvRmT0_T1_T2_T3_T4_T5_mmT6_P12ihipStream_tbEUlT_E0_NS1_11comp_targetILNS1_3genE3ELNS1_11target_archE908ELNS1_3gpuE7ELNS1_3repE0EEENS1_30default_config_static_selectorELNS0_4arch9wavefront6targetE0EEEvS11_.uses_vcc, 0
	.set _ZN7rocprim17ROCPRIM_400000_NS6detail17trampoline_kernelINS0_14default_configENS1_21merge_config_selectorINS0_5tupleIJxxEEENS0_10empty_typeEEEZNS1_10merge_implIS3_NS0_12zip_iteratorINS5_IJN6thrust23THRUST_200600_302600_NS6detail15normal_iteratorINSC_10device_ptrIKxEEEESI_EEEEESK_NSA_INS5_IJNSC_16discard_iteratorINSC_11use_defaultEEESN_EEEEEPS7_SQ_SQ_NSC_11hip_rocprim7__merge17predicate_wrapperIxxNSC_4lessIxEEEEEE10hipError_tPvRmT0_T1_T2_T3_T4_T5_mmT6_P12ihipStream_tbEUlT_E0_NS1_11comp_targetILNS1_3genE3ELNS1_11target_archE908ELNS1_3gpuE7ELNS1_3repE0EEENS1_30default_config_static_selectorELNS0_4arch9wavefront6targetE0EEEvS11_.uses_flat_scratch, 0
	.set _ZN7rocprim17ROCPRIM_400000_NS6detail17trampoline_kernelINS0_14default_configENS1_21merge_config_selectorINS0_5tupleIJxxEEENS0_10empty_typeEEEZNS1_10merge_implIS3_NS0_12zip_iteratorINS5_IJN6thrust23THRUST_200600_302600_NS6detail15normal_iteratorINSC_10device_ptrIKxEEEESI_EEEEESK_NSA_INS5_IJNSC_16discard_iteratorINSC_11use_defaultEEESN_EEEEEPS7_SQ_SQ_NSC_11hip_rocprim7__merge17predicate_wrapperIxxNSC_4lessIxEEEEEE10hipError_tPvRmT0_T1_T2_T3_T4_T5_mmT6_P12ihipStream_tbEUlT_E0_NS1_11comp_targetILNS1_3genE3ELNS1_11target_archE908ELNS1_3gpuE7ELNS1_3repE0EEENS1_30default_config_static_selectorELNS0_4arch9wavefront6targetE0EEEvS11_.has_dyn_sized_stack, 0
	.set _ZN7rocprim17ROCPRIM_400000_NS6detail17trampoline_kernelINS0_14default_configENS1_21merge_config_selectorINS0_5tupleIJxxEEENS0_10empty_typeEEEZNS1_10merge_implIS3_NS0_12zip_iteratorINS5_IJN6thrust23THRUST_200600_302600_NS6detail15normal_iteratorINSC_10device_ptrIKxEEEESI_EEEEESK_NSA_INS5_IJNSC_16discard_iteratorINSC_11use_defaultEEESN_EEEEEPS7_SQ_SQ_NSC_11hip_rocprim7__merge17predicate_wrapperIxxNSC_4lessIxEEEEEE10hipError_tPvRmT0_T1_T2_T3_T4_T5_mmT6_P12ihipStream_tbEUlT_E0_NS1_11comp_targetILNS1_3genE3ELNS1_11target_archE908ELNS1_3gpuE7ELNS1_3repE0EEENS1_30default_config_static_selectorELNS0_4arch9wavefront6targetE0EEEvS11_.has_recursion, 0
	.set _ZN7rocprim17ROCPRIM_400000_NS6detail17trampoline_kernelINS0_14default_configENS1_21merge_config_selectorINS0_5tupleIJxxEEENS0_10empty_typeEEEZNS1_10merge_implIS3_NS0_12zip_iteratorINS5_IJN6thrust23THRUST_200600_302600_NS6detail15normal_iteratorINSC_10device_ptrIKxEEEESI_EEEEESK_NSA_INS5_IJNSC_16discard_iteratorINSC_11use_defaultEEESN_EEEEEPS7_SQ_SQ_NSC_11hip_rocprim7__merge17predicate_wrapperIxxNSC_4lessIxEEEEEE10hipError_tPvRmT0_T1_T2_T3_T4_T5_mmT6_P12ihipStream_tbEUlT_E0_NS1_11comp_targetILNS1_3genE3ELNS1_11target_archE908ELNS1_3gpuE7ELNS1_3repE0EEENS1_30default_config_static_selectorELNS0_4arch9wavefront6targetE0EEEvS11_.has_indirect_call, 0
	.section	.AMDGPU.csdata,"",@progbits
; Kernel info:
; codeLenInByte = 0
; TotalNumSgprs: 0
; NumVgprs: 0
; ScratchSize: 0
; MemoryBound: 0
; FloatMode: 240
; IeeeMode: 1
; LDSByteSize: 0 bytes/workgroup (compile time only)
; SGPRBlocks: 0
; VGPRBlocks: 0
; NumSGPRsForWavesPerEU: 1
; NumVGPRsForWavesPerEU: 1
; Occupancy: 16
; WaveLimiterHint : 0
; COMPUTE_PGM_RSRC2:SCRATCH_EN: 0
; COMPUTE_PGM_RSRC2:USER_SGPR: 6
; COMPUTE_PGM_RSRC2:TRAP_HANDLER: 0
; COMPUTE_PGM_RSRC2:TGID_X_EN: 1
; COMPUTE_PGM_RSRC2:TGID_Y_EN: 0
; COMPUTE_PGM_RSRC2:TGID_Z_EN: 0
; COMPUTE_PGM_RSRC2:TIDIG_COMP_CNT: 0
	.section	.text._ZN7rocprim17ROCPRIM_400000_NS6detail17trampoline_kernelINS0_14default_configENS1_21merge_config_selectorINS0_5tupleIJxxEEENS0_10empty_typeEEEZNS1_10merge_implIS3_NS0_12zip_iteratorINS5_IJN6thrust23THRUST_200600_302600_NS6detail15normal_iteratorINSC_10device_ptrIKxEEEESI_EEEEESK_NSA_INS5_IJNSC_16discard_iteratorINSC_11use_defaultEEESN_EEEEEPS7_SQ_SQ_NSC_11hip_rocprim7__merge17predicate_wrapperIxxNSC_4lessIxEEEEEE10hipError_tPvRmT0_T1_T2_T3_T4_T5_mmT6_P12ihipStream_tbEUlT_E0_NS1_11comp_targetILNS1_3genE2ELNS1_11target_archE906ELNS1_3gpuE6ELNS1_3repE0EEENS1_30default_config_static_selectorELNS0_4arch9wavefront6targetE0EEEvS11_,"axG",@progbits,_ZN7rocprim17ROCPRIM_400000_NS6detail17trampoline_kernelINS0_14default_configENS1_21merge_config_selectorINS0_5tupleIJxxEEENS0_10empty_typeEEEZNS1_10merge_implIS3_NS0_12zip_iteratorINS5_IJN6thrust23THRUST_200600_302600_NS6detail15normal_iteratorINSC_10device_ptrIKxEEEESI_EEEEESK_NSA_INS5_IJNSC_16discard_iteratorINSC_11use_defaultEEESN_EEEEEPS7_SQ_SQ_NSC_11hip_rocprim7__merge17predicate_wrapperIxxNSC_4lessIxEEEEEE10hipError_tPvRmT0_T1_T2_T3_T4_T5_mmT6_P12ihipStream_tbEUlT_E0_NS1_11comp_targetILNS1_3genE2ELNS1_11target_archE906ELNS1_3gpuE6ELNS1_3repE0EEENS1_30default_config_static_selectorELNS0_4arch9wavefront6targetE0EEEvS11_,comdat
	.protected	_ZN7rocprim17ROCPRIM_400000_NS6detail17trampoline_kernelINS0_14default_configENS1_21merge_config_selectorINS0_5tupleIJxxEEENS0_10empty_typeEEEZNS1_10merge_implIS3_NS0_12zip_iteratorINS5_IJN6thrust23THRUST_200600_302600_NS6detail15normal_iteratorINSC_10device_ptrIKxEEEESI_EEEEESK_NSA_INS5_IJNSC_16discard_iteratorINSC_11use_defaultEEESN_EEEEEPS7_SQ_SQ_NSC_11hip_rocprim7__merge17predicate_wrapperIxxNSC_4lessIxEEEEEE10hipError_tPvRmT0_T1_T2_T3_T4_T5_mmT6_P12ihipStream_tbEUlT_E0_NS1_11comp_targetILNS1_3genE2ELNS1_11target_archE906ELNS1_3gpuE6ELNS1_3repE0EEENS1_30default_config_static_selectorELNS0_4arch9wavefront6targetE0EEEvS11_ ; -- Begin function _ZN7rocprim17ROCPRIM_400000_NS6detail17trampoline_kernelINS0_14default_configENS1_21merge_config_selectorINS0_5tupleIJxxEEENS0_10empty_typeEEEZNS1_10merge_implIS3_NS0_12zip_iteratorINS5_IJN6thrust23THRUST_200600_302600_NS6detail15normal_iteratorINSC_10device_ptrIKxEEEESI_EEEEESK_NSA_INS5_IJNSC_16discard_iteratorINSC_11use_defaultEEESN_EEEEEPS7_SQ_SQ_NSC_11hip_rocprim7__merge17predicate_wrapperIxxNSC_4lessIxEEEEEE10hipError_tPvRmT0_T1_T2_T3_T4_T5_mmT6_P12ihipStream_tbEUlT_E0_NS1_11comp_targetILNS1_3genE2ELNS1_11target_archE906ELNS1_3gpuE6ELNS1_3repE0EEENS1_30default_config_static_selectorELNS0_4arch9wavefront6targetE0EEEvS11_
	.globl	_ZN7rocprim17ROCPRIM_400000_NS6detail17trampoline_kernelINS0_14default_configENS1_21merge_config_selectorINS0_5tupleIJxxEEENS0_10empty_typeEEEZNS1_10merge_implIS3_NS0_12zip_iteratorINS5_IJN6thrust23THRUST_200600_302600_NS6detail15normal_iteratorINSC_10device_ptrIKxEEEESI_EEEEESK_NSA_INS5_IJNSC_16discard_iteratorINSC_11use_defaultEEESN_EEEEEPS7_SQ_SQ_NSC_11hip_rocprim7__merge17predicate_wrapperIxxNSC_4lessIxEEEEEE10hipError_tPvRmT0_T1_T2_T3_T4_T5_mmT6_P12ihipStream_tbEUlT_E0_NS1_11comp_targetILNS1_3genE2ELNS1_11target_archE906ELNS1_3gpuE6ELNS1_3repE0EEENS1_30default_config_static_selectorELNS0_4arch9wavefront6targetE0EEEvS11_
	.p2align	8
	.type	_ZN7rocprim17ROCPRIM_400000_NS6detail17trampoline_kernelINS0_14default_configENS1_21merge_config_selectorINS0_5tupleIJxxEEENS0_10empty_typeEEEZNS1_10merge_implIS3_NS0_12zip_iteratorINS5_IJN6thrust23THRUST_200600_302600_NS6detail15normal_iteratorINSC_10device_ptrIKxEEEESI_EEEEESK_NSA_INS5_IJNSC_16discard_iteratorINSC_11use_defaultEEESN_EEEEEPS7_SQ_SQ_NSC_11hip_rocprim7__merge17predicate_wrapperIxxNSC_4lessIxEEEEEE10hipError_tPvRmT0_T1_T2_T3_T4_T5_mmT6_P12ihipStream_tbEUlT_E0_NS1_11comp_targetILNS1_3genE2ELNS1_11target_archE906ELNS1_3gpuE6ELNS1_3repE0EEENS1_30default_config_static_selectorELNS0_4arch9wavefront6targetE0EEEvS11_,@function
_ZN7rocprim17ROCPRIM_400000_NS6detail17trampoline_kernelINS0_14default_configENS1_21merge_config_selectorINS0_5tupleIJxxEEENS0_10empty_typeEEEZNS1_10merge_implIS3_NS0_12zip_iteratorINS5_IJN6thrust23THRUST_200600_302600_NS6detail15normal_iteratorINSC_10device_ptrIKxEEEESI_EEEEESK_NSA_INS5_IJNSC_16discard_iteratorINSC_11use_defaultEEESN_EEEEEPS7_SQ_SQ_NSC_11hip_rocprim7__merge17predicate_wrapperIxxNSC_4lessIxEEEEEE10hipError_tPvRmT0_T1_T2_T3_T4_T5_mmT6_P12ihipStream_tbEUlT_E0_NS1_11comp_targetILNS1_3genE2ELNS1_11target_archE906ELNS1_3gpuE6ELNS1_3repE0EEENS1_30default_config_static_selectorELNS0_4arch9wavefront6targetE0EEEvS11_: ; @_ZN7rocprim17ROCPRIM_400000_NS6detail17trampoline_kernelINS0_14default_configENS1_21merge_config_selectorINS0_5tupleIJxxEEENS0_10empty_typeEEEZNS1_10merge_implIS3_NS0_12zip_iteratorINS5_IJN6thrust23THRUST_200600_302600_NS6detail15normal_iteratorINSC_10device_ptrIKxEEEESI_EEEEESK_NSA_INS5_IJNSC_16discard_iteratorINSC_11use_defaultEEESN_EEEEEPS7_SQ_SQ_NSC_11hip_rocprim7__merge17predicate_wrapperIxxNSC_4lessIxEEEEEE10hipError_tPvRmT0_T1_T2_T3_T4_T5_mmT6_P12ihipStream_tbEUlT_E0_NS1_11comp_targetILNS1_3genE2ELNS1_11target_archE906ELNS1_3gpuE6ELNS1_3repE0EEENS1_30default_config_static_selectorELNS0_4arch9wavefront6targetE0EEEvS11_
; %bb.0:
	.section	.rodata,"a",@progbits
	.p2align	6, 0x0
	.amdhsa_kernel _ZN7rocprim17ROCPRIM_400000_NS6detail17trampoline_kernelINS0_14default_configENS1_21merge_config_selectorINS0_5tupleIJxxEEENS0_10empty_typeEEEZNS1_10merge_implIS3_NS0_12zip_iteratorINS5_IJN6thrust23THRUST_200600_302600_NS6detail15normal_iteratorINSC_10device_ptrIKxEEEESI_EEEEESK_NSA_INS5_IJNSC_16discard_iteratorINSC_11use_defaultEEESN_EEEEEPS7_SQ_SQ_NSC_11hip_rocprim7__merge17predicate_wrapperIxxNSC_4lessIxEEEEEE10hipError_tPvRmT0_T1_T2_T3_T4_T5_mmT6_P12ihipStream_tbEUlT_E0_NS1_11comp_targetILNS1_3genE2ELNS1_11target_archE906ELNS1_3gpuE6ELNS1_3repE0EEENS1_30default_config_static_selectorELNS0_4arch9wavefront6targetE0EEEvS11_
		.amdhsa_group_segment_fixed_size 0
		.amdhsa_private_segment_fixed_size 0
		.amdhsa_kernarg_size 128
		.amdhsa_user_sgpr_count 6
		.amdhsa_user_sgpr_private_segment_buffer 1
		.amdhsa_user_sgpr_dispatch_ptr 0
		.amdhsa_user_sgpr_queue_ptr 0
		.amdhsa_user_sgpr_kernarg_segment_ptr 1
		.amdhsa_user_sgpr_dispatch_id 0
		.amdhsa_user_sgpr_flat_scratch_init 0
		.amdhsa_user_sgpr_private_segment_size 0
		.amdhsa_wavefront_size32 1
		.amdhsa_uses_dynamic_stack 0
		.amdhsa_system_sgpr_private_segment_wavefront_offset 0
		.amdhsa_system_sgpr_workgroup_id_x 1
		.amdhsa_system_sgpr_workgroup_id_y 0
		.amdhsa_system_sgpr_workgroup_id_z 0
		.amdhsa_system_sgpr_workgroup_info 0
		.amdhsa_system_vgpr_workitem_id 0
		.amdhsa_next_free_vgpr 1
		.amdhsa_next_free_sgpr 1
		.amdhsa_reserve_vcc 0
		.amdhsa_reserve_flat_scratch 0
		.amdhsa_float_round_mode_32 0
		.amdhsa_float_round_mode_16_64 0
		.amdhsa_float_denorm_mode_32 3
		.amdhsa_float_denorm_mode_16_64 3
		.amdhsa_dx10_clamp 1
		.amdhsa_ieee_mode 1
		.amdhsa_fp16_overflow 0
		.amdhsa_workgroup_processor_mode 1
		.amdhsa_memory_ordered 1
		.amdhsa_forward_progress 1
		.amdhsa_shared_vgpr_count 0
		.amdhsa_exception_fp_ieee_invalid_op 0
		.amdhsa_exception_fp_denorm_src 0
		.amdhsa_exception_fp_ieee_div_zero 0
		.amdhsa_exception_fp_ieee_overflow 0
		.amdhsa_exception_fp_ieee_underflow 0
		.amdhsa_exception_fp_ieee_inexact 0
		.amdhsa_exception_int_div_zero 0
	.end_amdhsa_kernel
	.section	.text._ZN7rocprim17ROCPRIM_400000_NS6detail17trampoline_kernelINS0_14default_configENS1_21merge_config_selectorINS0_5tupleIJxxEEENS0_10empty_typeEEEZNS1_10merge_implIS3_NS0_12zip_iteratorINS5_IJN6thrust23THRUST_200600_302600_NS6detail15normal_iteratorINSC_10device_ptrIKxEEEESI_EEEEESK_NSA_INS5_IJNSC_16discard_iteratorINSC_11use_defaultEEESN_EEEEEPS7_SQ_SQ_NSC_11hip_rocprim7__merge17predicate_wrapperIxxNSC_4lessIxEEEEEE10hipError_tPvRmT0_T1_T2_T3_T4_T5_mmT6_P12ihipStream_tbEUlT_E0_NS1_11comp_targetILNS1_3genE2ELNS1_11target_archE906ELNS1_3gpuE6ELNS1_3repE0EEENS1_30default_config_static_selectorELNS0_4arch9wavefront6targetE0EEEvS11_,"axG",@progbits,_ZN7rocprim17ROCPRIM_400000_NS6detail17trampoline_kernelINS0_14default_configENS1_21merge_config_selectorINS0_5tupleIJxxEEENS0_10empty_typeEEEZNS1_10merge_implIS3_NS0_12zip_iteratorINS5_IJN6thrust23THRUST_200600_302600_NS6detail15normal_iteratorINSC_10device_ptrIKxEEEESI_EEEEESK_NSA_INS5_IJNSC_16discard_iteratorINSC_11use_defaultEEESN_EEEEEPS7_SQ_SQ_NSC_11hip_rocprim7__merge17predicate_wrapperIxxNSC_4lessIxEEEEEE10hipError_tPvRmT0_T1_T2_T3_T4_T5_mmT6_P12ihipStream_tbEUlT_E0_NS1_11comp_targetILNS1_3genE2ELNS1_11target_archE906ELNS1_3gpuE6ELNS1_3repE0EEENS1_30default_config_static_selectorELNS0_4arch9wavefront6targetE0EEEvS11_,comdat
.Lfunc_end582:
	.size	_ZN7rocprim17ROCPRIM_400000_NS6detail17trampoline_kernelINS0_14default_configENS1_21merge_config_selectorINS0_5tupleIJxxEEENS0_10empty_typeEEEZNS1_10merge_implIS3_NS0_12zip_iteratorINS5_IJN6thrust23THRUST_200600_302600_NS6detail15normal_iteratorINSC_10device_ptrIKxEEEESI_EEEEESK_NSA_INS5_IJNSC_16discard_iteratorINSC_11use_defaultEEESN_EEEEEPS7_SQ_SQ_NSC_11hip_rocprim7__merge17predicate_wrapperIxxNSC_4lessIxEEEEEE10hipError_tPvRmT0_T1_T2_T3_T4_T5_mmT6_P12ihipStream_tbEUlT_E0_NS1_11comp_targetILNS1_3genE2ELNS1_11target_archE906ELNS1_3gpuE6ELNS1_3repE0EEENS1_30default_config_static_selectorELNS0_4arch9wavefront6targetE0EEEvS11_, .Lfunc_end582-_ZN7rocprim17ROCPRIM_400000_NS6detail17trampoline_kernelINS0_14default_configENS1_21merge_config_selectorINS0_5tupleIJxxEEENS0_10empty_typeEEEZNS1_10merge_implIS3_NS0_12zip_iteratorINS5_IJN6thrust23THRUST_200600_302600_NS6detail15normal_iteratorINSC_10device_ptrIKxEEEESI_EEEEESK_NSA_INS5_IJNSC_16discard_iteratorINSC_11use_defaultEEESN_EEEEEPS7_SQ_SQ_NSC_11hip_rocprim7__merge17predicate_wrapperIxxNSC_4lessIxEEEEEE10hipError_tPvRmT0_T1_T2_T3_T4_T5_mmT6_P12ihipStream_tbEUlT_E0_NS1_11comp_targetILNS1_3genE2ELNS1_11target_archE906ELNS1_3gpuE6ELNS1_3repE0EEENS1_30default_config_static_selectorELNS0_4arch9wavefront6targetE0EEEvS11_
                                        ; -- End function
	.set _ZN7rocprim17ROCPRIM_400000_NS6detail17trampoline_kernelINS0_14default_configENS1_21merge_config_selectorINS0_5tupleIJxxEEENS0_10empty_typeEEEZNS1_10merge_implIS3_NS0_12zip_iteratorINS5_IJN6thrust23THRUST_200600_302600_NS6detail15normal_iteratorINSC_10device_ptrIKxEEEESI_EEEEESK_NSA_INS5_IJNSC_16discard_iteratorINSC_11use_defaultEEESN_EEEEEPS7_SQ_SQ_NSC_11hip_rocprim7__merge17predicate_wrapperIxxNSC_4lessIxEEEEEE10hipError_tPvRmT0_T1_T2_T3_T4_T5_mmT6_P12ihipStream_tbEUlT_E0_NS1_11comp_targetILNS1_3genE2ELNS1_11target_archE906ELNS1_3gpuE6ELNS1_3repE0EEENS1_30default_config_static_selectorELNS0_4arch9wavefront6targetE0EEEvS11_.num_vgpr, 0
	.set _ZN7rocprim17ROCPRIM_400000_NS6detail17trampoline_kernelINS0_14default_configENS1_21merge_config_selectorINS0_5tupleIJxxEEENS0_10empty_typeEEEZNS1_10merge_implIS3_NS0_12zip_iteratorINS5_IJN6thrust23THRUST_200600_302600_NS6detail15normal_iteratorINSC_10device_ptrIKxEEEESI_EEEEESK_NSA_INS5_IJNSC_16discard_iteratorINSC_11use_defaultEEESN_EEEEEPS7_SQ_SQ_NSC_11hip_rocprim7__merge17predicate_wrapperIxxNSC_4lessIxEEEEEE10hipError_tPvRmT0_T1_T2_T3_T4_T5_mmT6_P12ihipStream_tbEUlT_E0_NS1_11comp_targetILNS1_3genE2ELNS1_11target_archE906ELNS1_3gpuE6ELNS1_3repE0EEENS1_30default_config_static_selectorELNS0_4arch9wavefront6targetE0EEEvS11_.num_agpr, 0
	.set _ZN7rocprim17ROCPRIM_400000_NS6detail17trampoline_kernelINS0_14default_configENS1_21merge_config_selectorINS0_5tupleIJxxEEENS0_10empty_typeEEEZNS1_10merge_implIS3_NS0_12zip_iteratorINS5_IJN6thrust23THRUST_200600_302600_NS6detail15normal_iteratorINSC_10device_ptrIKxEEEESI_EEEEESK_NSA_INS5_IJNSC_16discard_iteratorINSC_11use_defaultEEESN_EEEEEPS7_SQ_SQ_NSC_11hip_rocprim7__merge17predicate_wrapperIxxNSC_4lessIxEEEEEE10hipError_tPvRmT0_T1_T2_T3_T4_T5_mmT6_P12ihipStream_tbEUlT_E0_NS1_11comp_targetILNS1_3genE2ELNS1_11target_archE906ELNS1_3gpuE6ELNS1_3repE0EEENS1_30default_config_static_selectorELNS0_4arch9wavefront6targetE0EEEvS11_.numbered_sgpr, 0
	.set _ZN7rocprim17ROCPRIM_400000_NS6detail17trampoline_kernelINS0_14default_configENS1_21merge_config_selectorINS0_5tupleIJxxEEENS0_10empty_typeEEEZNS1_10merge_implIS3_NS0_12zip_iteratorINS5_IJN6thrust23THRUST_200600_302600_NS6detail15normal_iteratorINSC_10device_ptrIKxEEEESI_EEEEESK_NSA_INS5_IJNSC_16discard_iteratorINSC_11use_defaultEEESN_EEEEEPS7_SQ_SQ_NSC_11hip_rocprim7__merge17predicate_wrapperIxxNSC_4lessIxEEEEEE10hipError_tPvRmT0_T1_T2_T3_T4_T5_mmT6_P12ihipStream_tbEUlT_E0_NS1_11comp_targetILNS1_3genE2ELNS1_11target_archE906ELNS1_3gpuE6ELNS1_3repE0EEENS1_30default_config_static_selectorELNS0_4arch9wavefront6targetE0EEEvS11_.num_named_barrier, 0
	.set _ZN7rocprim17ROCPRIM_400000_NS6detail17trampoline_kernelINS0_14default_configENS1_21merge_config_selectorINS0_5tupleIJxxEEENS0_10empty_typeEEEZNS1_10merge_implIS3_NS0_12zip_iteratorINS5_IJN6thrust23THRUST_200600_302600_NS6detail15normal_iteratorINSC_10device_ptrIKxEEEESI_EEEEESK_NSA_INS5_IJNSC_16discard_iteratorINSC_11use_defaultEEESN_EEEEEPS7_SQ_SQ_NSC_11hip_rocprim7__merge17predicate_wrapperIxxNSC_4lessIxEEEEEE10hipError_tPvRmT0_T1_T2_T3_T4_T5_mmT6_P12ihipStream_tbEUlT_E0_NS1_11comp_targetILNS1_3genE2ELNS1_11target_archE906ELNS1_3gpuE6ELNS1_3repE0EEENS1_30default_config_static_selectorELNS0_4arch9wavefront6targetE0EEEvS11_.private_seg_size, 0
	.set _ZN7rocprim17ROCPRIM_400000_NS6detail17trampoline_kernelINS0_14default_configENS1_21merge_config_selectorINS0_5tupleIJxxEEENS0_10empty_typeEEEZNS1_10merge_implIS3_NS0_12zip_iteratorINS5_IJN6thrust23THRUST_200600_302600_NS6detail15normal_iteratorINSC_10device_ptrIKxEEEESI_EEEEESK_NSA_INS5_IJNSC_16discard_iteratorINSC_11use_defaultEEESN_EEEEEPS7_SQ_SQ_NSC_11hip_rocprim7__merge17predicate_wrapperIxxNSC_4lessIxEEEEEE10hipError_tPvRmT0_T1_T2_T3_T4_T5_mmT6_P12ihipStream_tbEUlT_E0_NS1_11comp_targetILNS1_3genE2ELNS1_11target_archE906ELNS1_3gpuE6ELNS1_3repE0EEENS1_30default_config_static_selectorELNS0_4arch9wavefront6targetE0EEEvS11_.uses_vcc, 0
	.set _ZN7rocprim17ROCPRIM_400000_NS6detail17trampoline_kernelINS0_14default_configENS1_21merge_config_selectorINS0_5tupleIJxxEEENS0_10empty_typeEEEZNS1_10merge_implIS3_NS0_12zip_iteratorINS5_IJN6thrust23THRUST_200600_302600_NS6detail15normal_iteratorINSC_10device_ptrIKxEEEESI_EEEEESK_NSA_INS5_IJNSC_16discard_iteratorINSC_11use_defaultEEESN_EEEEEPS7_SQ_SQ_NSC_11hip_rocprim7__merge17predicate_wrapperIxxNSC_4lessIxEEEEEE10hipError_tPvRmT0_T1_T2_T3_T4_T5_mmT6_P12ihipStream_tbEUlT_E0_NS1_11comp_targetILNS1_3genE2ELNS1_11target_archE906ELNS1_3gpuE6ELNS1_3repE0EEENS1_30default_config_static_selectorELNS0_4arch9wavefront6targetE0EEEvS11_.uses_flat_scratch, 0
	.set _ZN7rocprim17ROCPRIM_400000_NS6detail17trampoline_kernelINS0_14default_configENS1_21merge_config_selectorINS0_5tupleIJxxEEENS0_10empty_typeEEEZNS1_10merge_implIS3_NS0_12zip_iteratorINS5_IJN6thrust23THRUST_200600_302600_NS6detail15normal_iteratorINSC_10device_ptrIKxEEEESI_EEEEESK_NSA_INS5_IJNSC_16discard_iteratorINSC_11use_defaultEEESN_EEEEEPS7_SQ_SQ_NSC_11hip_rocprim7__merge17predicate_wrapperIxxNSC_4lessIxEEEEEE10hipError_tPvRmT0_T1_T2_T3_T4_T5_mmT6_P12ihipStream_tbEUlT_E0_NS1_11comp_targetILNS1_3genE2ELNS1_11target_archE906ELNS1_3gpuE6ELNS1_3repE0EEENS1_30default_config_static_selectorELNS0_4arch9wavefront6targetE0EEEvS11_.has_dyn_sized_stack, 0
	.set _ZN7rocprim17ROCPRIM_400000_NS6detail17trampoline_kernelINS0_14default_configENS1_21merge_config_selectorINS0_5tupleIJxxEEENS0_10empty_typeEEEZNS1_10merge_implIS3_NS0_12zip_iteratorINS5_IJN6thrust23THRUST_200600_302600_NS6detail15normal_iteratorINSC_10device_ptrIKxEEEESI_EEEEESK_NSA_INS5_IJNSC_16discard_iteratorINSC_11use_defaultEEESN_EEEEEPS7_SQ_SQ_NSC_11hip_rocprim7__merge17predicate_wrapperIxxNSC_4lessIxEEEEEE10hipError_tPvRmT0_T1_T2_T3_T4_T5_mmT6_P12ihipStream_tbEUlT_E0_NS1_11comp_targetILNS1_3genE2ELNS1_11target_archE906ELNS1_3gpuE6ELNS1_3repE0EEENS1_30default_config_static_selectorELNS0_4arch9wavefront6targetE0EEEvS11_.has_recursion, 0
	.set _ZN7rocprim17ROCPRIM_400000_NS6detail17trampoline_kernelINS0_14default_configENS1_21merge_config_selectorINS0_5tupleIJxxEEENS0_10empty_typeEEEZNS1_10merge_implIS3_NS0_12zip_iteratorINS5_IJN6thrust23THRUST_200600_302600_NS6detail15normal_iteratorINSC_10device_ptrIKxEEEESI_EEEEESK_NSA_INS5_IJNSC_16discard_iteratorINSC_11use_defaultEEESN_EEEEEPS7_SQ_SQ_NSC_11hip_rocprim7__merge17predicate_wrapperIxxNSC_4lessIxEEEEEE10hipError_tPvRmT0_T1_T2_T3_T4_T5_mmT6_P12ihipStream_tbEUlT_E0_NS1_11comp_targetILNS1_3genE2ELNS1_11target_archE906ELNS1_3gpuE6ELNS1_3repE0EEENS1_30default_config_static_selectorELNS0_4arch9wavefront6targetE0EEEvS11_.has_indirect_call, 0
	.section	.AMDGPU.csdata,"",@progbits
; Kernel info:
; codeLenInByte = 0
; TotalNumSgprs: 0
; NumVgprs: 0
; ScratchSize: 0
; MemoryBound: 0
; FloatMode: 240
; IeeeMode: 1
; LDSByteSize: 0 bytes/workgroup (compile time only)
; SGPRBlocks: 0
; VGPRBlocks: 0
; NumSGPRsForWavesPerEU: 1
; NumVGPRsForWavesPerEU: 1
; Occupancy: 16
; WaveLimiterHint : 0
; COMPUTE_PGM_RSRC2:SCRATCH_EN: 0
; COMPUTE_PGM_RSRC2:USER_SGPR: 6
; COMPUTE_PGM_RSRC2:TRAP_HANDLER: 0
; COMPUTE_PGM_RSRC2:TGID_X_EN: 1
; COMPUTE_PGM_RSRC2:TGID_Y_EN: 0
; COMPUTE_PGM_RSRC2:TGID_Z_EN: 0
; COMPUTE_PGM_RSRC2:TIDIG_COMP_CNT: 0
	.section	.text._ZN7rocprim17ROCPRIM_400000_NS6detail17trampoline_kernelINS0_14default_configENS1_21merge_config_selectorINS0_5tupleIJxxEEENS0_10empty_typeEEEZNS1_10merge_implIS3_NS0_12zip_iteratorINS5_IJN6thrust23THRUST_200600_302600_NS6detail15normal_iteratorINSC_10device_ptrIKxEEEESI_EEEEESK_NSA_INS5_IJNSC_16discard_iteratorINSC_11use_defaultEEESN_EEEEEPS7_SQ_SQ_NSC_11hip_rocprim7__merge17predicate_wrapperIxxNSC_4lessIxEEEEEE10hipError_tPvRmT0_T1_T2_T3_T4_T5_mmT6_P12ihipStream_tbEUlT_E0_NS1_11comp_targetILNS1_3genE10ELNS1_11target_archE1201ELNS1_3gpuE5ELNS1_3repE0EEENS1_30default_config_static_selectorELNS0_4arch9wavefront6targetE0EEEvS11_,"axG",@progbits,_ZN7rocprim17ROCPRIM_400000_NS6detail17trampoline_kernelINS0_14default_configENS1_21merge_config_selectorINS0_5tupleIJxxEEENS0_10empty_typeEEEZNS1_10merge_implIS3_NS0_12zip_iteratorINS5_IJN6thrust23THRUST_200600_302600_NS6detail15normal_iteratorINSC_10device_ptrIKxEEEESI_EEEEESK_NSA_INS5_IJNSC_16discard_iteratorINSC_11use_defaultEEESN_EEEEEPS7_SQ_SQ_NSC_11hip_rocprim7__merge17predicate_wrapperIxxNSC_4lessIxEEEEEE10hipError_tPvRmT0_T1_T2_T3_T4_T5_mmT6_P12ihipStream_tbEUlT_E0_NS1_11comp_targetILNS1_3genE10ELNS1_11target_archE1201ELNS1_3gpuE5ELNS1_3repE0EEENS1_30default_config_static_selectorELNS0_4arch9wavefront6targetE0EEEvS11_,comdat
	.protected	_ZN7rocprim17ROCPRIM_400000_NS6detail17trampoline_kernelINS0_14default_configENS1_21merge_config_selectorINS0_5tupleIJxxEEENS0_10empty_typeEEEZNS1_10merge_implIS3_NS0_12zip_iteratorINS5_IJN6thrust23THRUST_200600_302600_NS6detail15normal_iteratorINSC_10device_ptrIKxEEEESI_EEEEESK_NSA_INS5_IJNSC_16discard_iteratorINSC_11use_defaultEEESN_EEEEEPS7_SQ_SQ_NSC_11hip_rocprim7__merge17predicate_wrapperIxxNSC_4lessIxEEEEEE10hipError_tPvRmT0_T1_T2_T3_T4_T5_mmT6_P12ihipStream_tbEUlT_E0_NS1_11comp_targetILNS1_3genE10ELNS1_11target_archE1201ELNS1_3gpuE5ELNS1_3repE0EEENS1_30default_config_static_selectorELNS0_4arch9wavefront6targetE0EEEvS11_ ; -- Begin function _ZN7rocprim17ROCPRIM_400000_NS6detail17trampoline_kernelINS0_14default_configENS1_21merge_config_selectorINS0_5tupleIJxxEEENS0_10empty_typeEEEZNS1_10merge_implIS3_NS0_12zip_iteratorINS5_IJN6thrust23THRUST_200600_302600_NS6detail15normal_iteratorINSC_10device_ptrIKxEEEESI_EEEEESK_NSA_INS5_IJNSC_16discard_iteratorINSC_11use_defaultEEESN_EEEEEPS7_SQ_SQ_NSC_11hip_rocprim7__merge17predicate_wrapperIxxNSC_4lessIxEEEEEE10hipError_tPvRmT0_T1_T2_T3_T4_T5_mmT6_P12ihipStream_tbEUlT_E0_NS1_11comp_targetILNS1_3genE10ELNS1_11target_archE1201ELNS1_3gpuE5ELNS1_3repE0EEENS1_30default_config_static_selectorELNS0_4arch9wavefront6targetE0EEEvS11_
	.globl	_ZN7rocprim17ROCPRIM_400000_NS6detail17trampoline_kernelINS0_14default_configENS1_21merge_config_selectorINS0_5tupleIJxxEEENS0_10empty_typeEEEZNS1_10merge_implIS3_NS0_12zip_iteratorINS5_IJN6thrust23THRUST_200600_302600_NS6detail15normal_iteratorINSC_10device_ptrIKxEEEESI_EEEEESK_NSA_INS5_IJNSC_16discard_iteratorINSC_11use_defaultEEESN_EEEEEPS7_SQ_SQ_NSC_11hip_rocprim7__merge17predicate_wrapperIxxNSC_4lessIxEEEEEE10hipError_tPvRmT0_T1_T2_T3_T4_T5_mmT6_P12ihipStream_tbEUlT_E0_NS1_11comp_targetILNS1_3genE10ELNS1_11target_archE1201ELNS1_3gpuE5ELNS1_3repE0EEENS1_30default_config_static_selectorELNS0_4arch9wavefront6targetE0EEEvS11_
	.p2align	8
	.type	_ZN7rocprim17ROCPRIM_400000_NS6detail17trampoline_kernelINS0_14default_configENS1_21merge_config_selectorINS0_5tupleIJxxEEENS0_10empty_typeEEEZNS1_10merge_implIS3_NS0_12zip_iteratorINS5_IJN6thrust23THRUST_200600_302600_NS6detail15normal_iteratorINSC_10device_ptrIKxEEEESI_EEEEESK_NSA_INS5_IJNSC_16discard_iteratorINSC_11use_defaultEEESN_EEEEEPS7_SQ_SQ_NSC_11hip_rocprim7__merge17predicate_wrapperIxxNSC_4lessIxEEEEEE10hipError_tPvRmT0_T1_T2_T3_T4_T5_mmT6_P12ihipStream_tbEUlT_E0_NS1_11comp_targetILNS1_3genE10ELNS1_11target_archE1201ELNS1_3gpuE5ELNS1_3repE0EEENS1_30default_config_static_selectorELNS0_4arch9wavefront6targetE0EEEvS11_,@function
_ZN7rocprim17ROCPRIM_400000_NS6detail17trampoline_kernelINS0_14default_configENS1_21merge_config_selectorINS0_5tupleIJxxEEENS0_10empty_typeEEEZNS1_10merge_implIS3_NS0_12zip_iteratorINS5_IJN6thrust23THRUST_200600_302600_NS6detail15normal_iteratorINSC_10device_ptrIKxEEEESI_EEEEESK_NSA_INS5_IJNSC_16discard_iteratorINSC_11use_defaultEEESN_EEEEEPS7_SQ_SQ_NSC_11hip_rocprim7__merge17predicate_wrapperIxxNSC_4lessIxEEEEEE10hipError_tPvRmT0_T1_T2_T3_T4_T5_mmT6_P12ihipStream_tbEUlT_E0_NS1_11comp_targetILNS1_3genE10ELNS1_11target_archE1201ELNS1_3gpuE5ELNS1_3repE0EEENS1_30default_config_static_selectorELNS0_4arch9wavefront6targetE0EEEvS11_: ; @_ZN7rocprim17ROCPRIM_400000_NS6detail17trampoline_kernelINS0_14default_configENS1_21merge_config_selectorINS0_5tupleIJxxEEENS0_10empty_typeEEEZNS1_10merge_implIS3_NS0_12zip_iteratorINS5_IJN6thrust23THRUST_200600_302600_NS6detail15normal_iteratorINSC_10device_ptrIKxEEEESI_EEEEESK_NSA_INS5_IJNSC_16discard_iteratorINSC_11use_defaultEEESN_EEEEEPS7_SQ_SQ_NSC_11hip_rocprim7__merge17predicate_wrapperIxxNSC_4lessIxEEEEEE10hipError_tPvRmT0_T1_T2_T3_T4_T5_mmT6_P12ihipStream_tbEUlT_E0_NS1_11comp_targetILNS1_3genE10ELNS1_11target_archE1201ELNS1_3gpuE5ELNS1_3repE0EEENS1_30default_config_static_selectorELNS0_4arch9wavefront6targetE0EEEvS11_
; %bb.0:
	.section	.rodata,"a",@progbits
	.p2align	6, 0x0
	.amdhsa_kernel _ZN7rocprim17ROCPRIM_400000_NS6detail17trampoline_kernelINS0_14default_configENS1_21merge_config_selectorINS0_5tupleIJxxEEENS0_10empty_typeEEEZNS1_10merge_implIS3_NS0_12zip_iteratorINS5_IJN6thrust23THRUST_200600_302600_NS6detail15normal_iteratorINSC_10device_ptrIKxEEEESI_EEEEESK_NSA_INS5_IJNSC_16discard_iteratorINSC_11use_defaultEEESN_EEEEEPS7_SQ_SQ_NSC_11hip_rocprim7__merge17predicate_wrapperIxxNSC_4lessIxEEEEEE10hipError_tPvRmT0_T1_T2_T3_T4_T5_mmT6_P12ihipStream_tbEUlT_E0_NS1_11comp_targetILNS1_3genE10ELNS1_11target_archE1201ELNS1_3gpuE5ELNS1_3repE0EEENS1_30default_config_static_selectorELNS0_4arch9wavefront6targetE0EEEvS11_
		.amdhsa_group_segment_fixed_size 0
		.amdhsa_private_segment_fixed_size 0
		.amdhsa_kernarg_size 128
		.amdhsa_user_sgpr_count 6
		.amdhsa_user_sgpr_private_segment_buffer 1
		.amdhsa_user_sgpr_dispatch_ptr 0
		.amdhsa_user_sgpr_queue_ptr 0
		.amdhsa_user_sgpr_kernarg_segment_ptr 1
		.amdhsa_user_sgpr_dispatch_id 0
		.amdhsa_user_sgpr_flat_scratch_init 0
		.amdhsa_user_sgpr_private_segment_size 0
		.amdhsa_wavefront_size32 1
		.amdhsa_uses_dynamic_stack 0
		.amdhsa_system_sgpr_private_segment_wavefront_offset 0
		.amdhsa_system_sgpr_workgroup_id_x 1
		.amdhsa_system_sgpr_workgroup_id_y 0
		.amdhsa_system_sgpr_workgroup_id_z 0
		.amdhsa_system_sgpr_workgroup_info 0
		.amdhsa_system_vgpr_workitem_id 0
		.amdhsa_next_free_vgpr 1
		.amdhsa_next_free_sgpr 1
		.amdhsa_reserve_vcc 0
		.amdhsa_reserve_flat_scratch 0
		.amdhsa_float_round_mode_32 0
		.amdhsa_float_round_mode_16_64 0
		.amdhsa_float_denorm_mode_32 3
		.amdhsa_float_denorm_mode_16_64 3
		.amdhsa_dx10_clamp 1
		.amdhsa_ieee_mode 1
		.amdhsa_fp16_overflow 0
		.amdhsa_workgroup_processor_mode 1
		.amdhsa_memory_ordered 1
		.amdhsa_forward_progress 1
		.amdhsa_shared_vgpr_count 0
		.amdhsa_exception_fp_ieee_invalid_op 0
		.amdhsa_exception_fp_denorm_src 0
		.amdhsa_exception_fp_ieee_div_zero 0
		.amdhsa_exception_fp_ieee_overflow 0
		.amdhsa_exception_fp_ieee_underflow 0
		.amdhsa_exception_fp_ieee_inexact 0
		.amdhsa_exception_int_div_zero 0
	.end_amdhsa_kernel
	.section	.text._ZN7rocprim17ROCPRIM_400000_NS6detail17trampoline_kernelINS0_14default_configENS1_21merge_config_selectorINS0_5tupleIJxxEEENS0_10empty_typeEEEZNS1_10merge_implIS3_NS0_12zip_iteratorINS5_IJN6thrust23THRUST_200600_302600_NS6detail15normal_iteratorINSC_10device_ptrIKxEEEESI_EEEEESK_NSA_INS5_IJNSC_16discard_iteratorINSC_11use_defaultEEESN_EEEEEPS7_SQ_SQ_NSC_11hip_rocprim7__merge17predicate_wrapperIxxNSC_4lessIxEEEEEE10hipError_tPvRmT0_T1_T2_T3_T4_T5_mmT6_P12ihipStream_tbEUlT_E0_NS1_11comp_targetILNS1_3genE10ELNS1_11target_archE1201ELNS1_3gpuE5ELNS1_3repE0EEENS1_30default_config_static_selectorELNS0_4arch9wavefront6targetE0EEEvS11_,"axG",@progbits,_ZN7rocprim17ROCPRIM_400000_NS6detail17trampoline_kernelINS0_14default_configENS1_21merge_config_selectorINS0_5tupleIJxxEEENS0_10empty_typeEEEZNS1_10merge_implIS3_NS0_12zip_iteratorINS5_IJN6thrust23THRUST_200600_302600_NS6detail15normal_iteratorINSC_10device_ptrIKxEEEESI_EEEEESK_NSA_INS5_IJNSC_16discard_iteratorINSC_11use_defaultEEESN_EEEEEPS7_SQ_SQ_NSC_11hip_rocprim7__merge17predicate_wrapperIxxNSC_4lessIxEEEEEE10hipError_tPvRmT0_T1_T2_T3_T4_T5_mmT6_P12ihipStream_tbEUlT_E0_NS1_11comp_targetILNS1_3genE10ELNS1_11target_archE1201ELNS1_3gpuE5ELNS1_3repE0EEENS1_30default_config_static_selectorELNS0_4arch9wavefront6targetE0EEEvS11_,comdat
.Lfunc_end583:
	.size	_ZN7rocprim17ROCPRIM_400000_NS6detail17trampoline_kernelINS0_14default_configENS1_21merge_config_selectorINS0_5tupleIJxxEEENS0_10empty_typeEEEZNS1_10merge_implIS3_NS0_12zip_iteratorINS5_IJN6thrust23THRUST_200600_302600_NS6detail15normal_iteratorINSC_10device_ptrIKxEEEESI_EEEEESK_NSA_INS5_IJNSC_16discard_iteratorINSC_11use_defaultEEESN_EEEEEPS7_SQ_SQ_NSC_11hip_rocprim7__merge17predicate_wrapperIxxNSC_4lessIxEEEEEE10hipError_tPvRmT0_T1_T2_T3_T4_T5_mmT6_P12ihipStream_tbEUlT_E0_NS1_11comp_targetILNS1_3genE10ELNS1_11target_archE1201ELNS1_3gpuE5ELNS1_3repE0EEENS1_30default_config_static_selectorELNS0_4arch9wavefront6targetE0EEEvS11_, .Lfunc_end583-_ZN7rocprim17ROCPRIM_400000_NS6detail17trampoline_kernelINS0_14default_configENS1_21merge_config_selectorINS0_5tupleIJxxEEENS0_10empty_typeEEEZNS1_10merge_implIS3_NS0_12zip_iteratorINS5_IJN6thrust23THRUST_200600_302600_NS6detail15normal_iteratorINSC_10device_ptrIKxEEEESI_EEEEESK_NSA_INS5_IJNSC_16discard_iteratorINSC_11use_defaultEEESN_EEEEEPS7_SQ_SQ_NSC_11hip_rocprim7__merge17predicate_wrapperIxxNSC_4lessIxEEEEEE10hipError_tPvRmT0_T1_T2_T3_T4_T5_mmT6_P12ihipStream_tbEUlT_E0_NS1_11comp_targetILNS1_3genE10ELNS1_11target_archE1201ELNS1_3gpuE5ELNS1_3repE0EEENS1_30default_config_static_selectorELNS0_4arch9wavefront6targetE0EEEvS11_
                                        ; -- End function
	.set _ZN7rocprim17ROCPRIM_400000_NS6detail17trampoline_kernelINS0_14default_configENS1_21merge_config_selectorINS0_5tupleIJxxEEENS0_10empty_typeEEEZNS1_10merge_implIS3_NS0_12zip_iteratorINS5_IJN6thrust23THRUST_200600_302600_NS6detail15normal_iteratorINSC_10device_ptrIKxEEEESI_EEEEESK_NSA_INS5_IJNSC_16discard_iteratorINSC_11use_defaultEEESN_EEEEEPS7_SQ_SQ_NSC_11hip_rocprim7__merge17predicate_wrapperIxxNSC_4lessIxEEEEEE10hipError_tPvRmT0_T1_T2_T3_T4_T5_mmT6_P12ihipStream_tbEUlT_E0_NS1_11comp_targetILNS1_3genE10ELNS1_11target_archE1201ELNS1_3gpuE5ELNS1_3repE0EEENS1_30default_config_static_selectorELNS0_4arch9wavefront6targetE0EEEvS11_.num_vgpr, 0
	.set _ZN7rocprim17ROCPRIM_400000_NS6detail17trampoline_kernelINS0_14default_configENS1_21merge_config_selectorINS0_5tupleIJxxEEENS0_10empty_typeEEEZNS1_10merge_implIS3_NS0_12zip_iteratorINS5_IJN6thrust23THRUST_200600_302600_NS6detail15normal_iteratorINSC_10device_ptrIKxEEEESI_EEEEESK_NSA_INS5_IJNSC_16discard_iteratorINSC_11use_defaultEEESN_EEEEEPS7_SQ_SQ_NSC_11hip_rocprim7__merge17predicate_wrapperIxxNSC_4lessIxEEEEEE10hipError_tPvRmT0_T1_T2_T3_T4_T5_mmT6_P12ihipStream_tbEUlT_E0_NS1_11comp_targetILNS1_3genE10ELNS1_11target_archE1201ELNS1_3gpuE5ELNS1_3repE0EEENS1_30default_config_static_selectorELNS0_4arch9wavefront6targetE0EEEvS11_.num_agpr, 0
	.set _ZN7rocprim17ROCPRIM_400000_NS6detail17trampoline_kernelINS0_14default_configENS1_21merge_config_selectorINS0_5tupleIJxxEEENS0_10empty_typeEEEZNS1_10merge_implIS3_NS0_12zip_iteratorINS5_IJN6thrust23THRUST_200600_302600_NS6detail15normal_iteratorINSC_10device_ptrIKxEEEESI_EEEEESK_NSA_INS5_IJNSC_16discard_iteratorINSC_11use_defaultEEESN_EEEEEPS7_SQ_SQ_NSC_11hip_rocprim7__merge17predicate_wrapperIxxNSC_4lessIxEEEEEE10hipError_tPvRmT0_T1_T2_T3_T4_T5_mmT6_P12ihipStream_tbEUlT_E0_NS1_11comp_targetILNS1_3genE10ELNS1_11target_archE1201ELNS1_3gpuE5ELNS1_3repE0EEENS1_30default_config_static_selectorELNS0_4arch9wavefront6targetE0EEEvS11_.numbered_sgpr, 0
	.set _ZN7rocprim17ROCPRIM_400000_NS6detail17trampoline_kernelINS0_14default_configENS1_21merge_config_selectorINS0_5tupleIJxxEEENS0_10empty_typeEEEZNS1_10merge_implIS3_NS0_12zip_iteratorINS5_IJN6thrust23THRUST_200600_302600_NS6detail15normal_iteratorINSC_10device_ptrIKxEEEESI_EEEEESK_NSA_INS5_IJNSC_16discard_iteratorINSC_11use_defaultEEESN_EEEEEPS7_SQ_SQ_NSC_11hip_rocprim7__merge17predicate_wrapperIxxNSC_4lessIxEEEEEE10hipError_tPvRmT0_T1_T2_T3_T4_T5_mmT6_P12ihipStream_tbEUlT_E0_NS1_11comp_targetILNS1_3genE10ELNS1_11target_archE1201ELNS1_3gpuE5ELNS1_3repE0EEENS1_30default_config_static_selectorELNS0_4arch9wavefront6targetE0EEEvS11_.num_named_barrier, 0
	.set _ZN7rocprim17ROCPRIM_400000_NS6detail17trampoline_kernelINS0_14default_configENS1_21merge_config_selectorINS0_5tupleIJxxEEENS0_10empty_typeEEEZNS1_10merge_implIS3_NS0_12zip_iteratorINS5_IJN6thrust23THRUST_200600_302600_NS6detail15normal_iteratorINSC_10device_ptrIKxEEEESI_EEEEESK_NSA_INS5_IJNSC_16discard_iteratorINSC_11use_defaultEEESN_EEEEEPS7_SQ_SQ_NSC_11hip_rocprim7__merge17predicate_wrapperIxxNSC_4lessIxEEEEEE10hipError_tPvRmT0_T1_T2_T3_T4_T5_mmT6_P12ihipStream_tbEUlT_E0_NS1_11comp_targetILNS1_3genE10ELNS1_11target_archE1201ELNS1_3gpuE5ELNS1_3repE0EEENS1_30default_config_static_selectorELNS0_4arch9wavefront6targetE0EEEvS11_.private_seg_size, 0
	.set _ZN7rocprim17ROCPRIM_400000_NS6detail17trampoline_kernelINS0_14default_configENS1_21merge_config_selectorINS0_5tupleIJxxEEENS0_10empty_typeEEEZNS1_10merge_implIS3_NS0_12zip_iteratorINS5_IJN6thrust23THRUST_200600_302600_NS6detail15normal_iteratorINSC_10device_ptrIKxEEEESI_EEEEESK_NSA_INS5_IJNSC_16discard_iteratorINSC_11use_defaultEEESN_EEEEEPS7_SQ_SQ_NSC_11hip_rocprim7__merge17predicate_wrapperIxxNSC_4lessIxEEEEEE10hipError_tPvRmT0_T1_T2_T3_T4_T5_mmT6_P12ihipStream_tbEUlT_E0_NS1_11comp_targetILNS1_3genE10ELNS1_11target_archE1201ELNS1_3gpuE5ELNS1_3repE0EEENS1_30default_config_static_selectorELNS0_4arch9wavefront6targetE0EEEvS11_.uses_vcc, 0
	.set _ZN7rocprim17ROCPRIM_400000_NS6detail17trampoline_kernelINS0_14default_configENS1_21merge_config_selectorINS0_5tupleIJxxEEENS0_10empty_typeEEEZNS1_10merge_implIS3_NS0_12zip_iteratorINS5_IJN6thrust23THRUST_200600_302600_NS6detail15normal_iteratorINSC_10device_ptrIKxEEEESI_EEEEESK_NSA_INS5_IJNSC_16discard_iteratorINSC_11use_defaultEEESN_EEEEEPS7_SQ_SQ_NSC_11hip_rocprim7__merge17predicate_wrapperIxxNSC_4lessIxEEEEEE10hipError_tPvRmT0_T1_T2_T3_T4_T5_mmT6_P12ihipStream_tbEUlT_E0_NS1_11comp_targetILNS1_3genE10ELNS1_11target_archE1201ELNS1_3gpuE5ELNS1_3repE0EEENS1_30default_config_static_selectorELNS0_4arch9wavefront6targetE0EEEvS11_.uses_flat_scratch, 0
	.set _ZN7rocprim17ROCPRIM_400000_NS6detail17trampoline_kernelINS0_14default_configENS1_21merge_config_selectorINS0_5tupleIJxxEEENS0_10empty_typeEEEZNS1_10merge_implIS3_NS0_12zip_iteratorINS5_IJN6thrust23THRUST_200600_302600_NS6detail15normal_iteratorINSC_10device_ptrIKxEEEESI_EEEEESK_NSA_INS5_IJNSC_16discard_iteratorINSC_11use_defaultEEESN_EEEEEPS7_SQ_SQ_NSC_11hip_rocprim7__merge17predicate_wrapperIxxNSC_4lessIxEEEEEE10hipError_tPvRmT0_T1_T2_T3_T4_T5_mmT6_P12ihipStream_tbEUlT_E0_NS1_11comp_targetILNS1_3genE10ELNS1_11target_archE1201ELNS1_3gpuE5ELNS1_3repE0EEENS1_30default_config_static_selectorELNS0_4arch9wavefront6targetE0EEEvS11_.has_dyn_sized_stack, 0
	.set _ZN7rocprim17ROCPRIM_400000_NS6detail17trampoline_kernelINS0_14default_configENS1_21merge_config_selectorINS0_5tupleIJxxEEENS0_10empty_typeEEEZNS1_10merge_implIS3_NS0_12zip_iteratorINS5_IJN6thrust23THRUST_200600_302600_NS6detail15normal_iteratorINSC_10device_ptrIKxEEEESI_EEEEESK_NSA_INS5_IJNSC_16discard_iteratorINSC_11use_defaultEEESN_EEEEEPS7_SQ_SQ_NSC_11hip_rocprim7__merge17predicate_wrapperIxxNSC_4lessIxEEEEEE10hipError_tPvRmT0_T1_T2_T3_T4_T5_mmT6_P12ihipStream_tbEUlT_E0_NS1_11comp_targetILNS1_3genE10ELNS1_11target_archE1201ELNS1_3gpuE5ELNS1_3repE0EEENS1_30default_config_static_selectorELNS0_4arch9wavefront6targetE0EEEvS11_.has_recursion, 0
	.set _ZN7rocprim17ROCPRIM_400000_NS6detail17trampoline_kernelINS0_14default_configENS1_21merge_config_selectorINS0_5tupleIJxxEEENS0_10empty_typeEEEZNS1_10merge_implIS3_NS0_12zip_iteratorINS5_IJN6thrust23THRUST_200600_302600_NS6detail15normal_iteratorINSC_10device_ptrIKxEEEESI_EEEEESK_NSA_INS5_IJNSC_16discard_iteratorINSC_11use_defaultEEESN_EEEEEPS7_SQ_SQ_NSC_11hip_rocprim7__merge17predicate_wrapperIxxNSC_4lessIxEEEEEE10hipError_tPvRmT0_T1_T2_T3_T4_T5_mmT6_P12ihipStream_tbEUlT_E0_NS1_11comp_targetILNS1_3genE10ELNS1_11target_archE1201ELNS1_3gpuE5ELNS1_3repE0EEENS1_30default_config_static_selectorELNS0_4arch9wavefront6targetE0EEEvS11_.has_indirect_call, 0
	.section	.AMDGPU.csdata,"",@progbits
; Kernel info:
; codeLenInByte = 0
; TotalNumSgprs: 0
; NumVgprs: 0
; ScratchSize: 0
; MemoryBound: 0
; FloatMode: 240
; IeeeMode: 1
; LDSByteSize: 0 bytes/workgroup (compile time only)
; SGPRBlocks: 0
; VGPRBlocks: 0
; NumSGPRsForWavesPerEU: 1
; NumVGPRsForWavesPerEU: 1
; Occupancy: 16
; WaveLimiterHint : 0
; COMPUTE_PGM_RSRC2:SCRATCH_EN: 0
; COMPUTE_PGM_RSRC2:USER_SGPR: 6
; COMPUTE_PGM_RSRC2:TRAP_HANDLER: 0
; COMPUTE_PGM_RSRC2:TGID_X_EN: 1
; COMPUTE_PGM_RSRC2:TGID_Y_EN: 0
; COMPUTE_PGM_RSRC2:TGID_Z_EN: 0
; COMPUTE_PGM_RSRC2:TIDIG_COMP_CNT: 0
	.section	.text._ZN7rocprim17ROCPRIM_400000_NS6detail17trampoline_kernelINS0_14default_configENS1_21merge_config_selectorINS0_5tupleIJxxEEENS0_10empty_typeEEEZNS1_10merge_implIS3_NS0_12zip_iteratorINS5_IJN6thrust23THRUST_200600_302600_NS6detail15normal_iteratorINSC_10device_ptrIKxEEEESI_EEEEESK_NSA_INS5_IJNSC_16discard_iteratorINSC_11use_defaultEEESN_EEEEEPS7_SQ_SQ_NSC_11hip_rocprim7__merge17predicate_wrapperIxxNSC_4lessIxEEEEEE10hipError_tPvRmT0_T1_T2_T3_T4_T5_mmT6_P12ihipStream_tbEUlT_E0_NS1_11comp_targetILNS1_3genE10ELNS1_11target_archE1200ELNS1_3gpuE4ELNS1_3repE0EEENS1_30default_config_static_selectorELNS0_4arch9wavefront6targetE0EEEvS11_,"axG",@progbits,_ZN7rocprim17ROCPRIM_400000_NS6detail17trampoline_kernelINS0_14default_configENS1_21merge_config_selectorINS0_5tupleIJxxEEENS0_10empty_typeEEEZNS1_10merge_implIS3_NS0_12zip_iteratorINS5_IJN6thrust23THRUST_200600_302600_NS6detail15normal_iteratorINSC_10device_ptrIKxEEEESI_EEEEESK_NSA_INS5_IJNSC_16discard_iteratorINSC_11use_defaultEEESN_EEEEEPS7_SQ_SQ_NSC_11hip_rocprim7__merge17predicate_wrapperIxxNSC_4lessIxEEEEEE10hipError_tPvRmT0_T1_T2_T3_T4_T5_mmT6_P12ihipStream_tbEUlT_E0_NS1_11comp_targetILNS1_3genE10ELNS1_11target_archE1200ELNS1_3gpuE4ELNS1_3repE0EEENS1_30default_config_static_selectorELNS0_4arch9wavefront6targetE0EEEvS11_,comdat
	.protected	_ZN7rocprim17ROCPRIM_400000_NS6detail17trampoline_kernelINS0_14default_configENS1_21merge_config_selectorINS0_5tupleIJxxEEENS0_10empty_typeEEEZNS1_10merge_implIS3_NS0_12zip_iteratorINS5_IJN6thrust23THRUST_200600_302600_NS6detail15normal_iteratorINSC_10device_ptrIKxEEEESI_EEEEESK_NSA_INS5_IJNSC_16discard_iteratorINSC_11use_defaultEEESN_EEEEEPS7_SQ_SQ_NSC_11hip_rocprim7__merge17predicate_wrapperIxxNSC_4lessIxEEEEEE10hipError_tPvRmT0_T1_T2_T3_T4_T5_mmT6_P12ihipStream_tbEUlT_E0_NS1_11comp_targetILNS1_3genE10ELNS1_11target_archE1200ELNS1_3gpuE4ELNS1_3repE0EEENS1_30default_config_static_selectorELNS0_4arch9wavefront6targetE0EEEvS11_ ; -- Begin function _ZN7rocprim17ROCPRIM_400000_NS6detail17trampoline_kernelINS0_14default_configENS1_21merge_config_selectorINS0_5tupleIJxxEEENS0_10empty_typeEEEZNS1_10merge_implIS3_NS0_12zip_iteratorINS5_IJN6thrust23THRUST_200600_302600_NS6detail15normal_iteratorINSC_10device_ptrIKxEEEESI_EEEEESK_NSA_INS5_IJNSC_16discard_iteratorINSC_11use_defaultEEESN_EEEEEPS7_SQ_SQ_NSC_11hip_rocprim7__merge17predicate_wrapperIxxNSC_4lessIxEEEEEE10hipError_tPvRmT0_T1_T2_T3_T4_T5_mmT6_P12ihipStream_tbEUlT_E0_NS1_11comp_targetILNS1_3genE10ELNS1_11target_archE1200ELNS1_3gpuE4ELNS1_3repE0EEENS1_30default_config_static_selectorELNS0_4arch9wavefront6targetE0EEEvS11_
	.globl	_ZN7rocprim17ROCPRIM_400000_NS6detail17trampoline_kernelINS0_14default_configENS1_21merge_config_selectorINS0_5tupleIJxxEEENS0_10empty_typeEEEZNS1_10merge_implIS3_NS0_12zip_iteratorINS5_IJN6thrust23THRUST_200600_302600_NS6detail15normal_iteratorINSC_10device_ptrIKxEEEESI_EEEEESK_NSA_INS5_IJNSC_16discard_iteratorINSC_11use_defaultEEESN_EEEEEPS7_SQ_SQ_NSC_11hip_rocprim7__merge17predicate_wrapperIxxNSC_4lessIxEEEEEE10hipError_tPvRmT0_T1_T2_T3_T4_T5_mmT6_P12ihipStream_tbEUlT_E0_NS1_11comp_targetILNS1_3genE10ELNS1_11target_archE1200ELNS1_3gpuE4ELNS1_3repE0EEENS1_30default_config_static_selectorELNS0_4arch9wavefront6targetE0EEEvS11_
	.p2align	8
	.type	_ZN7rocprim17ROCPRIM_400000_NS6detail17trampoline_kernelINS0_14default_configENS1_21merge_config_selectorINS0_5tupleIJxxEEENS0_10empty_typeEEEZNS1_10merge_implIS3_NS0_12zip_iteratorINS5_IJN6thrust23THRUST_200600_302600_NS6detail15normal_iteratorINSC_10device_ptrIKxEEEESI_EEEEESK_NSA_INS5_IJNSC_16discard_iteratorINSC_11use_defaultEEESN_EEEEEPS7_SQ_SQ_NSC_11hip_rocprim7__merge17predicate_wrapperIxxNSC_4lessIxEEEEEE10hipError_tPvRmT0_T1_T2_T3_T4_T5_mmT6_P12ihipStream_tbEUlT_E0_NS1_11comp_targetILNS1_3genE10ELNS1_11target_archE1200ELNS1_3gpuE4ELNS1_3repE0EEENS1_30default_config_static_selectorELNS0_4arch9wavefront6targetE0EEEvS11_,@function
_ZN7rocprim17ROCPRIM_400000_NS6detail17trampoline_kernelINS0_14default_configENS1_21merge_config_selectorINS0_5tupleIJxxEEENS0_10empty_typeEEEZNS1_10merge_implIS3_NS0_12zip_iteratorINS5_IJN6thrust23THRUST_200600_302600_NS6detail15normal_iteratorINSC_10device_ptrIKxEEEESI_EEEEESK_NSA_INS5_IJNSC_16discard_iteratorINSC_11use_defaultEEESN_EEEEEPS7_SQ_SQ_NSC_11hip_rocprim7__merge17predicate_wrapperIxxNSC_4lessIxEEEEEE10hipError_tPvRmT0_T1_T2_T3_T4_T5_mmT6_P12ihipStream_tbEUlT_E0_NS1_11comp_targetILNS1_3genE10ELNS1_11target_archE1200ELNS1_3gpuE4ELNS1_3repE0EEENS1_30default_config_static_selectorELNS0_4arch9wavefront6targetE0EEEvS11_: ; @_ZN7rocprim17ROCPRIM_400000_NS6detail17trampoline_kernelINS0_14default_configENS1_21merge_config_selectorINS0_5tupleIJxxEEENS0_10empty_typeEEEZNS1_10merge_implIS3_NS0_12zip_iteratorINS5_IJN6thrust23THRUST_200600_302600_NS6detail15normal_iteratorINSC_10device_ptrIKxEEEESI_EEEEESK_NSA_INS5_IJNSC_16discard_iteratorINSC_11use_defaultEEESN_EEEEEPS7_SQ_SQ_NSC_11hip_rocprim7__merge17predicate_wrapperIxxNSC_4lessIxEEEEEE10hipError_tPvRmT0_T1_T2_T3_T4_T5_mmT6_P12ihipStream_tbEUlT_E0_NS1_11comp_targetILNS1_3genE10ELNS1_11target_archE1200ELNS1_3gpuE4ELNS1_3repE0EEENS1_30default_config_static_selectorELNS0_4arch9wavefront6targetE0EEEvS11_
; %bb.0:
	.section	.rodata,"a",@progbits
	.p2align	6, 0x0
	.amdhsa_kernel _ZN7rocprim17ROCPRIM_400000_NS6detail17trampoline_kernelINS0_14default_configENS1_21merge_config_selectorINS0_5tupleIJxxEEENS0_10empty_typeEEEZNS1_10merge_implIS3_NS0_12zip_iteratorINS5_IJN6thrust23THRUST_200600_302600_NS6detail15normal_iteratorINSC_10device_ptrIKxEEEESI_EEEEESK_NSA_INS5_IJNSC_16discard_iteratorINSC_11use_defaultEEESN_EEEEEPS7_SQ_SQ_NSC_11hip_rocprim7__merge17predicate_wrapperIxxNSC_4lessIxEEEEEE10hipError_tPvRmT0_T1_T2_T3_T4_T5_mmT6_P12ihipStream_tbEUlT_E0_NS1_11comp_targetILNS1_3genE10ELNS1_11target_archE1200ELNS1_3gpuE4ELNS1_3repE0EEENS1_30default_config_static_selectorELNS0_4arch9wavefront6targetE0EEEvS11_
		.amdhsa_group_segment_fixed_size 0
		.amdhsa_private_segment_fixed_size 0
		.amdhsa_kernarg_size 128
		.amdhsa_user_sgpr_count 6
		.amdhsa_user_sgpr_private_segment_buffer 1
		.amdhsa_user_sgpr_dispatch_ptr 0
		.amdhsa_user_sgpr_queue_ptr 0
		.amdhsa_user_sgpr_kernarg_segment_ptr 1
		.amdhsa_user_sgpr_dispatch_id 0
		.amdhsa_user_sgpr_flat_scratch_init 0
		.amdhsa_user_sgpr_private_segment_size 0
		.amdhsa_wavefront_size32 1
		.amdhsa_uses_dynamic_stack 0
		.amdhsa_system_sgpr_private_segment_wavefront_offset 0
		.amdhsa_system_sgpr_workgroup_id_x 1
		.amdhsa_system_sgpr_workgroup_id_y 0
		.amdhsa_system_sgpr_workgroup_id_z 0
		.amdhsa_system_sgpr_workgroup_info 0
		.amdhsa_system_vgpr_workitem_id 0
		.amdhsa_next_free_vgpr 1
		.amdhsa_next_free_sgpr 1
		.amdhsa_reserve_vcc 0
		.amdhsa_reserve_flat_scratch 0
		.amdhsa_float_round_mode_32 0
		.amdhsa_float_round_mode_16_64 0
		.amdhsa_float_denorm_mode_32 3
		.amdhsa_float_denorm_mode_16_64 3
		.amdhsa_dx10_clamp 1
		.amdhsa_ieee_mode 1
		.amdhsa_fp16_overflow 0
		.amdhsa_workgroup_processor_mode 1
		.amdhsa_memory_ordered 1
		.amdhsa_forward_progress 1
		.amdhsa_shared_vgpr_count 0
		.amdhsa_exception_fp_ieee_invalid_op 0
		.amdhsa_exception_fp_denorm_src 0
		.amdhsa_exception_fp_ieee_div_zero 0
		.amdhsa_exception_fp_ieee_overflow 0
		.amdhsa_exception_fp_ieee_underflow 0
		.amdhsa_exception_fp_ieee_inexact 0
		.amdhsa_exception_int_div_zero 0
	.end_amdhsa_kernel
	.section	.text._ZN7rocprim17ROCPRIM_400000_NS6detail17trampoline_kernelINS0_14default_configENS1_21merge_config_selectorINS0_5tupleIJxxEEENS0_10empty_typeEEEZNS1_10merge_implIS3_NS0_12zip_iteratorINS5_IJN6thrust23THRUST_200600_302600_NS6detail15normal_iteratorINSC_10device_ptrIKxEEEESI_EEEEESK_NSA_INS5_IJNSC_16discard_iteratorINSC_11use_defaultEEESN_EEEEEPS7_SQ_SQ_NSC_11hip_rocprim7__merge17predicate_wrapperIxxNSC_4lessIxEEEEEE10hipError_tPvRmT0_T1_T2_T3_T4_T5_mmT6_P12ihipStream_tbEUlT_E0_NS1_11comp_targetILNS1_3genE10ELNS1_11target_archE1200ELNS1_3gpuE4ELNS1_3repE0EEENS1_30default_config_static_selectorELNS0_4arch9wavefront6targetE0EEEvS11_,"axG",@progbits,_ZN7rocprim17ROCPRIM_400000_NS6detail17trampoline_kernelINS0_14default_configENS1_21merge_config_selectorINS0_5tupleIJxxEEENS0_10empty_typeEEEZNS1_10merge_implIS3_NS0_12zip_iteratorINS5_IJN6thrust23THRUST_200600_302600_NS6detail15normal_iteratorINSC_10device_ptrIKxEEEESI_EEEEESK_NSA_INS5_IJNSC_16discard_iteratorINSC_11use_defaultEEESN_EEEEEPS7_SQ_SQ_NSC_11hip_rocprim7__merge17predicate_wrapperIxxNSC_4lessIxEEEEEE10hipError_tPvRmT0_T1_T2_T3_T4_T5_mmT6_P12ihipStream_tbEUlT_E0_NS1_11comp_targetILNS1_3genE10ELNS1_11target_archE1200ELNS1_3gpuE4ELNS1_3repE0EEENS1_30default_config_static_selectorELNS0_4arch9wavefront6targetE0EEEvS11_,comdat
.Lfunc_end584:
	.size	_ZN7rocprim17ROCPRIM_400000_NS6detail17trampoline_kernelINS0_14default_configENS1_21merge_config_selectorINS0_5tupleIJxxEEENS0_10empty_typeEEEZNS1_10merge_implIS3_NS0_12zip_iteratorINS5_IJN6thrust23THRUST_200600_302600_NS6detail15normal_iteratorINSC_10device_ptrIKxEEEESI_EEEEESK_NSA_INS5_IJNSC_16discard_iteratorINSC_11use_defaultEEESN_EEEEEPS7_SQ_SQ_NSC_11hip_rocprim7__merge17predicate_wrapperIxxNSC_4lessIxEEEEEE10hipError_tPvRmT0_T1_T2_T3_T4_T5_mmT6_P12ihipStream_tbEUlT_E0_NS1_11comp_targetILNS1_3genE10ELNS1_11target_archE1200ELNS1_3gpuE4ELNS1_3repE0EEENS1_30default_config_static_selectorELNS0_4arch9wavefront6targetE0EEEvS11_, .Lfunc_end584-_ZN7rocprim17ROCPRIM_400000_NS6detail17trampoline_kernelINS0_14default_configENS1_21merge_config_selectorINS0_5tupleIJxxEEENS0_10empty_typeEEEZNS1_10merge_implIS3_NS0_12zip_iteratorINS5_IJN6thrust23THRUST_200600_302600_NS6detail15normal_iteratorINSC_10device_ptrIKxEEEESI_EEEEESK_NSA_INS5_IJNSC_16discard_iteratorINSC_11use_defaultEEESN_EEEEEPS7_SQ_SQ_NSC_11hip_rocprim7__merge17predicate_wrapperIxxNSC_4lessIxEEEEEE10hipError_tPvRmT0_T1_T2_T3_T4_T5_mmT6_P12ihipStream_tbEUlT_E0_NS1_11comp_targetILNS1_3genE10ELNS1_11target_archE1200ELNS1_3gpuE4ELNS1_3repE0EEENS1_30default_config_static_selectorELNS0_4arch9wavefront6targetE0EEEvS11_
                                        ; -- End function
	.set _ZN7rocprim17ROCPRIM_400000_NS6detail17trampoline_kernelINS0_14default_configENS1_21merge_config_selectorINS0_5tupleIJxxEEENS0_10empty_typeEEEZNS1_10merge_implIS3_NS0_12zip_iteratorINS5_IJN6thrust23THRUST_200600_302600_NS6detail15normal_iteratorINSC_10device_ptrIKxEEEESI_EEEEESK_NSA_INS5_IJNSC_16discard_iteratorINSC_11use_defaultEEESN_EEEEEPS7_SQ_SQ_NSC_11hip_rocprim7__merge17predicate_wrapperIxxNSC_4lessIxEEEEEE10hipError_tPvRmT0_T1_T2_T3_T4_T5_mmT6_P12ihipStream_tbEUlT_E0_NS1_11comp_targetILNS1_3genE10ELNS1_11target_archE1200ELNS1_3gpuE4ELNS1_3repE0EEENS1_30default_config_static_selectorELNS0_4arch9wavefront6targetE0EEEvS11_.num_vgpr, 0
	.set _ZN7rocprim17ROCPRIM_400000_NS6detail17trampoline_kernelINS0_14default_configENS1_21merge_config_selectorINS0_5tupleIJxxEEENS0_10empty_typeEEEZNS1_10merge_implIS3_NS0_12zip_iteratorINS5_IJN6thrust23THRUST_200600_302600_NS6detail15normal_iteratorINSC_10device_ptrIKxEEEESI_EEEEESK_NSA_INS5_IJNSC_16discard_iteratorINSC_11use_defaultEEESN_EEEEEPS7_SQ_SQ_NSC_11hip_rocprim7__merge17predicate_wrapperIxxNSC_4lessIxEEEEEE10hipError_tPvRmT0_T1_T2_T3_T4_T5_mmT6_P12ihipStream_tbEUlT_E0_NS1_11comp_targetILNS1_3genE10ELNS1_11target_archE1200ELNS1_3gpuE4ELNS1_3repE0EEENS1_30default_config_static_selectorELNS0_4arch9wavefront6targetE0EEEvS11_.num_agpr, 0
	.set _ZN7rocprim17ROCPRIM_400000_NS6detail17trampoline_kernelINS0_14default_configENS1_21merge_config_selectorINS0_5tupleIJxxEEENS0_10empty_typeEEEZNS1_10merge_implIS3_NS0_12zip_iteratorINS5_IJN6thrust23THRUST_200600_302600_NS6detail15normal_iteratorINSC_10device_ptrIKxEEEESI_EEEEESK_NSA_INS5_IJNSC_16discard_iteratorINSC_11use_defaultEEESN_EEEEEPS7_SQ_SQ_NSC_11hip_rocprim7__merge17predicate_wrapperIxxNSC_4lessIxEEEEEE10hipError_tPvRmT0_T1_T2_T3_T4_T5_mmT6_P12ihipStream_tbEUlT_E0_NS1_11comp_targetILNS1_3genE10ELNS1_11target_archE1200ELNS1_3gpuE4ELNS1_3repE0EEENS1_30default_config_static_selectorELNS0_4arch9wavefront6targetE0EEEvS11_.numbered_sgpr, 0
	.set _ZN7rocprim17ROCPRIM_400000_NS6detail17trampoline_kernelINS0_14default_configENS1_21merge_config_selectorINS0_5tupleIJxxEEENS0_10empty_typeEEEZNS1_10merge_implIS3_NS0_12zip_iteratorINS5_IJN6thrust23THRUST_200600_302600_NS6detail15normal_iteratorINSC_10device_ptrIKxEEEESI_EEEEESK_NSA_INS5_IJNSC_16discard_iteratorINSC_11use_defaultEEESN_EEEEEPS7_SQ_SQ_NSC_11hip_rocprim7__merge17predicate_wrapperIxxNSC_4lessIxEEEEEE10hipError_tPvRmT0_T1_T2_T3_T4_T5_mmT6_P12ihipStream_tbEUlT_E0_NS1_11comp_targetILNS1_3genE10ELNS1_11target_archE1200ELNS1_3gpuE4ELNS1_3repE0EEENS1_30default_config_static_selectorELNS0_4arch9wavefront6targetE0EEEvS11_.num_named_barrier, 0
	.set _ZN7rocprim17ROCPRIM_400000_NS6detail17trampoline_kernelINS0_14default_configENS1_21merge_config_selectorINS0_5tupleIJxxEEENS0_10empty_typeEEEZNS1_10merge_implIS3_NS0_12zip_iteratorINS5_IJN6thrust23THRUST_200600_302600_NS6detail15normal_iteratorINSC_10device_ptrIKxEEEESI_EEEEESK_NSA_INS5_IJNSC_16discard_iteratorINSC_11use_defaultEEESN_EEEEEPS7_SQ_SQ_NSC_11hip_rocprim7__merge17predicate_wrapperIxxNSC_4lessIxEEEEEE10hipError_tPvRmT0_T1_T2_T3_T4_T5_mmT6_P12ihipStream_tbEUlT_E0_NS1_11comp_targetILNS1_3genE10ELNS1_11target_archE1200ELNS1_3gpuE4ELNS1_3repE0EEENS1_30default_config_static_selectorELNS0_4arch9wavefront6targetE0EEEvS11_.private_seg_size, 0
	.set _ZN7rocprim17ROCPRIM_400000_NS6detail17trampoline_kernelINS0_14default_configENS1_21merge_config_selectorINS0_5tupleIJxxEEENS0_10empty_typeEEEZNS1_10merge_implIS3_NS0_12zip_iteratorINS5_IJN6thrust23THRUST_200600_302600_NS6detail15normal_iteratorINSC_10device_ptrIKxEEEESI_EEEEESK_NSA_INS5_IJNSC_16discard_iteratorINSC_11use_defaultEEESN_EEEEEPS7_SQ_SQ_NSC_11hip_rocprim7__merge17predicate_wrapperIxxNSC_4lessIxEEEEEE10hipError_tPvRmT0_T1_T2_T3_T4_T5_mmT6_P12ihipStream_tbEUlT_E0_NS1_11comp_targetILNS1_3genE10ELNS1_11target_archE1200ELNS1_3gpuE4ELNS1_3repE0EEENS1_30default_config_static_selectorELNS0_4arch9wavefront6targetE0EEEvS11_.uses_vcc, 0
	.set _ZN7rocprim17ROCPRIM_400000_NS6detail17trampoline_kernelINS0_14default_configENS1_21merge_config_selectorINS0_5tupleIJxxEEENS0_10empty_typeEEEZNS1_10merge_implIS3_NS0_12zip_iteratorINS5_IJN6thrust23THRUST_200600_302600_NS6detail15normal_iteratorINSC_10device_ptrIKxEEEESI_EEEEESK_NSA_INS5_IJNSC_16discard_iteratorINSC_11use_defaultEEESN_EEEEEPS7_SQ_SQ_NSC_11hip_rocprim7__merge17predicate_wrapperIxxNSC_4lessIxEEEEEE10hipError_tPvRmT0_T1_T2_T3_T4_T5_mmT6_P12ihipStream_tbEUlT_E0_NS1_11comp_targetILNS1_3genE10ELNS1_11target_archE1200ELNS1_3gpuE4ELNS1_3repE0EEENS1_30default_config_static_selectorELNS0_4arch9wavefront6targetE0EEEvS11_.uses_flat_scratch, 0
	.set _ZN7rocprim17ROCPRIM_400000_NS6detail17trampoline_kernelINS0_14default_configENS1_21merge_config_selectorINS0_5tupleIJxxEEENS0_10empty_typeEEEZNS1_10merge_implIS3_NS0_12zip_iteratorINS5_IJN6thrust23THRUST_200600_302600_NS6detail15normal_iteratorINSC_10device_ptrIKxEEEESI_EEEEESK_NSA_INS5_IJNSC_16discard_iteratorINSC_11use_defaultEEESN_EEEEEPS7_SQ_SQ_NSC_11hip_rocprim7__merge17predicate_wrapperIxxNSC_4lessIxEEEEEE10hipError_tPvRmT0_T1_T2_T3_T4_T5_mmT6_P12ihipStream_tbEUlT_E0_NS1_11comp_targetILNS1_3genE10ELNS1_11target_archE1200ELNS1_3gpuE4ELNS1_3repE0EEENS1_30default_config_static_selectorELNS0_4arch9wavefront6targetE0EEEvS11_.has_dyn_sized_stack, 0
	.set _ZN7rocprim17ROCPRIM_400000_NS6detail17trampoline_kernelINS0_14default_configENS1_21merge_config_selectorINS0_5tupleIJxxEEENS0_10empty_typeEEEZNS1_10merge_implIS3_NS0_12zip_iteratorINS5_IJN6thrust23THRUST_200600_302600_NS6detail15normal_iteratorINSC_10device_ptrIKxEEEESI_EEEEESK_NSA_INS5_IJNSC_16discard_iteratorINSC_11use_defaultEEESN_EEEEEPS7_SQ_SQ_NSC_11hip_rocprim7__merge17predicate_wrapperIxxNSC_4lessIxEEEEEE10hipError_tPvRmT0_T1_T2_T3_T4_T5_mmT6_P12ihipStream_tbEUlT_E0_NS1_11comp_targetILNS1_3genE10ELNS1_11target_archE1200ELNS1_3gpuE4ELNS1_3repE0EEENS1_30default_config_static_selectorELNS0_4arch9wavefront6targetE0EEEvS11_.has_recursion, 0
	.set _ZN7rocprim17ROCPRIM_400000_NS6detail17trampoline_kernelINS0_14default_configENS1_21merge_config_selectorINS0_5tupleIJxxEEENS0_10empty_typeEEEZNS1_10merge_implIS3_NS0_12zip_iteratorINS5_IJN6thrust23THRUST_200600_302600_NS6detail15normal_iteratorINSC_10device_ptrIKxEEEESI_EEEEESK_NSA_INS5_IJNSC_16discard_iteratorINSC_11use_defaultEEESN_EEEEEPS7_SQ_SQ_NSC_11hip_rocprim7__merge17predicate_wrapperIxxNSC_4lessIxEEEEEE10hipError_tPvRmT0_T1_T2_T3_T4_T5_mmT6_P12ihipStream_tbEUlT_E0_NS1_11comp_targetILNS1_3genE10ELNS1_11target_archE1200ELNS1_3gpuE4ELNS1_3repE0EEENS1_30default_config_static_selectorELNS0_4arch9wavefront6targetE0EEEvS11_.has_indirect_call, 0
	.section	.AMDGPU.csdata,"",@progbits
; Kernel info:
; codeLenInByte = 0
; TotalNumSgprs: 0
; NumVgprs: 0
; ScratchSize: 0
; MemoryBound: 0
; FloatMode: 240
; IeeeMode: 1
; LDSByteSize: 0 bytes/workgroup (compile time only)
; SGPRBlocks: 0
; VGPRBlocks: 0
; NumSGPRsForWavesPerEU: 1
; NumVGPRsForWavesPerEU: 1
; Occupancy: 16
; WaveLimiterHint : 0
; COMPUTE_PGM_RSRC2:SCRATCH_EN: 0
; COMPUTE_PGM_RSRC2:USER_SGPR: 6
; COMPUTE_PGM_RSRC2:TRAP_HANDLER: 0
; COMPUTE_PGM_RSRC2:TGID_X_EN: 1
; COMPUTE_PGM_RSRC2:TGID_Y_EN: 0
; COMPUTE_PGM_RSRC2:TGID_Z_EN: 0
; COMPUTE_PGM_RSRC2:TIDIG_COMP_CNT: 0
	.section	.text._ZN7rocprim17ROCPRIM_400000_NS6detail17trampoline_kernelINS0_14default_configENS1_21merge_config_selectorINS0_5tupleIJxxEEENS0_10empty_typeEEEZNS1_10merge_implIS3_NS0_12zip_iteratorINS5_IJN6thrust23THRUST_200600_302600_NS6detail15normal_iteratorINSC_10device_ptrIKxEEEESI_EEEEESK_NSA_INS5_IJNSC_16discard_iteratorINSC_11use_defaultEEESN_EEEEEPS7_SQ_SQ_NSC_11hip_rocprim7__merge17predicate_wrapperIxxNSC_4lessIxEEEEEE10hipError_tPvRmT0_T1_T2_T3_T4_T5_mmT6_P12ihipStream_tbEUlT_E0_NS1_11comp_targetILNS1_3genE9ELNS1_11target_archE1100ELNS1_3gpuE3ELNS1_3repE0EEENS1_30default_config_static_selectorELNS0_4arch9wavefront6targetE0EEEvS11_,"axG",@progbits,_ZN7rocprim17ROCPRIM_400000_NS6detail17trampoline_kernelINS0_14default_configENS1_21merge_config_selectorINS0_5tupleIJxxEEENS0_10empty_typeEEEZNS1_10merge_implIS3_NS0_12zip_iteratorINS5_IJN6thrust23THRUST_200600_302600_NS6detail15normal_iteratorINSC_10device_ptrIKxEEEESI_EEEEESK_NSA_INS5_IJNSC_16discard_iteratorINSC_11use_defaultEEESN_EEEEEPS7_SQ_SQ_NSC_11hip_rocprim7__merge17predicate_wrapperIxxNSC_4lessIxEEEEEE10hipError_tPvRmT0_T1_T2_T3_T4_T5_mmT6_P12ihipStream_tbEUlT_E0_NS1_11comp_targetILNS1_3genE9ELNS1_11target_archE1100ELNS1_3gpuE3ELNS1_3repE0EEENS1_30default_config_static_selectorELNS0_4arch9wavefront6targetE0EEEvS11_,comdat
	.protected	_ZN7rocprim17ROCPRIM_400000_NS6detail17trampoline_kernelINS0_14default_configENS1_21merge_config_selectorINS0_5tupleIJxxEEENS0_10empty_typeEEEZNS1_10merge_implIS3_NS0_12zip_iteratorINS5_IJN6thrust23THRUST_200600_302600_NS6detail15normal_iteratorINSC_10device_ptrIKxEEEESI_EEEEESK_NSA_INS5_IJNSC_16discard_iteratorINSC_11use_defaultEEESN_EEEEEPS7_SQ_SQ_NSC_11hip_rocprim7__merge17predicate_wrapperIxxNSC_4lessIxEEEEEE10hipError_tPvRmT0_T1_T2_T3_T4_T5_mmT6_P12ihipStream_tbEUlT_E0_NS1_11comp_targetILNS1_3genE9ELNS1_11target_archE1100ELNS1_3gpuE3ELNS1_3repE0EEENS1_30default_config_static_selectorELNS0_4arch9wavefront6targetE0EEEvS11_ ; -- Begin function _ZN7rocprim17ROCPRIM_400000_NS6detail17trampoline_kernelINS0_14default_configENS1_21merge_config_selectorINS0_5tupleIJxxEEENS0_10empty_typeEEEZNS1_10merge_implIS3_NS0_12zip_iteratorINS5_IJN6thrust23THRUST_200600_302600_NS6detail15normal_iteratorINSC_10device_ptrIKxEEEESI_EEEEESK_NSA_INS5_IJNSC_16discard_iteratorINSC_11use_defaultEEESN_EEEEEPS7_SQ_SQ_NSC_11hip_rocprim7__merge17predicate_wrapperIxxNSC_4lessIxEEEEEE10hipError_tPvRmT0_T1_T2_T3_T4_T5_mmT6_P12ihipStream_tbEUlT_E0_NS1_11comp_targetILNS1_3genE9ELNS1_11target_archE1100ELNS1_3gpuE3ELNS1_3repE0EEENS1_30default_config_static_selectorELNS0_4arch9wavefront6targetE0EEEvS11_
	.globl	_ZN7rocprim17ROCPRIM_400000_NS6detail17trampoline_kernelINS0_14default_configENS1_21merge_config_selectorINS0_5tupleIJxxEEENS0_10empty_typeEEEZNS1_10merge_implIS3_NS0_12zip_iteratorINS5_IJN6thrust23THRUST_200600_302600_NS6detail15normal_iteratorINSC_10device_ptrIKxEEEESI_EEEEESK_NSA_INS5_IJNSC_16discard_iteratorINSC_11use_defaultEEESN_EEEEEPS7_SQ_SQ_NSC_11hip_rocprim7__merge17predicate_wrapperIxxNSC_4lessIxEEEEEE10hipError_tPvRmT0_T1_T2_T3_T4_T5_mmT6_P12ihipStream_tbEUlT_E0_NS1_11comp_targetILNS1_3genE9ELNS1_11target_archE1100ELNS1_3gpuE3ELNS1_3repE0EEENS1_30default_config_static_selectorELNS0_4arch9wavefront6targetE0EEEvS11_
	.p2align	8
	.type	_ZN7rocprim17ROCPRIM_400000_NS6detail17trampoline_kernelINS0_14default_configENS1_21merge_config_selectorINS0_5tupleIJxxEEENS0_10empty_typeEEEZNS1_10merge_implIS3_NS0_12zip_iteratorINS5_IJN6thrust23THRUST_200600_302600_NS6detail15normal_iteratorINSC_10device_ptrIKxEEEESI_EEEEESK_NSA_INS5_IJNSC_16discard_iteratorINSC_11use_defaultEEESN_EEEEEPS7_SQ_SQ_NSC_11hip_rocprim7__merge17predicate_wrapperIxxNSC_4lessIxEEEEEE10hipError_tPvRmT0_T1_T2_T3_T4_T5_mmT6_P12ihipStream_tbEUlT_E0_NS1_11comp_targetILNS1_3genE9ELNS1_11target_archE1100ELNS1_3gpuE3ELNS1_3repE0EEENS1_30default_config_static_selectorELNS0_4arch9wavefront6targetE0EEEvS11_,@function
_ZN7rocprim17ROCPRIM_400000_NS6detail17trampoline_kernelINS0_14default_configENS1_21merge_config_selectorINS0_5tupleIJxxEEENS0_10empty_typeEEEZNS1_10merge_implIS3_NS0_12zip_iteratorINS5_IJN6thrust23THRUST_200600_302600_NS6detail15normal_iteratorINSC_10device_ptrIKxEEEESI_EEEEESK_NSA_INS5_IJNSC_16discard_iteratorINSC_11use_defaultEEESN_EEEEEPS7_SQ_SQ_NSC_11hip_rocprim7__merge17predicate_wrapperIxxNSC_4lessIxEEEEEE10hipError_tPvRmT0_T1_T2_T3_T4_T5_mmT6_P12ihipStream_tbEUlT_E0_NS1_11comp_targetILNS1_3genE9ELNS1_11target_archE1100ELNS1_3gpuE3ELNS1_3repE0EEENS1_30default_config_static_selectorELNS0_4arch9wavefront6targetE0EEEvS11_: ; @_ZN7rocprim17ROCPRIM_400000_NS6detail17trampoline_kernelINS0_14default_configENS1_21merge_config_selectorINS0_5tupleIJxxEEENS0_10empty_typeEEEZNS1_10merge_implIS3_NS0_12zip_iteratorINS5_IJN6thrust23THRUST_200600_302600_NS6detail15normal_iteratorINSC_10device_ptrIKxEEEESI_EEEEESK_NSA_INS5_IJNSC_16discard_iteratorINSC_11use_defaultEEESN_EEEEEPS7_SQ_SQ_NSC_11hip_rocprim7__merge17predicate_wrapperIxxNSC_4lessIxEEEEEE10hipError_tPvRmT0_T1_T2_T3_T4_T5_mmT6_P12ihipStream_tbEUlT_E0_NS1_11comp_targetILNS1_3genE9ELNS1_11target_archE1100ELNS1_3gpuE3ELNS1_3repE0EEENS1_30default_config_static_selectorELNS0_4arch9wavefront6targetE0EEEvS11_
; %bb.0:
	.section	.rodata,"a",@progbits
	.p2align	6, 0x0
	.amdhsa_kernel _ZN7rocprim17ROCPRIM_400000_NS6detail17trampoline_kernelINS0_14default_configENS1_21merge_config_selectorINS0_5tupleIJxxEEENS0_10empty_typeEEEZNS1_10merge_implIS3_NS0_12zip_iteratorINS5_IJN6thrust23THRUST_200600_302600_NS6detail15normal_iteratorINSC_10device_ptrIKxEEEESI_EEEEESK_NSA_INS5_IJNSC_16discard_iteratorINSC_11use_defaultEEESN_EEEEEPS7_SQ_SQ_NSC_11hip_rocprim7__merge17predicate_wrapperIxxNSC_4lessIxEEEEEE10hipError_tPvRmT0_T1_T2_T3_T4_T5_mmT6_P12ihipStream_tbEUlT_E0_NS1_11comp_targetILNS1_3genE9ELNS1_11target_archE1100ELNS1_3gpuE3ELNS1_3repE0EEENS1_30default_config_static_selectorELNS0_4arch9wavefront6targetE0EEEvS11_
		.amdhsa_group_segment_fixed_size 0
		.amdhsa_private_segment_fixed_size 0
		.amdhsa_kernarg_size 128
		.amdhsa_user_sgpr_count 6
		.amdhsa_user_sgpr_private_segment_buffer 1
		.amdhsa_user_sgpr_dispatch_ptr 0
		.amdhsa_user_sgpr_queue_ptr 0
		.amdhsa_user_sgpr_kernarg_segment_ptr 1
		.amdhsa_user_sgpr_dispatch_id 0
		.amdhsa_user_sgpr_flat_scratch_init 0
		.amdhsa_user_sgpr_private_segment_size 0
		.amdhsa_wavefront_size32 1
		.amdhsa_uses_dynamic_stack 0
		.amdhsa_system_sgpr_private_segment_wavefront_offset 0
		.amdhsa_system_sgpr_workgroup_id_x 1
		.amdhsa_system_sgpr_workgroup_id_y 0
		.amdhsa_system_sgpr_workgroup_id_z 0
		.amdhsa_system_sgpr_workgroup_info 0
		.amdhsa_system_vgpr_workitem_id 0
		.amdhsa_next_free_vgpr 1
		.amdhsa_next_free_sgpr 1
		.amdhsa_reserve_vcc 0
		.amdhsa_reserve_flat_scratch 0
		.amdhsa_float_round_mode_32 0
		.amdhsa_float_round_mode_16_64 0
		.amdhsa_float_denorm_mode_32 3
		.amdhsa_float_denorm_mode_16_64 3
		.amdhsa_dx10_clamp 1
		.amdhsa_ieee_mode 1
		.amdhsa_fp16_overflow 0
		.amdhsa_workgroup_processor_mode 1
		.amdhsa_memory_ordered 1
		.amdhsa_forward_progress 1
		.amdhsa_shared_vgpr_count 0
		.amdhsa_exception_fp_ieee_invalid_op 0
		.amdhsa_exception_fp_denorm_src 0
		.amdhsa_exception_fp_ieee_div_zero 0
		.amdhsa_exception_fp_ieee_overflow 0
		.amdhsa_exception_fp_ieee_underflow 0
		.amdhsa_exception_fp_ieee_inexact 0
		.amdhsa_exception_int_div_zero 0
	.end_amdhsa_kernel
	.section	.text._ZN7rocprim17ROCPRIM_400000_NS6detail17trampoline_kernelINS0_14default_configENS1_21merge_config_selectorINS0_5tupleIJxxEEENS0_10empty_typeEEEZNS1_10merge_implIS3_NS0_12zip_iteratorINS5_IJN6thrust23THRUST_200600_302600_NS6detail15normal_iteratorINSC_10device_ptrIKxEEEESI_EEEEESK_NSA_INS5_IJNSC_16discard_iteratorINSC_11use_defaultEEESN_EEEEEPS7_SQ_SQ_NSC_11hip_rocprim7__merge17predicate_wrapperIxxNSC_4lessIxEEEEEE10hipError_tPvRmT0_T1_T2_T3_T4_T5_mmT6_P12ihipStream_tbEUlT_E0_NS1_11comp_targetILNS1_3genE9ELNS1_11target_archE1100ELNS1_3gpuE3ELNS1_3repE0EEENS1_30default_config_static_selectorELNS0_4arch9wavefront6targetE0EEEvS11_,"axG",@progbits,_ZN7rocprim17ROCPRIM_400000_NS6detail17trampoline_kernelINS0_14default_configENS1_21merge_config_selectorINS0_5tupleIJxxEEENS0_10empty_typeEEEZNS1_10merge_implIS3_NS0_12zip_iteratorINS5_IJN6thrust23THRUST_200600_302600_NS6detail15normal_iteratorINSC_10device_ptrIKxEEEESI_EEEEESK_NSA_INS5_IJNSC_16discard_iteratorINSC_11use_defaultEEESN_EEEEEPS7_SQ_SQ_NSC_11hip_rocprim7__merge17predicate_wrapperIxxNSC_4lessIxEEEEEE10hipError_tPvRmT0_T1_T2_T3_T4_T5_mmT6_P12ihipStream_tbEUlT_E0_NS1_11comp_targetILNS1_3genE9ELNS1_11target_archE1100ELNS1_3gpuE3ELNS1_3repE0EEENS1_30default_config_static_selectorELNS0_4arch9wavefront6targetE0EEEvS11_,comdat
.Lfunc_end585:
	.size	_ZN7rocprim17ROCPRIM_400000_NS6detail17trampoline_kernelINS0_14default_configENS1_21merge_config_selectorINS0_5tupleIJxxEEENS0_10empty_typeEEEZNS1_10merge_implIS3_NS0_12zip_iteratorINS5_IJN6thrust23THRUST_200600_302600_NS6detail15normal_iteratorINSC_10device_ptrIKxEEEESI_EEEEESK_NSA_INS5_IJNSC_16discard_iteratorINSC_11use_defaultEEESN_EEEEEPS7_SQ_SQ_NSC_11hip_rocprim7__merge17predicate_wrapperIxxNSC_4lessIxEEEEEE10hipError_tPvRmT0_T1_T2_T3_T4_T5_mmT6_P12ihipStream_tbEUlT_E0_NS1_11comp_targetILNS1_3genE9ELNS1_11target_archE1100ELNS1_3gpuE3ELNS1_3repE0EEENS1_30default_config_static_selectorELNS0_4arch9wavefront6targetE0EEEvS11_, .Lfunc_end585-_ZN7rocprim17ROCPRIM_400000_NS6detail17trampoline_kernelINS0_14default_configENS1_21merge_config_selectorINS0_5tupleIJxxEEENS0_10empty_typeEEEZNS1_10merge_implIS3_NS0_12zip_iteratorINS5_IJN6thrust23THRUST_200600_302600_NS6detail15normal_iteratorINSC_10device_ptrIKxEEEESI_EEEEESK_NSA_INS5_IJNSC_16discard_iteratorINSC_11use_defaultEEESN_EEEEEPS7_SQ_SQ_NSC_11hip_rocprim7__merge17predicate_wrapperIxxNSC_4lessIxEEEEEE10hipError_tPvRmT0_T1_T2_T3_T4_T5_mmT6_P12ihipStream_tbEUlT_E0_NS1_11comp_targetILNS1_3genE9ELNS1_11target_archE1100ELNS1_3gpuE3ELNS1_3repE0EEENS1_30default_config_static_selectorELNS0_4arch9wavefront6targetE0EEEvS11_
                                        ; -- End function
	.set _ZN7rocprim17ROCPRIM_400000_NS6detail17trampoline_kernelINS0_14default_configENS1_21merge_config_selectorINS0_5tupleIJxxEEENS0_10empty_typeEEEZNS1_10merge_implIS3_NS0_12zip_iteratorINS5_IJN6thrust23THRUST_200600_302600_NS6detail15normal_iteratorINSC_10device_ptrIKxEEEESI_EEEEESK_NSA_INS5_IJNSC_16discard_iteratorINSC_11use_defaultEEESN_EEEEEPS7_SQ_SQ_NSC_11hip_rocprim7__merge17predicate_wrapperIxxNSC_4lessIxEEEEEE10hipError_tPvRmT0_T1_T2_T3_T4_T5_mmT6_P12ihipStream_tbEUlT_E0_NS1_11comp_targetILNS1_3genE9ELNS1_11target_archE1100ELNS1_3gpuE3ELNS1_3repE0EEENS1_30default_config_static_selectorELNS0_4arch9wavefront6targetE0EEEvS11_.num_vgpr, 0
	.set _ZN7rocprim17ROCPRIM_400000_NS6detail17trampoline_kernelINS0_14default_configENS1_21merge_config_selectorINS0_5tupleIJxxEEENS0_10empty_typeEEEZNS1_10merge_implIS3_NS0_12zip_iteratorINS5_IJN6thrust23THRUST_200600_302600_NS6detail15normal_iteratorINSC_10device_ptrIKxEEEESI_EEEEESK_NSA_INS5_IJNSC_16discard_iteratorINSC_11use_defaultEEESN_EEEEEPS7_SQ_SQ_NSC_11hip_rocprim7__merge17predicate_wrapperIxxNSC_4lessIxEEEEEE10hipError_tPvRmT0_T1_T2_T3_T4_T5_mmT6_P12ihipStream_tbEUlT_E0_NS1_11comp_targetILNS1_3genE9ELNS1_11target_archE1100ELNS1_3gpuE3ELNS1_3repE0EEENS1_30default_config_static_selectorELNS0_4arch9wavefront6targetE0EEEvS11_.num_agpr, 0
	.set _ZN7rocprim17ROCPRIM_400000_NS6detail17trampoline_kernelINS0_14default_configENS1_21merge_config_selectorINS0_5tupleIJxxEEENS0_10empty_typeEEEZNS1_10merge_implIS3_NS0_12zip_iteratorINS5_IJN6thrust23THRUST_200600_302600_NS6detail15normal_iteratorINSC_10device_ptrIKxEEEESI_EEEEESK_NSA_INS5_IJNSC_16discard_iteratorINSC_11use_defaultEEESN_EEEEEPS7_SQ_SQ_NSC_11hip_rocprim7__merge17predicate_wrapperIxxNSC_4lessIxEEEEEE10hipError_tPvRmT0_T1_T2_T3_T4_T5_mmT6_P12ihipStream_tbEUlT_E0_NS1_11comp_targetILNS1_3genE9ELNS1_11target_archE1100ELNS1_3gpuE3ELNS1_3repE0EEENS1_30default_config_static_selectorELNS0_4arch9wavefront6targetE0EEEvS11_.numbered_sgpr, 0
	.set _ZN7rocprim17ROCPRIM_400000_NS6detail17trampoline_kernelINS0_14default_configENS1_21merge_config_selectorINS0_5tupleIJxxEEENS0_10empty_typeEEEZNS1_10merge_implIS3_NS0_12zip_iteratorINS5_IJN6thrust23THRUST_200600_302600_NS6detail15normal_iteratorINSC_10device_ptrIKxEEEESI_EEEEESK_NSA_INS5_IJNSC_16discard_iteratorINSC_11use_defaultEEESN_EEEEEPS7_SQ_SQ_NSC_11hip_rocprim7__merge17predicate_wrapperIxxNSC_4lessIxEEEEEE10hipError_tPvRmT0_T1_T2_T3_T4_T5_mmT6_P12ihipStream_tbEUlT_E0_NS1_11comp_targetILNS1_3genE9ELNS1_11target_archE1100ELNS1_3gpuE3ELNS1_3repE0EEENS1_30default_config_static_selectorELNS0_4arch9wavefront6targetE0EEEvS11_.num_named_barrier, 0
	.set _ZN7rocprim17ROCPRIM_400000_NS6detail17trampoline_kernelINS0_14default_configENS1_21merge_config_selectorINS0_5tupleIJxxEEENS0_10empty_typeEEEZNS1_10merge_implIS3_NS0_12zip_iteratorINS5_IJN6thrust23THRUST_200600_302600_NS6detail15normal_iteratorINSC_10device_ptrIKxEEEESI_EEEEESK_NSA_INS5_IJNSC_16discard_iteratorINSC_11use_defaultEEESN_EEEEEPS7_SQ_SQ_NSC_11hip_rocprim7__merge17predicate_wrapperIxxNSC_4lessIxEEEEEE10hipError_tPvRmT0_T1_T2_T3_T4_T5_mmT6_P12ihipStream_tbEUlT_E0_NS1_11comp_targetILNS1_3genE9ELNS1_11target_archE1100ELNS1_3gpuE3ELNS1_3repE0EEENS1_30default_config_static_selectorELNS0_4arch9wavefront6targetE0EEEvS11_.private_seg_size, 0
	.set _ZN7rocprim17ROCPRIM_400000_NS6detail17trampoline_kernelINS0_14default_configENS1_21merge_config_selectorINS0_5tupleIJxxEEENS0_10empty_typeEEEZNS1_10merge_implIS3_NS0_12zip_iteratorINS5_IJN6thrust23THRUST_200600_302600_NS6detail15normal_iteratorINSC_10device_ptrIKxEEEESI_EEEEESK_NSA_INS5_IJNSC_16discard_iteratorINSC_11use_defaultEEESN_EEEEEPS7_SQ_SQ_NSC_11hip_rocprim7__merge17predicate_wrapperIxxNSC_4lessIxEEEEEE10hipError_tPvRmT0_T1_T2_T3_T4_T5_mmT6_P12ihipStream_tbEUlT_E0_NS1_11comp_targetILNS1_3genE9ELNS1_11target_archE1100ELNS1_3gpuE3ELNS1_3repE0EEENS1_30default_config_static_selectorELNS0_4arch9wavefront6targetE0EEEvS11_.uses_vcc, 0
	.set _ZN7rocprim17ROCPRIM_400000_NS6detail17trampoline_kernelINS0_14default_configENS1_21merge_config_selectorINS0_5tupleIJxxEEENS0_10empty_typeEEEZNS1_10merge_implIS3_NS0_12zip_iteratorINS5_IJN6thrust23THRUST_200600_302600_NS6detail15normal_iteratorINSC_10device_ptrIKxEEEESI_EEEEESK_NSA_INS5_IJNSC_16discard_iteratorINSC_11use_defaultEEESN_EEEEEPS7_SQ_SQ_NSC_11hip_rocprim7__merge17predicate_wrapperIxxNSC_4lessIxEEEEEE10hipError_tPvRmT0_T1_T2_T3_T4_T5_mmT6_P12ihipStream_tbEUlT_E0_NS1_11comp_targetILNS1_3genE9ELNS1_11target_archE1100ELNS1_3gpuE3ELNS1_3repE0EEENS1_30default_config_static_selectorELNS0_4arch9wavefront6targetE0EEEvS11_.uses_flat_scratch, 0
	.set _ZN7rocprim17ROCPRIM_400000_NS6detail17trampoline_kernelINS0_14default_configENS1_21merge_config_selectorINS0_5tupleIJxxEEENS0_10empty_typeEEEZNS1_10merge_implIS3_NS0_12zip_iteratorINS5_IJN6thrust23THRUST_200600_302600_NS6detail15normal_iteratorINSC_10device_ptrIKxEEEESI_EEEEESK_NSA_INS5_IJNSC_16discard_iteratorINSC_11use_defaultEEESN_EEEEEPS7_SQ_SQ_NSC_11hip_rocprim7__merge17predicate_wrapperIxxNSC_4lessIxEEEEEE10hipError_tPvRmT0_T1_T2_T3_T4_T5_mmT6_P12ihipStream_tbEUlT_E0_NS1_11comp_targetILNS1_3genE9ELNS1_11target_archE1100ELNS1_3gpuE3ELNS1_3repE0EEENS1_30default_config_static_selectorELNS0_4arch9wavefront6targetE0EEEvS11_.has_dyn_sized_stack, 0
	.set _ZN7rocprim17ROCPRIM_400000_NS6detail17trampoline_kernelINS0_14default_configENS1_21merge_config_selectorINS0_5tupleIJxxEEENS0_10empty_typeEEEZNS1_10merge_implIS3_NS0_12zip_iteratorINS5_IJN6thrust23THRUST_200600_302600_NS6detail15normal_iteratorINSC_10device_ptrIKxEEEESI_EEEEESK_NSA_INS5_IJNSC_16discard_iteratorINSC_11use_defaultEEESN_EEEEEPS7_SQ_SQ_NSC_11hip_rocprim7__merge17predicate_wrapperIxxNSC_4lessIxEEEEEE10hipError_tPvRmT0_T1_T2_T3_T4_T5_mmT6_P12ihipStream_tbEUlT_E0_NS1_11comp_targetILNS1_3genE9ELNS1_11target_archE1100ELNS1_3gpuE3ELNS1_3repE0EEENS1_30default_config_static_selectorELNS0_4arch9wavefront6targetE0EEEvS11_.has_recursion, 0
	.set _ZN7rocprim17ROCPRIM_400000_NS6detail17trampoline_kernelINS0_14default_configENS1_21merge_config_selectorINS0_5tupleIJxxEEENS0_10empty_typeEEEZNS1_10merge_implIS3_NS0_12zip_iteratorINS5_IJN6thrust23THRUST_200600_302600_NS6detail15normal_iteratorINSC_10device_ptrIKxEEEESI_EEEEESK_NSA_INS5_IJNSC_16discard_iteratorINSC_11use_defaultEEESN_EEEEEPS7_SQ_SQ_NSC_11hip_rocprim7__merge17predicate_wrapperIxxNSC_4lessIxEEEEEE10hipError_tPvRmT0_T1_T2_T3_T4_T5_mmT6_P12ihipStream_tbEUlT_E0_NS1_11comp_targetILNS1_3genE9ELNS1_11target_archE1100ELNS1_3gpuE3ELNS1_3repE0EEENS1_30default_config_static_selectorELNS0_4arch9wavefront6targetE0EEEvS11_.has_indirect_call, 0
	.section	.AMDGPU.csdata,"",@progbits
; Kernel info:
; codeLenInByte = 0
; TotalNumSgprs: 0
; NumVgprs: 0
; ScratchSize: 0
; MemoryBound: 0
; FloatMode: 240
; IeeeMode: 1
; LDSByteSize: 0 bytes/workgroup (compile time only)
; SGPRBlocks: 0
; VGPRBlocks: 0
; NumSGPRsForWavesPerEU: 1
; NumVGPRsForWavesPerEU: 1
; Occupancy: 16
; WaveLimiterHint : 0
; COMPUTE_PGM_RSRC2:SCRATCH_EN: 0
; COMPUTE_PGM_RSRC2:USER_SGPR: 6
; COMPUTE_PGM_RSRC2:TRAP_HANDLER: 0
; COMPUTE_PGM_RSRC2:TGID_X_EN: 1
; COMPUTE_PGM_RSRC2:TGID_Y_EN: 0
; COMPUTE_PGM_RSRC2:TGID_Z_EN: 0
; COMPUTE_PGM_RSRC2:TIDIG_COMP_CNT: 0
	.section	.text._ZN7rocprim17ROCPRIM_400000_NS6detail17trampoline_kernelINS0_14default_configENS1_21merge_config_selectorINS0_5tupleIJxxEEENS0_10empty_typeEEEZNS1_10merge_implIS3_NS0_12zip_iteratorINS5_IJN6thrust23THRUST_200600_302600_NS6detail15normal_iteratorINSC_10device_ptrIKxEEEESI_EEEEESK_NSA_INS5_IJNSC_16discard_iteratorINSC_11use_defaultEEESN_EEEEEPS7_SQ_SQ_NSC_11hip_rocprim7__merge17predicate_wrapperIxxNSC_4lessIxEEEEEE10hipError_tPvRmT0_T1_T2_T3_T4_T5_mmT6_P12ihipStream_tbEUlT_E0_NS1_11comp_targetILNS1_3genE8ELNS1_11target_archE1030ELNS1_3gpuE2ELNS1_3repE0EEENS1_30default_config_static_selectorELNS0_4arch9wavefront6targetE0EEEvS11_,"axG",@progbits,_ZN7rocprim17ROCPRIM_400000_NS6detail17trampoline_kernelINS0_14default_configENS1_21merge_config_selectorINS0_5tupleIJxxEEENS0_10empty_typeEEEZNS1_10merge_implIS3_NS0_12zip_iteratorINS5_IJN6thrust23THRUST_200600_302600_NS6detail15normal_iteratorINSC_10device_ptrIKxEEEESI_EEEEESK_NSA_INS5_IJNSC_16discard_iteratorINSC_11use_defaultEEESN_EEEEEPS7_SQ_SQ_NSC_11hip_rocprim7__merge17predicate_wrapperIxxNSC_4lessIxEEEEEE10hipError_tPvRmT0_T1_T2_T3_T4_T5_mmT6_P12ihipStream_tbEUlT_E0_NS1_11comp_targetILNS1_3genE8ELNS1_11target_archE1030ELNS1_3gpuE2ELNS1_3repE0EEENS1_30default_config_static_selectorELNS0_4arch9wavefront6targetE0EEEvS11_,comdat
	.protected	_ZN7rocprim17ROCPRIM_400000_NS6detail17trampoline_kernelINS0_14default_configENS1_21merge_config_selectorINS0_5tupleIJxxEEENS0_10empty_typeEEEZNS1_10merge_implIS3_NS0_12zip_iteratorINS5_IJN6thrust23THRUST_200600_302600_NS6detail15normal_iteratorINSC_10device_ptrIKxEEEESI_EEEEESK_NSA_INS5_IJNSC_16discard_iteratorINSC_11use_defaultEEESN_EEEEEPS7_SQ_SQ_NSC_11hip_rocprim7__merge17predicate_wrapperIxxNSC_4lessIxEEEEEE10hipError_tPvRmT0_T1_T2_T3_T4_T5_mmT6_P12ihipStream_tbEUlT_E0_NS1_11comp_targetILNS1_3genE8ELNS1_11target_archE1030ELNS1_3gpuE2ELNS1_3repE0EEENS1_30default_config_static_selectorELNS0_4arch9wavefront6targetE0EEEvS11_ ; -- Begin function _ZN7rocprim17ROCPRIM_400000_NS6detail17trampoline_kernelINS0_14default_configENS1_21merge_config_selectorINS0_5tupleIJxxEEENS0_10empty_typeEEEZNS1_10merge_implIS3_NS0_12zip_iteratorINS5_IJN6thrust23THRUST_200600_302600_NS6detail15normal_iteratorINSC_10device_ptrIKxEEEESI_EEEEESK_NSA_INS5_IJNSC_16discard_iteratorINSC_11use_defaultEEESN_EEEEEPS7_SQ_SQ_NSC_11hip_rocprim7__merge17predicate_wrapperIxxNSC_4lessIxEEEEEE10hipError_tPvRmT0_T1_T2_T3_T4_T5_mmT6_P12ihipStream_tbEUlT_E0_NS1_11comp_targetILNS1_3genE8ELNS1_11target_archE1030ELNS1_3gpuE2ELNS1_3repE0EEENS1_30default_config_static_selectorELNS0_4arch9wavefront6targetE0EEEvS11_
	.globl	_ZN7rocprim17ROCPRIM_400000_NS6detail17trampoline_kernelINS0_14default_configENS1_21merge_config_selectorINS0_5tupleIJxxEEENS0_10empty_typeEEEZNS1_10merge_implIS3_NS0_12zip_iteratorINS5_IJN6thrust23THRUST_200600_302600_NS6detail15normal_iteratorINSC_10device_ptrIKxEEEESI_EEEEESK_NSA_INS5_IJNSC_16discard_iteratorINSC_11use_defaultEEESN_EEEEEPS7_SQ_SQ_NSC_11hip_rocprim7__merge17predicate_wrapperIxxNSC_4lessIxEEEEEE10hipError_tPvRmT0_T1_T2_T3_T4_T5_mmT6_P12ihipStream_tbEUlT_E0_NS1_11comp_targetILNS1_3genE8ELNS1_11target_archE1030ELNS1_3gpuE2ELNS1_3repE0EEENS1_30default_config_static_selectorELNS0_4arch9wavefront6targetE0EEEvS11_
	.p2align	8
	.type	_ZN7rocprim17ROCPRIM_400000_NS6detail17trampoline_kernelINS0_14default_configENS1_21merge_config_selectorINS0_5tupleIJxxEEENS0_10empty_typeEEEZNS1_10merge_implIS3_NS0_12zip_iteratorINS5_IJN6thrust23THRUST_200600_302600_NS6detail15normal_iteratorINSC_10device_ptrIKxEEEESI_EEEEESK_NSA_INS5_IJNSC_16discard_iteratorINSC_11use_defaultEEESN_EEEEEPS7_SQ_SQ_NSC_11hip_rocprim7__merge17predicate_wrapperIxxNSC_4lessIxEEEEEE10hipError_tPvRmT0_T1_T2_T3_T4_T5_mmT6_P12ihipStream_tbEUlT_E0_NS1_11comp_targetILNS1_3genE8ELNS1_11target_archE1030ELNS1_3gpuE2ELNS1_3repE0EEENS1_30default_config_static_selectorELNS0_4arch9wavefront6targetE0EEEvS11_,@function
_ZN7rocprim17ROCPRIM_400000_NS6detail17trampoline_kernelINS0_14default_configENS1_21merge_config_selectorINS0_5tupleIJxxEEENS0_10empty_typeEEEZNS1_10merge_implIS3_NS0_12zip_iteratorINS5_IJN6thrust23THRUST_200600_302600_NS6detail15normal_iteratorINSC_10device_ptrIKxEEEESI_EEEEESK_NSA_INS5_IJNSC_16discard_iteratorINSC_11use_defaultEEESN_EEEEEPS7_SQ_SQ_NSC_11hip_rocprim7__merge17predicate_wrapperIxxNSC_4lessIxEEEEEE10hipError_tPvRmT0_T1_T2_T3_T4_T5_mmT6_P12ihipStream_tbEUlT_E0_NS1_11comp_targetILNS1_3genE8ELNS1_11target_archE1030ELNS1_3gpuE2ELNS1_3repE0EEENS1_30default_config_static_selectorELNS0_4arch9wavefront6targetE0EEEvS11_: ; @_ZN7rocprim17ROCPRIM_400000_NS6detail17trampoline_kernelINS0_14default_configENS1_21merge_config_selectorINS0_5tupleIJxxEEENS0_10empty_typeEEEZNS1_10merge_implIS3_NS0_12zip_iteratorINS5_IJN6thrust23THRUST_200600_302600_NS6detail15normal_iteratorINSC_10device_ptrIKxEEEESI_EEEEESK_NSA_INS5_IJNSC_16discard_iteratorINSC_11use_defaultEEESN_EEEEEPS7_SQ_SQ_NSC_11hip_rocprim7__merge17predicate_wrapperIxxNSC_4lessIxEEEEEE10hipError_tPvRmT0_T1_T2_T3_T4_T5_mmT6_P12ihipStream_tbEUlT_E0_NS1_11comp_targetILNS1_3genE8ELNS1_11target_archE1030ELNS1_3gpuE2ELNS1_3repE0EEENS1_30default_config_static_selectorELNS0_4arch9wavefront6targetE0EEEvS11_
; %bb.0:
	s_clause 0x2
	s_load_dwordx4 s[0:3], s[4:5], 0x68
	s_load_dwordx8 s[8:15], s[4:5], 0x8
	s_load_dwordx2 s[20:21], s[4:5], 0x28
	s_lshl_b32 s17, s6, 11
	s_mov_b32 s19, 0
	v_mov_b32_e32 v1, 0
	s_waitcnt lgkmcnt(0)
	s_add_i32 s16, s2, s0
	s_add_i32 s0, s16, 0x7ff
	s_lshr_b32 s0, s0, 11
	s_min_u32 s1, s6, s0
	s_lshl_b32 s1, s1, 2
	s_load_dword s18, s[8:9], s1 offset:0x0
	s_add_i32 s1, s6, 1
	s_min_u32 s0, s1, s0
	s_lshl_b32 s0, s0, 2
	s_load_dword s22, s[8:9], s0 offset:0x0
	s_add_i32 s0, s17, 0x800
	s_mov_b32 s9, s19
	s_min_u32 s23, s16, s0
	s_waitcnt lgkmcnt(0)
	s_lshl_b64 s[2:3], s[18:19], 3
	s_sub_i32 s8, s17, s18
	s_add_u32 s0, s10, s2
	s_addc_u32 s1, s11, s3
	s_add_u32 s2, s12, s2
	s_addc_u32 s3, s13, s3
	s_lshl_b64 s[6:7], s[8:9], 3
	s_mov_b32 s12, exec_lo
	s_add_u32 s4, s14, s6
	s_addc_u32 s5, s15, s7
	s_add_u32 s6, s20, s6
	s_addc_u32 s7, s21, s7
	s_add_i32 s8, s8, s22
	s_sub_i32 s10, s22, s18
	s_sub_i32 s11, s23, s8
	s_add_u32 s8, s11, s10
	s_addc_u32 s9, 0, 0
	v_cmpx_le_u32_e64 s10, v0
	s_xor_b32 s12, exec_lo, s12
	s_cbranch_execz .LBB586_4
; %bb.1:
	s_mov_b32 s13, exec_lo
	v_cmpx_gt_u64_e64 s[8:9], v[0:1]
	s_cbranch_execz .LBB586_3
; %bb.2:
	v_subrev_nc_u32_e32 v1, s10, v0
	v_lshlrev_b32_e32 v5, 4, v0
	v_lshlrev_b32_e32 v3, 3, v1
	s_clause 0x1
	global_load_dwordx2 v[1:2], v3, s[4:5]
	global_load_dwordx2 v[3:4], v3, s[6:7]
	s_waitcnt vmcnt(0)
	ds_write_b128 v5, v[1:4]
.LBB586_3:
	s_or_b32 exec_lo, exec_lo, s13
.LBB586_4:
	s_or_saveexec_b32 s12, s12
	v_lshlrev_b32_e32 v33, 3, v0
	v_lshlrev_b32_e32 v3, 4, v0
	s_xor_b32 exec_lo, exec_lo, s12
	s_cbranch_execz .LBB586_6
; %bb.5:
	s_clause 0x1
	global_load_dwordx2 v[4:5], v33, s[0:1]
	global_load_dwordx2 v[6:7], v33, s[2:3]
	s_waitcnt vmcnt(0)
	ds_write_b128 v3, v[4:7]
.LBB586_6:
	s_or_b32 exec_lo, exec_lo, s12
	v_or_b32_e32 v1, 0x100, v0
	v_mov_b32_e32 v2, 0
	s_mov_b32 s12, exec_lo
	v_cmpx_le_u32_e64 s10, v1
	s_xor_b32 s12, exec_lo, s12
	s_cbranch_execz .LBB586_10
; %bb.7:
	s_mov_b32 s13, exec_lo
	v_cmpx_gt_u64_e64 s[8:9], v[1:2]
	s_cbranch_execz .LBB586_9
; %bb.8:
	v_subrev_nc_u32_e32 v1, s10, v1
	v_lshlrev_b32_e32 v1, 3, v1
	s_clause 0x1
	global_load_dwordx2 v[4:5], v1, s[4:5]
	global_load_dwordx2 v[6:7], v1, s[6:7]
	s_waitcnt vmcnt(0)
	ds_write_b128 v3, v[4:7] offset:4096
.LBB586_9:
	s_or_b32 exec_lo, exec_lo, s13
                                        ; implicit-def: $vgpr1_vgpr2
.LBB586_10:
	s_andn2_saveexec_b32 s12, s12
	s_cbranch_execz .LBB586_12
; %bb.11:
	v_lshlrev_b32_e32 v1, 3, v1
	s_clause 0x1
	global_load_dwordx2 v[4:5], v1, s[0:1]
	global_load_dwordx2 v[6:7], v1, s[2:3]
	s_waitcnt vmcnt(0)
	ds_write_b128 v3, v[4:7] offset:4096
.LBB586_12:
	s_or_b32 exec_lo, exec_lo, s12
	v_or_b32_e32 v1, 0x200, v0
	v_mov_b32_e32 v2, 0
	s_mov_b32 s12, exec_lo
	v_cmpx_le_u32_e64 s10, v1
	s_xor_b32 s12, exec_lo, s12
	s_cbranch_execz .LBB586_16
; %bb.13:
	s_mov_b32 s13, exec_lo
	v_cmpx_gt_u64_e64 s[8:9], v[1:2]
	s_cbranch_execz .LBB586_15
; %bb.14:
	v_subrev_nc_u32_e32 v1, s10, v1
	v_lshlrev_b32_e32 v1, 3, v1
	s_clause 0x1
	global_load_dwordx2 v[4:5], v1, s[4:5]
	global_load_dwordx2 v[6:7], v1, s[6:7]
	s_waitcnt vmcnt(0)
	ds_write_b128 v3, v[4:7] offset:8192
.LBB586_15:
	s_or_b32 exec_lo, exec_lo, s13
                                        ; implicit-def: $vgpr1_vgpr2
.LBB586_16:
	s_andn2_saveexec_b32 s12, s12
	s_cbranch_execz .LBB586_18
; %bb.17:
	v_lshlrev_b32_e32 v1, 3, v1
	s_clause 0x1
	global_load_dwordx2 v[4:5], v1, s[0:1]
	global_load_dwordx2 v[6:7], v1, s[2:3]
	s_waitcnt vmcnt(0)
	ds_write_b128 v3, v[4:7] offset:8192
.LBB586_18:
	s_or_b32 exec_lo, exec_lo, s12
	v_or_b32_e32 v1, 0x300, v0
	v_mov_b32_e32 v2, 0
	s_mov_b32 s12, exec_lo
	v_cmpx_le_u32_e64 s10, v1
	s_xor_b32 s12, exec_lo, s12
	s_cbranch_execz .LBB586_22
; %bb.19:
	s_mov_b32 s13, exec_lo
	v_cmpx_gt_u64_e64 s[8:9], v[1:2]
	s_cbranch_execz .LBB586_21
; %bb.20:
	v_subrev_nc_u32_e32 v1, s10, v1
	v_lshlrev_b32_e32 v1, 3, v1
	s_clause 0x1
	global_load_dwordx2 v[4:5], v1, s[4:5]
	global_load_dwordx2 v[6:7], v1, s[6:7]
	s_waitcnt vmcnt(0)
	ds_write_b128 v3, v[4:7] offset:12288
.LBB586_21:
	s_or_b32 exec_lo, exec_lo, s13
                                        ; implicit-def: $vgpr1_vgpr2
.LBB586_22:
	s_andn2_saveexec_b32 s12, s12
	s_cbranch_execz .LBB586_24
; %bb.23:
	v_lshlrev_b32_e32 v1, 3, v1
	s_clause 0x1
	global_load_dwordx2 v[4:5], v1, s[0:1]
	global_load_dwordx2 v[6:7], v1, s[2:3]
	s_waitcnt vmcnt(0)
	ds_write_b128 v3, v[4:7] offset:12288
.LBB586_24:
	s_or_b32 exec_lo, exec_lo, s12
	v_or_b32_e32 v1, 0x400, v0
	v_mov_b32_e32 v2, 0
	s_mov_b32 s12, exec_lo
	v_cmpx_le_u32_e64 s10, v1
	s_xor_b32 s12, exec_lo, s12
	s_cbranch_execz .LBB586_28
; %bb.25:
	s_mov_b32 s13, exec_lo
	v_cmpx_gt_u64_e64 s[8:9], v[1:2]
	s_cbranch_execz .LBB586_27
; %bb.26:
	v_subrev_nc_u32_e32 v1, s10, v1
	v_lshlrev_b32_e32 v1, 3, v1
	s_clause 0x1
	global_load_dwordx2 v[4:5], v1, s[4:5]
	global_load_dwordx2 v[6:7], v1, s[6:7]
	s_waitcnt vmcnt(0)
	ds_write_b128 v3, v[4:7] offset:16384
.LBB586_27:
	s_or_b32 exec_lo, exec_lo, s13
                                        ; implicit-def: $vgpr1_vgpr2
.LBB586_28:
	s_andn2_saveexec_b32 s12, s12
	s_cbranch_execz .LBB586_30
; %bb.29:
	v_lshlrev_b32_e32 v1, 3, v1
	s_clause 0x1
	global_load_dwordx2 v[4:5], v1, s[0:1]
	global_load_dwordx2 v[6:7], v1, s[2:3]
	s_waitcnt vmcnt(0)
	ds_write_b128 v3, v[4:7] offset:16384
.LBB586_30:
	s_or_b32 exec_lo, exec_lo, s12
	v_or_b32_e32 v1, 0x500, v0
	v_mov_b32_e32 v2, 0
	s_mov_b32 s12, exec_lo
	v_cmpx_le_u32_e64 s10, v1
	s_xor_b32 s12, exec_lo, s12
	s_cbranch_execz .LBB586_34
; %bb.31:
	s_mov_b32 s13, exec_lo
	v_cmpx_gt_u64_e64 s[8:9], v[1:2]
	s_cbranch_execz .LBB586_33
; %bb.32:
	v_subrev_nc_u32_e32 v1, s10, v1
	v_lshlrev_b32_e32 v1, 3, v1
	s_clause 0x1
	global_load_dwordx2 v[4:5], v1, s[4:5]
	global_load_dwordx2 v[6:7], v1, s[6:7]
	s_waitcnt vmcnt(0)
	ds_write_b128 v3, v[4:7] offset:20480
.LBB586_33:
	s_or_b32 exec_lo, exec_lo, s13
                                        ; implicit-def: $vgpr1_vgpr2
.LBB586_34:
	s_andn2_saveexec_b32 s12, s12
	s_cbranch_execz .LBB586_36
; %bb.35:
	v_lshlrev_b32_e32 v1, 3, v1
	s_clause 0x1
	global_load_dwordx2 v[4:5], v1, s[0:1]
	global_load_dwordx2 v[6:7], v1, s[2:3]
	s_waitcnt vmcnt(0)
	ds_write_b128 v3, v[4:7] offset:20480
.LBB586_36:
	s_or_b32 exec_lo, exec_lo, s12
	v_or_b32_e32 v1, 0x600, v0
	v_mov_b32_e32 v2, 0
	s_mov_b32 s12, exec_lo
	v_cmpx_le_u32_e64 s10, v1
	s_xor_b32 s12, exec_lo, s12
	s_cbranch_execz .LBB586_40
; %bb.37:
	s_mov_b32 s13, exec_lo
	v_cmpx_gt_u64_e64 s[8:9], v[1:2]
	s_cbranch_execz .LBB586_39
; %bb.38:
	v_subrev_nc_u32_e32 v1, s10, v1
	v_lshlrev_b32_e32 v1, 3, v1
	s_clause 0x1
	global_load_dwordx2 v[4:5], v1, s[4:5]
	global_load_dwordx2 v[6:7], v1, s[6:7]
	s_waitcnt vmcnt(0)
	ds_write_b128 v3, v[4:7] offset:24576
.LBB586_39:
	s_or_b32 exec_lo, exec_lo, s13
                                        ; implicit-def: $vgpr1_vgpr2
.LBB586_40:
	s_andn2_saveexec_b32 s12, s12
	s_cbranch_execz .LBB586_42
; %bb.41:
	v_lshlrev_b32_e32 v1, 3, v1
	s_clause 0x1
	global_load_dwordx2 v[4:5], v1, s[0:1]
	global_load_dwordx2 v[6:7], v1, s[2:3]
	s_waitcnt vmcnt(0)
	ds_write_b128 v3, v[4:7] offset:24576
.LBB586_42:
	s_or_b32 exec_lo, exec_lo, s12
	v_or_b32_e32 v1, 0x700, v0
	v_mov_b32_e32 v2, 0
	s_mov_b32 s12, exec_lo
	v_cmpx_le_u32_e64 s10, v1
	s_xor_b32 s12, exec_lo, s12
	s_cbranch_execz .LBB586_46
; %bb.43:
	v_cmp_gt_u64_e32 vcc_lo, s[8:9], v[1:2]
	s_and_saveexec_b32 s8, vcc_lo
	s_cbranch_execz .LBB586_45
; %bb.44:
	v_subrev_nc_u32_e32 v1, s10, v1
	v_lshlrev_b32_e32 v1, 3, v1
	s_clause 0x1
	global_load_dwordx2 v[4:5], v1, s[4:5]
	global_load_dwordx2 v[6:7], v1, s[6:7]
	s_waitcnt vmcnt(0)
	ds_write_b128 v3, v[4:7] offset:28672
.LBB586_45:
	s_or_b32 exec_lo, exec_lo, s8
                                        ; implicit-def: $vgpr1_vgpr2
                                        ; implicit-def: $vgpr3
.LBB586_46:
	s_andn2_saveexec_b32 s4, s12
	s_cbranch_execz .LBB586_48
; %bb.47:
	v_lshlrev_b32_e32 v1, 3, v1
	s_clause 0x1
	global_load_dwordx2 v[4:5], v1, s[0:1]
	global_load_dwordx2 v[6:7], v1, s[2:3]
	s_waitcnt vmcnt(0)
	ds_write_b128 v3, v[4:7] offset:28672
.LBB586_48:
	s_or_b32 exec_lo, exec_lo, s4
	v_sub_nc_u32_e64 v34, v33, s11 clamp
	v_min_u32_e32 v1, s10, v33
	s_mov_b32 s0, exec_lo
	s_waitcnt lgkmcnt(0)
	s_barrier
	buffer_gl0_inv
	v_cmpx_lt_u32_e64 v34, v1
	s_cbranch_execz .LBB586_52
; %bb.49:
	v_lshlrev_b32_e32 v2, 4, v33
	s_mov_b32 s1, 0
	v_lshl_add_u32 v2, s10, 4, v2
	.p2align	6
.LBB586_50:                             ; =>This Inner Loop Header: Depth=1
	v_add_nc_u32_e32 v3, v1, v34
	v_lshrrev_b32_e32 v7, 1, v3
	v_not_b32_e32 v3, v7
	v_lshlrev_b32_e32 v4, 4, v7
	v_lshl_add_u32 v5, v3, 4, v2
	ds_read_b64 v[3:4], v4
	ds_read_b64 v[5:6], v5
	s_waitcnt lgkmcnt(0)
	v_cmp_lt_i64_e32 vcc_lo, v[5:6], v[3:4]
	v_add_nc_u32_e32 v3, 1, v7
	v_cndmask_b32_e32 v1, v1, v7, vcc_lo
	v_cndmask_b32_e32 v34, v3, v34, vcc_lo
	v_cmp_ge_u32_e32 vcc_lo, v34, v1
	s_or_b32 s1, vcc_lo, s1
	s_andn2_b32 exec_lo, exec_lo, s1
	s_cbranch_execnz .LBB586_50
; %bb.51:
	s_or_b32 exec_lo, exec_lo, s1
.LBB586_52:
	s_or_b32 exec_lo, exec_lo, s0
	v_add_nc_u32_e32 v1, s10, v33
	s_add_i32 s11, s11, s10
	v_cmp_ge_u32_e32 vcc_lo, s10, v34
	v_mov_b32_e32 v11, 0
	v_mov_b32_e32 v3, 0
	v_sub_nc_u32_e32 v35, v1, v34
	v_mov_b32_e32 v7, 0
	v_mov_b32_e32 v15, 0
	;; [unrolled: 1-line block ×4, first 2 shown]
	v_cmp_ge_u32_e64 s0, s11, v35
	v_mov_b32_e32 v27, 0
	v_mov_b32_e32 v31, 0
	;; [unrolled: 1-line block ×26, first 2 shown]
	s_or_b32 s0, vcc_lo, s0
	s_and_saveexec_b32 s7, s0
	s_cbranch_execz .LBB586_58
; %bb.53:
	v_mov_b32_e32 v7, 0
	v_mov_b32_e32 v3, 0
	;; [unrolled: 1-line block ×6, first 2 shown]
	v_cmp_gt_u32_e32 vcc_lo, s10, v34
	s_and_saveexec_b32 s0, vcc_lo
; %bb.54:
	v_lshlrev_b32_e32 v1, 4, v34
	ds_read_b128 v[1:4], v1
; %bb.55:
	s_or_b32 exec_lo, exec_lo, s0
	v_mov_b32_e32 v5, 0
	v_cmp_le_u32_e64 s0, s11, v35
	v_mov_b32_e32 v6, 0
	s_mov_b32 s2, exec_lo
	v_cmpx_gt_u32_e64 s11, v35
; %bb.56:
	v_lshlrev_b32_e32 v5, 4, v35
	ds_read_b128 v[5:8], v5
; %bb.57:
	s_or_b32 exec_lo, exec_lo, s2
	s_waitcnt lgkmcnt(0)
	v_cmp_ge_i64_e64 s1, v[5:6], v[1:2]
	v_mov_b32_e32 v48, s10
	s_and_b32 s1, vcc_lo, s1
	s_or_b32 vcc_lo, s0, s1
	v_cndmask_b32_e32 v9, v35, v34, vcc_lo
	v_cndmask_b32_e32 v10, s11, v48, vcc_lo
	v_add_nc_u32_e32 v9, 1, v9
	v_add_nc_u32_e32 v10, -1, v10
	v_min_u32_e32 v10, v9, v10
	v_lshlrev_b32_e32 v10, 4, v10
	ds_read_b128 v[11:14], v10
	v_cndmask_b32_e32 v10, v34, v9, vcc_lo
	v_cndmask_b32_e32 v9, v9, v35, vcc_lo
	v_cmp_gt_u32_e64 s1, s10, v10
	v_cmp_le_u32_e64 s2, s11, v9
	s_waitcnt lgkmcnt(0)
	v_cndmask_b32_e32 v32, v12, v6, vcc_lo
	v_cndmask_b32_e32 v31, v11, v5, vcc_lo
	;; [unrolled: 1-line block ×4, first 2 shown]
	v_cmp_ge_i64_e64 s0, v[31:32], v[38:39]
	s_and_b32 s0, s1, s0
	s_or_b32 s0, s2, s0
	v_cndmask_b32_e64 v11, v9, v10, s0
	v_cndmask_b32_e64 v12, s11, v48, s0
	v_add_nc_u32_e32 v11, 1, v11
	v_add_nc_u32_e32 v12, -1, v12
	v_cndmask_b32_e64 v10, v10, v11, s0
	v_min_u32_e32 v12, v11, v12
	v_cndmask_b32_e64 v9, v11, v9, s0
	v_cmp_gt_u32_e64 s2, s10, v10
	v_lshlrev_b32_e32 v12, 4, v12
	v_cmp_le_u32_e64 s3, s11, v9
	ds_read_b128 v[15:18], v12
	s_waitcnt lgkmcnt(0)
	v_cndmask_b32_e64 v41, v16, v32, s0
	v_cndmask_b32_e64 v40, v15, v31, s0
	v_cndmask_b32_e64 v16, v39, v16, s0
	v_cndmask_b32_e64 v15, v38, v15, s0
	v_cmp_ge_i64_e64 s1, v[40:41], v[15:16]
	s_and_b32 s1, s2, s1
	s_or_b32 s1, s3, s1
	v_cndmask_b32_e64 v11, v9, v10, s1
	v_cndmask_b32_e64 v12, s11, v48, s1
	v_add_nc_u32_e32 v11, 1, v11
	v_add_nc_u32_e32 v12, -1, v12
	v_cndmask_b32_e64 v10, v10, v11, s1
	v_min_u32_e32 v12, v11, v12
	v_cndmask_b32_e64 v9, v11, v9, s1
	v_cmp_gt_u32_e64 s3, s10, v10
	v_lshlrev_b32_e32 v12, 4, v12
	v_cmp_le_u32_e64 s4, s11, v9
	ds_read_b128 v[19:22], v12
	s_waitcnt lgkmcnt(0)
	v_cndmask_b32_e64 v43, v20, v41, s1
	v_cndmask_b32_e64 v42, v19, v40, s1
	v_cndmask_b32_e64 v20, v16, v20, s1
	v_cndmask_b32_e64 v19, v15, v19, s1
	;; [unrolled: 19-line block ×3, first 2 shown]
	v_cmp_ge_i64_e64 s3, v[44:45], v[23:24]
	s_and_b32 s3, s4, s3
	s_or_b32 s3, s5, s3
	v_cndmask_b32_e64 v11, v9, v10, s3
	v_cndmask_b32_e64 v12, s11, v48, s3
	v_add_nc_u32_e32 v11, 1, v11
	v_add_nc_u32_e32 v12, -1, v12
	v_cndmask_b32_e64 v49, v10, v11, s3
	v_min_u32_e32 v12, v11, v12
	v_cndmask_b32_e64 v50, v11, v9, s3
	v_cndmask_b32_e32 v11, v7, v3, vcc_lo
	v_cmp_gt_u32_e64 s5, s10, v49
	v_lshlrev_b32_e32 v12, 4, v12
	v_cmp_le_u32_e64 s6, s11, v50
	ds_read_b128 v[27:30], v12
	v_cndmask_b32_e32 v12, v8, v4, vcc_lo
	s_waitcnt lgkmcnt(0)
	v_cndmask_b32_e64 v47, v28, v45, s3
	v_cndmask_b32_e64 v46, v27, v44, s3
	;; [unrolled: 1-line block ×4, first 2 shown]
	v_cmp_ge_i64_e64 s4, v[46:47], v[27:28]
	s_and_b32 s4, s5, s4
	s_or_b32 s4, s6, s4
	v_cndmask_b32_e64 v9, v50, v49, s4
	v_cndmask_b32_e64 v10, s11, v48, s4
	v_add_nc_u32_e32 v51, 1, v9
	v_add_nc_u32_e32 v9, -1, v10
	v_cndmask_b32_e32 v10, v6, v2, vcc_lo
	v_cndmask_b32_e64 v2, v32, v39, s0
	v_cndmask_b32_e32 v6, v14, v8, vcc_lo
	v_cndmask_b32_e64 v49, v49, v51, s4
	v_min_u32_e32 v9, v51, v9
	v_cndmask_b32_e64 v50, v51, v50, s4
	v_cndmask_b32_e32 v8, v4, v14, vcc_lo
	v_cndmask_b32_e64 v14, v18, v6, s0
	v_cmp_gt_u32_e64 s5, s10, v49
	v_lshlrev_b32_e32 v9, 4, v9
	v_cmp_le_u32_e64 s6, s11, v50
	v_cndmask_b32_e64 v18, v8, v18, s0
	v_cndmask_b32_e64 v4, v6, v8, s0
	;; [unrolled: 1-line block ×3, first 2 shown]
	ds_read_b128 v[34:37], v9
	v_cndmask_b32_e32 v9, v5, v1, vcc_lo
	v_cndmask_b32_e64 v1, v31, v38, s0
	v_cndmask_b32_e32 v5, v13, v7, vcc_lo
	v_cndmask_b32_e32 v7, v3, v13, vcc_lo
	v_cndmask_b32_e64 v8, v14, v18, s1
	v_cndmask_b32_e64 v18, v18, v22, s1
	;; [unrolled: 1-line block ×13, first 2 shown]
	s_waitcnt lgkmcnt(0)
	v_cndmask_b32_e64 v32, v35, v47, s4
	v_cndmask_b32_e64 v31, v34, v46, s4
	;; [unrolled: 1-line block ×5, first 2 shown]
	v_cmp_ge_i64_e32 vcc_lo, v[31:32], v[34:35]
	s_and_b32 s5, s5, vcc_lo
	s_or_b32 vcc_lo, s6, s5
	v_cndmask_b32_e32 v7, v50, v49, vcc_lo
	v_cndmask_b32_e32 v38, s11, v48, vcc_lo
	v_add_nc_u32_e32 v48, 1, v7
	v_add_nc_u32_e32 v15, -1, v38
	v_cndmask_b32_e64 v7, v13, v17, s1
	v_cndmask_b32_e64 v38, v21, v13, s1
	;; [unrolled: 1-line block ×4, first 2 shown]
	v_min_u32_e32 v15, v48, v15
	v_cndmask_b32_e64 v42, v30, v22, s3
	v_cndmask_b32_e64 v21, v25, v38, s2
	;; [unrolled: 1-line block ×3, first 2 shown]
	v_lshlrev_b32_e32 v19, 4, v15
	v_cndmask_b32_e64 v15, v38, v17, s2
	v_cndmask_b32_e64 v24, v42, v26, s4
	;; [unrolled: 1-line block ×4, first 2 shown]
	ds_read_b128 v[38:41], v19
	v_cndmask_b32_e64 v19, v17, v25, s2
	v_cndmask_b32_e64 v25, v29, v21, s3
	;; [unrolled: 1-line block ×3, first 2 shown]
	v_cndmask_b32_e32 v26, v32, v35, vcc_lo
	v_cndmask_b32_e32 v28, v42, v37, vcc_lo
	v_cndmask_b32_e64 v29, v19, v29, s3
	v_cndmask_b32_e64 v43, v36, v25, s4
	;; [unrolled: 1-line block ×6, first 2 shown]
	v_cndmask_b32_e32 v25, v31, v34, vcc_lo
	v_cndmask_b32_e32 v27, v43, v36, vcc_lo
	s_waitcnt lgkmcnt(0)
	v_cndmask_b32_e32 v30, v39, v32, vcc_lo
	v_cndmask_b32_e32 v29, v38, v31, vcc_lo
	;; [unrolled: 1-line block ×8, first 2 shown]
	v_cmp_ge_i64_e64 s0, v[29:30], v[31:32]
	v_cmp_gt_u32_e64 s1, s10, v34
	v_cmp_le_u32_e64 s2, s11, v35
	v_cndmask_b32_e32 v34, v40, v43, vcc_lo
	v_cndmask_b32_e32 v35, v41, v42, vcc_lo
	s_and_b32 s0, s1, s0
	s_or_b32 vcc_lo, s2, s0
	v_cndmask_b32_e32 v30, v30, v32, vcc_lo
	v_cndmask_b32_e32 v29, v29, v31, vcc_lo
	;; [unrolled: 1-line block ×4, first 2 shown]
.LBB586_58:
	s_or_b32 exec_lo, exec_lo, s7
	v_lshlrev_b32_e32 v0, 2, v0
	s_sub_i32 s0, s16, s17
	s_cmpk_gt_u32 s0, 0x7ff
	s_mov_b32 s0, -1
	v_and_b32_e32 v0, 0x3f0, v0
	s_barrier
	buffer_gl0_inv
	v_lshl_add_u32 v0, v33, 4, v0
	ds_write_b128 v0, v[9:12]
	ds_write_b128 v0, v[1:4] offset:16
	ds_write_b128 v0, v[5:8] offset:32
	;; [unrolled: 1-line block ×7, first 2 shown]
	s_waitcnt lgkmcnt(0)
	s_cbranch_scc1 .LBB586_61
; %bb.59:
	s_andn2_b32 vcc_lo, exec_lo, s0
	s_cbranch_vccz .LBB586_62
.LBB586_60:
	buffer_gl0_inv
	s_endpgm
.LBB586_61:
	s_barrier
	s_cbranch_execnz .LBB586_60
.LBB586_62:
	s_barrier
	buffer_gl0_inv
	s_endpgm
	.section	.rodata,"a",@progbits
	.p2align	6, 0x0
	.amdhsa_kernel _ZN7rocprim17ROCPRIM_400000_NS6detail17trampoline_kernelINS0_14default_configENS1_21merge_config_selectorINS0_5tupleIJxxEEENS0_10empty_typeEEEZNS1_10merge_implIS3_NS0_12zip_iteratorINS5_IJN6thrust23THRUST_200600_302600_NS6detail15normal_iteratorINSC_10device_ptrIKxEEEESI_EEEEESK_NSA_INS5_IJNSC_16discard_iteratorINSC_11use_defaultEEESN_EEEEEPS7_SQ_SQ_NSC_11hip_rocprim7__merge17predicate_wrapperIxxNSC_4lessIxEEEEEE10hipError_tPvRmT0_T1_T2_T3_T4_T5_mmT6_P12ihipStream_tbEUlT_E0_NS1_11comp_targetILNS1_3genE8ELNS1_11target_archE1030ELNS1_3gpuE2ELNS1_3repE0EEENS1_30default_config_static_selectorELNS0_4arch9wavefront6targetE0EEEvS11_
		.amdhsa_group_segment_fixed_size 33792
		.amdhsa_private_segment_fixed_size 0
		.amdhsa_kernarg_size 128
		.amdhsa_user_sgpr_count 6
		.amdhsa_user_sgpr_private_segment_buffer 1
		.amdhsa_user_sgpr_dispatch_ptr 0
		.amdhsa_user_sgpr_queue_ptr 0
		.amdhsa_user_sgpr_kernarg_segment_ptr 1
		.amdhsa_user_sgpr_dispatch_id 0
		.amdhsa_user_sgpr_flat_scratch_init 0
		.amdhsa_user_sgpr_private_segment_size 0
		.amdhsa_wavefront_size32 1
		.amdhsa_uses_dynamic_stack 0
		.amdhsa_system_sgpr_private_segment_wavefront_offset 0
		.amdhsa_system_sgpr_workgroup_id_x 1
		.amdhsa_system_sgpr_workgroup_id_y 0
		.amdhsa_system_sgpr_workgroup_id_z 0
		.amdhsa_system_sgpr_workgroup_info 0
		.amdhsa_system_vgpr_workitem_id 0
		.amdhsa_next_free_vgpr 145
		.amdhsa_next_free_sgpr 24
		.amdhsa_reserve_vcc 1
		.amdhsa_reserve_flat_scratch 0
		.amdhsa_float_round_mode_32 0
		.amdhsa_float_round_mode_16_64 0
		.amdhsa_float_denorm_mode_32 3
		.amdhsa_float_denorm_mode_16_64 3
		.amdhsa_dx10_clamp 1
		.amdhsa_ieee_mode 1
		.amdhsa_fp16_overflow 0
		.amdhsa_workgroup_processor_mode 1
		.amdhsa_memory_ordered 1
		.amdhsa_forward_progress 1
		.amdhsa_shared_vgpr_count 0
		.amdhsa_exception_fp_ieee_invalid_op 0
		.amdhsa_exception_fp_denorm_src 0
		.amdhsa_exception_fp_ieee_div_zero 0
		.amdhsa_exception_fp_ieee_overflow 0
		.amdhsa_exception_fp_ieee_underflow 0
		.amdhsa_exception_fp_ieee_inexact 0
		.amdhsa_exception_int_div_zero 0
	.end_amdhsa_kernel
	.section	.text._ZN7rocprim17ROCPRIM_400000_NS6detail17trampoline_kernelINS0_14default_configENS1_21merge_config_selectorINS0_5tupleIJxxEEENS0_10empty_typeEEEZNS1_10merge_implIS3_NS0_12zip_iteratorINS5_IJN6thrust23THRUST_200600_302600_NS6detail15normal_iteratorINSC_10device_ptrIKxEEEESI_EEEEESK_NSA_INS5_IJNSC_16discard_iteratorINSC_11use_defaultEEESN_EEEEEPS7_SQ_SQ_NSC_11hip_rocprim7__merge17predicate_wrapperIxxNSC_4lessIxEEEEEE10hipError_tPvRmT0_T1_T2_T3_T4_T5_mmT6_P12ihipStream_tbEUlT_E0_NS1_11comp_targetILNS1_3genE8ELNS1_11target_archE1030ELNS1_3gpuE2ELNS1_3repE0EEENS1_30default_config_static_selectorELNS0_4arch9wavefront6targetE0EEEvS11_,"axG",@progbits,_ZN7rocprim17ROCPRIM_400000_NS6detail17trampoline_kernelINS0_14default_configENS1_21merge_config_selectorINS0_5tupleIJxxEEENS0_10empty_typeEEEZNS1_10merge_implIS3_NS0_12zip_iteratorINS5_IJN6thrust23THRUST_200600_302600_NS6detail15normal_iteratorINSC_10device_ptrIKxEEEESI_EEEEESK_NSA_INS5_IJNSC_16discard_iteratorINSC_11use_defaultEEESN_EEEEEPS7_SQ_SQ_NSC_11hip_rocprim7__merge17predicate_wrapperIxxNSC_4lessIxEEEEEE10hipError_tPvRmT0_T1_T2_T3_T4_T5_mmT6_P12ihipStream_tbEUlT_E0_NS1_11comp_targetILNS1_3genE8ELNS1_11target_archE1030ELNS1_3gpuE2ELNS1_3repE0EEENS1_30default_config_static_selectorELNS0_4arch9wavefront6targetE0EEEvS11_,comdat
.Lfunc_end586:
	.size	_ZN7rocprim17ROCPRIM_400000_NS6detail17trampoline_kernelINS0_14default_configENS1_21merge_config_selectorINS0_5tupleIJxxEEENS0_10empty_typeEEEZNS1_10merge_implIS3_NS0_12zip_iteratorINS5_IJN6thrust23THRUST_200600_302600_NS6detail15normal_iteratorINSC_10device_ptrIKxEEEESI_EEEEESK_NSA_INS5_IJNSC_16discard_iteratorINSC_11use_defaultEEESN_EEEEEPS7_SQ_SQ_NSC_11hip_rocprim7__merge17predicate_wrapperIxxNSC_4lessIxEEEEEE10hipError_tPvRmT0_T1_T2_T3_T4_T5_mmT6_P12ihipStream_tbEUlT_E0_NS1_11comp_targetILNS1_3genE8ELNS1_11target_archE1030ELNS1_3gpuE2ELNS1_3repE0EEENS1_30default_config_static_selectorELNS0_4arch9wavefront6targetE0EEEvS11_, .Lfunc_end586-_ZN7rocprim17ROCPRIM_400000_NS6detail17trampoline_kernelINS0_14default_configENS1_21merge_config_selectorINS0_5tupleIJxxEEENS0_10empty_typeEEEZNS1_10merge_implIS3_NS0_12zip_iteratorINS5_IJN6thrust23THRUST_200600_302600_NS6detail15normal_iteratorINSC_10device_ptrIKxEEEESI_EEEEESK_NSA_INS5_IJNSC_16discard_iteratorINSC_11use_defaultEEESN_EEEEEPS7_SQ_SQ_NSC_11hip_rocprim7__merge17predicate_wrapperIxxNSC_4lessIxEEEEEE10hipError_tPvRmT0_T1_T2_T3_T4_T5_mmT6_P12ihipStream_tbEUlT_E0_NS1_11comp_targetILNS1_3genE8ELNS1_11target_archE1030ELNS1_3gpuE2ELNS1_3repE0EEENS1_30default_config_static_selectorELNS0_4arch9wavefront6targetE0EEEvS11_
                                        ; -- End function
	.set _ZN7rocprim17ROCPRIM_400000_NS6detail17trampoline_kernelINS0_14default_configENS1_21merge_config_selectorINS0_5tupleIJxxEEENS0_10empty_typeEEEZNS1_10merge_implIS3_NS0_12zip_iteratorINS5_IJN6thrust23THRUST_200600_302600_NS6detail15normal_iteratorINSC_10device_ptrIKxEEEESI_EEEEESK_NSA_INS5_IJNSC_16discard_iteratorINSC_11use_defaultEEESN_EEEEEPS7_SQ_SQ_NSC_11hip_rocprim7__merge17predicate_wrapperIxxNSC_4lessIxEEEEEE10hipError_tPvRmT0_T1_T2_T3_T4_T5_mmT6_P12ihipStream_tbEUlT_E0_NS1_11comp_targetILNS1_3genE8ELNS1_11target_archE1030ELNS1_3gpuE2ELNS1_3repE0EEENS1_30default_config_static_selectorELNS0_4arch9wavefront6targetE0EEEvS11_.num_vgpr, 52
	.set _ZN7rocprim17ROCPRIM_400000_NS6detail17trampoline_kernelINS0_14default_configENS1_21merge_config_selectorINS0_5tupleIJxxEEENS0_10empty_typeEEEZNS1_10merge_implIS3_NS0_12zip_iteratorINS5_IJN6thrust23THRUST_200600_302600_NS6detail15normal_iteratorINSC_10device_ptrIKxEEEESI_EEEEESK_NSA_INS5_IJNSC_16discard_iteratorINSC_11use_defaultEEESN_EEEEEPS7_SQ_SQ_NSC_11hip_rocprim7__merge17predicate_wrapperIxxNSC_4lessIxEEEEEE10hipError_tPvRmT0_T1_T2_T3_T4_T5_mmT6_P12ihipStream_tbEUlT_E0_NS1_11comp_targetILNS1_3genE8ELNS1_11target_archE1030ELNS1_3gpuE2ELNS1_3repE0EEENS1_30default_config_static_selectorELNS0_4arch9wavefront6targetE0EEEvS11_.num_agpr, 0
	.set _ZN7rocprim17ROCPRIM_400000_NS6detail17trampoline_kernelINS0_14default_configENS1_21merge_config_selectorINS0_5tupleIJxxEEENS0_10empty_typeEEEZNS1_10merge_implIS3_NS0_12zip_iteratorINS5_IJN6thrust23THRUST_200600_302600_NS6detail15normal_iteratorINSC_10device_ptrIKxEEEESI_EEEEESK_NSA_INS5_IJNSC_16discard_iteratorINSC_11use_defaultEEESN_EEEEEPS7_SQ_SQ_NSC_11hip_rocprim7__merge17predicate_wrapperIxxNSC_4lessIxEEEEEE10hipError_tPvRmT0_T1_T2_T3_T4_T5_mmT6_P12ihipStream_tbEUlT_E0_NS1_11comp_targetILNS1_3genE8ELNS1_11target_archE1030ELNS1_3gpuE2ELNS1_3repE0EEENS1_30default_config_static_selectorELNS0_4arch9wavefront6targetE0EEEvS11_.numbered_sgpr, 24
	.set _ZN7rocprim17ROCPRIM_400000_NS6detail17trampoline_kernelINS0_14default_configENS1_21merge_config_selectorINS0_5tupleIJxxEEENS0_10empty_typeEEEZNS1_10merge_implIS3_NS0_12zip_iteratorINS5_IJN6thrust23THRUST_200600_302600_NS6detail15normal_iteratorINSC_10device_ptrIKxEEEESI_EEEEESK_NSA_INS5_IJNSC_16discard_iteratorINSC_11use_defaultEEESN_EEEEEPS7_SQ_SQ_NSC_11hip_rocprim7__merge17predicate_wrapperIxxNSC_4lessIxEEEEEE10hipError_tPvRmT0_T1_T2_T3_T4_T5_mmT6_P12ihipStream_tbEUlT_E0_NS1_11comp_targetILNS1_3genE8ELNS1_11target_archE1030ELNS1_3gpuE2ELNS1_3repE0EEENS1_30default_config_static_selectorELNS0_4arch9wavefront6targetE0EEEvS11_.num_named_barrier, 0
	.set _ZN7rocprim17ROCPRIM_400000_NS6detail17trampoline_kernelINS0_14default_configENS1_21merge_config_selectorINS0_5tupleIJxxEEENS0_10empty_typeEEEZNS1_10merge_implIS3_NS0_12zip_iteratorINS5_IJN6thrust23THRUST_200600_302600_NS6detail15normal_iteratorINSC_10device_ptrIKxEEEESI_EEEEESK_NSA_INS5_IJNSC_16discard_iteratorINSC_11use_defaultEEESN_EEEEEPS7_SQ_SQ_NSC_11hip_rocprim7__merge17predicate_wrapperIxxNSC_4lessIxEEEEEE10hipError_tPvRmT0_T1_T2_T3_T4_T5_mmT6_P12ihipStream_tbEUlT_E0_NS1_11comp_targetILNS1_3genE8ELNS1_11target_archE1030ELNS1_3gpuE2ELNS1_3repE0EEENS1_30default_config_static_selectorELNS0_4arch9wavefront6targetE0EEEvS11_.private_seg_size, 0
	.set _ZN7rocprim17ROCPRIM_400000_NS6detail17trampoline_kernelINS0_14default_configENS1_21merge_config_selectorINS0_5tupleIJxxEEENS0_10empty_typeEEEZNS1_10merge_implIS3_NS0_12zip_iteratorINS5_IJN6thrust23THRUST_200600_302600_NS6detail15normal_iteratorINSC_10device_ptrIKxEEEESI_EEEEESK_NSA_INS5_IJNSC_16discard_iteratorINSC_11use_defaultEEESN_EEEEEPS7_SQ_SQ_NSC_11hip_rocprim7__merge17predicate_wrapperIxxNSC_4lessIxEEEEEE10hipError_tPvRmT0_T1_T2_T3_T4_T5_mmT6_P12ihipStream_tbEUlT_E0_NS1_11comp_targetILNS1_3genE8ELNS1_11target_archE1030ELNS1_3gpuE2ELNS1_3repE0EEENS1_30default_config_static_selectorELNS0_4arch9wavefront6targetE0EEEvS11_.uses_vcc, 1
	.set _ZN7rocprim17ROCPRIM_400000_NS6detail17trampoline_kernelINS0_14default_configENS1_21merge_config_selectorINS0_5tupleIJxxEEENS0_10empty_typeEEEZNS1_10merge_implIS3_NS0_12zip_iteratorINS5_IJN6thrust23THRUST_200600_302600_NS6detail15normal_iteratorINSC_10device_ptrIKxEEEESI_EEEEESK_NSA_INS5_IJNSC_16discard_iteratorINSC_11use_defaultEEESN_EEEEEPS7_SQ_SQ_NSC_11hip_rocprim7__merge17predicate_wrapperIxxNSC_4lessIxEEEEEE10hipError_tPvRmT0_T1_T2_T3_T4_T5_mmT6_P12ihipStream_tbEUlT_E0_NS1_11comp_targetILNS1_3genE8ELNS1_11target_archE1030ELNS1_3gpuE2ELNS1_3repE0EEENS1_30default_config_static_selectorELNS0_4arch9wavefront6targetE0EEEvS11_.uses_flat_scratch, 0
	.set _ZN7rocprim17ROCPRIM_400000_NS6detail17trampoline_kernelINS0_14default_configENS1_21merge_config_selectorINS0_5tupleIJxxEEENS0_10empty_typeEEEZNS1_10merge_implIS3_NS0_12zip_iteratorINS5_IJN6thrust23THRUST_200600_302600_NS6detail15normal_iteratorINSC_10device_ptrIKxEEEESI_EEEEESK_NSA_INS5_IJNSC_16discard_iteratorINSC_11use_defaultEEESN_EEEEEPS7_SQ_SQ_NSC_11hip_rocprim7__merge17predicate_wrapperIxxNSC_4lessIxEEEEEE10hipError_tPvRmT0_T1_T2_T3_T4_T5_mmT6_P12ihipStream_tbEUlT_E0_NS1_11comp_targetILNS1_3genE8ELNS1_11target_archE1030ELNS1_3gpuE2ELNS1_3repE0EEENS1_30default_config_static_selectorELNS0_4arch9wavefront6targetE0EEEvS11_.has_dyn_sized_stack, 0
	.set _ZN7rocprim17ROCPRIM_400000_NS6detail17trampoline_kernelINS0_14default_configENS1_21merge_config_selectorINS0_5tupleIJxxEEENS0_10empty_typeEEEZNS1_10merge_implIS3_NS0_12zip_iteratorINS5_IJN6thrust23THRUST_200600_302600_NS6detail15normal_iteratorINSC_10device_ptrIKxEEEESI_EEEEESK_NSA_INS5_IJNSC_16discard_iteratorINSC_11use_defaultEEESN_EEEEEPS7_SQ_SQ_NSC_11hip_rocprim7__merge17predicate_wrapperIxxNSC_4lessIxEEEEEE10hipError_tPvRmT0_T1_T2_T3_T4_T5_mmT6_P12ihipStream_tbEUlT_E0_NS1_11comp_targetILNS1_3genE8ELNS1_11target_archE1030ELNS1_3gpuE2ELNS1_3repE0EEENS1_30default_config_static_selectorELNS0_4arch9wavefront6targetE0EEEvS11_.has_recursion, 0
	.set _ZN7rocprim17ROCPRIM_400000_NS6detail17trampoline_kernelINS0_14default_configENS1_21merge_config_selectorINS0_5tupleIJxxEEENS0_10empty_typeEEEZNS1_10merge_implIS3_NS0_12zip_iteratorINS5_IJN6thrust23THRUST_200600_302600_NS6detail15normal_iteratorINSC_10device_ptrIKxEEEESI_EEEEESK_NSA_INS5_IJNSC_16discard_iteratorINSC_11use_defaultEEESN_EEEEEPS7_SQ_SQ_NSC_11hip_rocprim7__merge17predicate_wrapperIxxNSC_4lessIxEEEEEE10hipError_tPvRmT0_T1_T2_T3_T4_T5_mmT6_P12ihipStream_tbEUlT_E0_NS1_11comp_targetILNS1_3genE8ELNS1_11target_archE1030ELNS1_3gpuE2ELNS1_3repE0EEENS1_30default_config_static_selectorELNS0_4arch9wavefront6targetE0EEEvS11_.has_indirect_call, 0
	.section	.AMDGPU.csdata,"",@progbits
; Kernel info:
; codeLenInByte = 3136
; TotalNumSgprs: 26
; NumVgprs: 52
; ScratchSize: 0
; MemoryBound: 0
; FloatMode: 240
; IeeeMode: 1
; LDSByteSize: 33792 bytes/workgroup (compile time only)
; SGPRBlocks: 0
; VGPRBlocks: 18
; NumSGPRsForWavesPerEU: 26
; NumVGPRsForWavesPerEU: 145
; Occupancy: 6
; WaveLimiterHint : 1
; COMPUTE_PGM_RSRC2:SCRATCH_EN: 0
; COMPUTE_PGM_RSRC2:USER_SGPR: 6
; COMPUTE_PGM_RSRC2:TRAP_HANDLER: 0
; COMPUTE_PGM_RSRC2:TGID_X_EN: 1
; COMPUTE_PGM_RSRC2:TGID_Y_EN: 0
; COMPUTE_PGM_RSRC2:TGID_Z_EN: 0
; COMPUTE_PGM_RSRC2:TIDIG_COMP_CNT: 0
	.section	.text._ZN7rocprim17ROCPRIM_400000_NS6detail17trampoline_kernelINS0_14default_configENS1_21merge_config_selectorINS0_5tupleIJiiEEENS0_10empty_typeEEEZNS1_10merge_implIS3_NS0_12zip_iteratorINS5_IJN6thrust23THRUST_200600_302600_NS6detail15normal_iteratorINSC_10device_ptrIKiEEEESI_EEEEESK_NSA_INS5_IJNSC_16discard_iteratorINSC_11use_defaultEEESN_EEEEEPS7_SQ_SQ_NSC_11hip_rocprim7__merge17predicate_wrapperIiiNSC_4lessIiEEEEEE10hipError_tPvRmT0_T1_T2_T3_T4_T5_mmT6_P12ihipStream_tbEUlT_E_NS1_11comp_targetILNS1_3genE0ELNS1_11target_archE4294967295ELNS1_3gpuE0ELNS1_3repE0EEENS1_30default_config_static_selectorELNS0_4arch9wavefront6targetE0EEEvS11_,"axG",@progbits,_ZN7rocprim17ROCPRIM_400000_NS6detail17trampoline_kernelINS0_14default_configENS1_21merge_config_selectorINS0_5tupleIJiiEEENS0_10empty_typeEEEZNS1_10merge_implIS3_NS0_12zip_iteratorINS5_IJN6thrust23THRUST_200600_302600_NS6detail15normal_iteratorINSC_10device_ptrIKiEEEESI_EEEEESK_NSA_INS5_IJNSC_16discard_iteratorINSC_11use_defaultEEESN_EEEEEPS7_SQ_SQ_NSC_11hip_rocprim7__merge17predicate_wrapperIiiNSC_4lessIiEEEEEE10hipError_tPvRmT0_T1_T2_T3_T4_T5_mmT6_P12ihipStream_tbEUlT_E_NS1_11comp_targetILNS1_3genE0ELNS1_11target_archE4294967295ELNS1_3gpuE0ELNS1_3repE0EEENS1_30default_config_static_selectorELNS0_4arch9wavefront6targetE0EEEvS11_,comdat
	.protected	_ZN7rocprim17ROCPRIM_400000_NS6detail17trampoline_kernelINS0_14default_configENS1_21merge_config_selectorINS0_5tupleIJiiEEENS0_10empty_typeEEEZNS1_10merge_implIS3_NS0_12zip_iteratorINS5_IJN6thrust23THRUST_200600_302600_NS6detail15normal_iteratorINSC_10device_ptrIKiEEEESI_EEEEESK_NSA_INS5_IJNSC_16discard_iteratorINSC_11use_defaultEEESN_EEEEEPS7_SQ_SQ_NSC_11hip_rocprim7__merge17predicate_wrapperIiiNSC_4lessIiEEEEEE10hipError_tPvRmT0_T1_T2_T3_T4_T5_mmT6_P12ihipStream_tbEUlT_E_NS1_11comp_targetILNS1_3genE0ELNS1_11target_archE4294967295ELNS1_3gpuE0ELNS1_3repE0EEENS1_30default_config_static_selectorELNS0_4arch9wavefront6targetE0EEEvS11_ ; -- Begin function _ZN7rocprim17ROCPRIM_400000_NS6detail17trampoline_kernelINS0_14default_configENS1_21merge_config_selectorINS0_5tupleIJiiEEENS0_10empty_typeEEEZNS1_10merge_implIS3_NS0_12zip_iteratorINS5_IJN6thrust23THRUST_200600_302600_NS6detail15normal_iteratorINSC_10device_ptrIKiEEEESI_EEEEESK_NSA_INS5_IJNSC_16discard_iteratorINSC_11use_defaultEEESN_EEEEEPS7_SQ_SQ_NSC_11hip_rocprim7__merge17predicate_wrapperIiiNSC_4lessIiEEEEEE10hipError_tPvRmT0_T1_T2_T3_T4_T5_mmT6_P12ihipStream_tbEUlT_E_NS1_11comp_targetILNS1_3genE0ELNS1_11target_archE4294967295ELNS1_3gpuE0ELNS1_3repE0EEENS1_30default_config_static_selectorELNS0_4arch9wavefront6targetE0EEEvS11_
	.globl	_ZN7rocprim17ROCPRIM_400000_NS6detail17trampoline_kernelINS0_14default_configENS1_21merge_config_selectorINS0_5tupleIJiiEEENS0_10empty_typeEEEZNS1_10merge_implIS3_NS0_12zip_iteratorINS5_IJN6thrust23THRUST_200600_302600_NS6detail15normal_iteratorINSC_10device_ptrIKiEEEESI_EEEEESK_NSA_INS5_IJNSC_16discard_iteratorINSC_11use_defaultEEESN_EEEEEPS7_SQ_SQ_NSC_11hip_rocprim7__merge17predicate_wrapperIiiNSC_4lessIiEEEEEE10hipError_tPvRmT0_T1_T2_T3_T4_T5_mmT6_P12ihipStream_tbEUlT_E_NS1_11comp_targetILNS1_3genE0ELNS1_11target_archE4294967295ELNS1_3gpuE0ELNS1_3repE0EEENS1_30default_config_static_selectorELNS0_4arch9wavefront6targetE0EEEvS11_
	.p2align	8
	.type	_ZN7rocprim17ROCPRIM_400000_NS6detail17trampoline_kernelINS0_14default_configENS1_21merge_config_selectorINS0_5tupleIJiiEEENS0_10empty_typeEEEZNS1_10merge_implIS3_NS0_12zip_iteratorINS5_IJN6thrust23THRUST_200600_302600_NS6detail15normal_iteratorINSC_10device_ptrIKiEEEESI_EEEEESK_NSA_INS5_IJNSC_16discard_iteratorINSC_11use_defaultEEESN_EEEEEPS7_SQ_SQ_NSC_11hip_rocprim7__merge17predicate_wrapperIiiNSC_4lessIiEEEEEE10hipError_tPvRmT0_T1_T2_T3_T4_T5_mmT6_P12ihipStream_tbEUlT_E_NS1_11comp_targetILNS1_3genE0ELNS1_11target_archE4294967295ELNS1_3gpuE0ELNS1_3repE0EEENS1_30default_config_static_selectorELNS0_4arch9wavefront6targetE0EEEvS11_,@function
_ZN7rocprim17ROCPRIM_400000_NS6detail17trampoline_kernelINS0_14default_configENS1_21merge_config_selectorINS0_5tupleIJiiEEENS0_10empty_typeEEEZNS1_10merge_implIS3_NS0_12zip_iteratorINS5_IJN6thrust23THRUST_200600_302600_NS6detail15normal_iteratorINSC_10device_ptrIKiEEEESI_EEEEESK_NSA_INS5_IJNSC_16discard_iteratorINSC_11use_defaultEEESN_EEEEEPS7_SQ_SQ_NSC_11hip_rocprim7__merge17predicate_wrapperIiiNSC_4lessIiEEEEEE10hipError_tPvRmT0_T1_T2_T3_T4_T5_mmT6_P12ihipStream_tbEUlT_E_NS1_11comp_targetILNS1_3genE0ELNS1_11target_archE4294967295ELNS1_3gpuE0ELNS1_3repE0EEENS1_30default_config_static_selectorELNS0_4arch9wavefront6targetE0EEEvS11_: ; @_ZN7rocprim17ROCPRIM_400000_NS6detail17trampoline_kernelINS0_14default_configENS1_21merge_config_selectorINS0_5tupleIJiiEEENS0_10empty_typeEEEZNS1_10merge_implIS3_NS0_12zip_iteratorINS5_IJN6thrust23THRUST_200600_302600_NS6detail15normal_iteratorINSC_10device_ptrIKiEEEESI_EEEEESK_NSA_INS5_IJNSC_16discard_iteratorINSC_11use_defaultEEESN_EEEEEPS7_SQ_SQ_NSC_11hip_rocprim7__merge17predicate_wrapperIiiNSC_4lessIiEEEEEE10hipError_tPvRmT0_T1_T2_T3_T4_T5_mmT6_P12ihipStream_tbEUlT_E_NS1_11comp_targetILNS1_3genE0ELNS1_11target_archE4294967295ELNS1_3gpuE0ELNS1_3repE0EEENS1_30default_config_static_selectorELNS0_4arch9wavefront6targetE0EEEvS11_
; %bb.0:
	.section	.rodata,"a",@progbits
	.p2align	6, 0x0
	.amdhsa_kernel _ZN7rocprim17ROCPRIM_400000_NS6detail17trampoline_kernelINS0_14default_configENS1_21merge_config_selectorINS0_5tupleIJiiEEENS0_10empty_typeEEEZNS1_10merge_implIS3_NS0_12zip_iteratorINS5_IJN6thrust23THRUST_200600_302600_NS6detail15normal_iteratorINSC_10device_ptrIKiEEEESI_EEEEESK_NSA_INS5_IJNSC_16discard_iteratorINSC_11use_defaultEEESN_EEEEEPS7_SQ_SQ_NSC_11hip_rocprim7__merge17predicate_wrapperIiiNSC_4lessIiEEEEEE10hipError_tPvRmT0_T1_T2_T3_T4_T5_mmT6_P12ihipStream_tbEUlT_E_NS1_11comp_targetILNS1_3genE0ELNS1_11target_archE4294967295ELNS1_3gpuE0ELNS1_3repE0EEENS1_30default_config_static_selectorELNS0_4arch9wavefront6targetE0EEEvS11_
		.amdhsa_group_segment_fixed_size 0
		.amdhsa_private_segment_fixed_size 0
		.amdhsa_kernarg_size 64
		.amdhsa_user_sgpr_count 6
		.amdhsa_user_sgpr_private_segment_buffer 1
		.amdhsa_user_sgpr_dispatch_ptr 0
		.amdhsa_user_sgpr_queue_ptr 0
		.amdhsa_user_sgpr_kernarg_segment_ptr 1
		.amdhsa_user_sgpr_dispatch_id 0
		.amdhsa_user_sgpr_flat_scratch_init 0
		.amdhsa_user_sgpr_private_segment_size 0
		.amdhsa_wavefront_size32 1
		.amdhsa_uses_dynamic_stack 0
		.amdhsa_system_sgpr_private_segment_wavefront_offset 0
		.amdhsa_system_sgpr_workgroup_id_x 1
		.amdhsa_system_sgpr_workgroup_id_y 0
		.amdhsa_system_sgpr_workgroup_id_z 0
		.amdhsa_system_sgpr_workgroup_info 0
		.amdhsa_system_vgpr_workitem_id 0
		.amdhsa_next_free_vgpr 1
		.amdhsa_next_free_sgpr 1
		.amdhsa_reserve_vcc 0
		.amdhsa_reserve_flat_scratch 0
		.amdhsa_float_round_mode_32 0
		.amdhsa_float_round_mode_16_64 0
		.amdhsa_float_denorm_mode_32 3
		.amdhsa_float_denorm_mode_16_64 3
		.amdhsa_dx10_clamp 1
		.amdhsa_ieee_mode 1
		.amdhsa_fp16_overflow 0
		.amdhsa_workgroup_processor_mode 1
		.amdhsa_memory_ordered 1
		.amdhsa_forward_progress 1
		.amdhsa_shared_vgpr_count 0
		.amdhsa_exception_fp_ieee_invalid_op 0
		.amdhsa_exception_fp_denorm_src 0
		.amdhsa_exception_fp_ieee_div_zero 0
		.amdhsa_exception_fp_ieee_overflow 0
		.amdhsa_exception_fp_ieee_underflow 0
		.amdhsa_exception_fp_ieee_inexact 0
		.amdhsa_exception_int_div_zero 0
	.end_amdhsa_kernel
	.section	.text._ZN7rocprim17ROCPRIM_400000_NS6detail17trampoline_kernelINS0_14default_configENS1_21merge_config_selectorINS0_5tupleIJiiEEENS0_10empty_typeEEEZNS1_10merge_implIS3_NS0_12zip_iteratorINS5_IJN6thrust23THRUST_200600_302600_NS6detail15normal_iteratorINSC_10device_ptrIKiEEEESI_EEEEESK_NSA_INS5_IJNSC_16discard_iteratorINSC_11use_defaultEEESN_EEEEEPS7_SQ_SQ_NSC_11hip_rocprim7__merge17predicate_wrapperIiiNSC_4lessIiEEEEEE10hipError_tPvRmT0_T1_T2_T3_T4_T5_mmT6_P12ihipStream_tbEUlT_E_NS1_11comp_targetILNS1_3genE0ELNS1_11target_archE4294967295ELNS1_3gpuE0ELNS1_3repE0EEENS1_30default_config_static_selectorELNS0_4arch9wavefront6targetE0EEEvS11_,"axG",@progbits,_ZN7rocprim17ROCPRIM_400000_NS6detail17trampoline_kernelINS0_14default_configENS1_21merge_config_selectorINS0_5tupleIJiiEEENS0_10empty_typeEEEZNS1_10merge_implIS3_NS0_12zip_iteratorINS5_IJN6thrust23THRUST_200600_302600_NS6detail15normal_iteratorINSC_10device_ptrIKiEEEESI_EEEEESK_NSA_INS5_IJNSC_16discard_iteratorINSC_11use_defaultEEESN_EEEEEPS7_SQ_SQ_NSC_11hip_rocprim7__merge17predicate_wrapperIiiNSC_4lessIiEEEEEE10hipError_tPvRmT0_T1_T2_T3_T4_T5_mmT6_P12ihipStream_tbEUlT_E_NS1_11comp_targetILNS1_3genE0ELNS1_11target_archE4294967295ELNS1_3gpuE0ELNS1_3repE0EEENS1_30default_config_static_selectorELNS0_4arch9wavefront6targetE0EEEvS11_,comdat
.Lfunc_end587:
	.size	_ZN7rocprim17ROCPRIM_400000_NS6detail17trampoline_kernelINS0_14default_configENS1_21merge_config_selectorINS0_5tupleIJiiEEENS0_10empty_typeEEEZNS1_10merge_implIS3_NS0_12zip_iteratorINS5_IJN6thrust23THRUST_200600_302600_NS6detail15normal_iteratorINSC_10device_ptrIKiEEEESI_EEEEESK_NSA_INS5_IJNSC_16discard_iteratorINSC_11use_defaultEEESN_EEEEEPS7_SQ_SQ_NSC_11hip_rocprim7__merge17predicate_wrapperIiiNSC_4lessIiEEEEEE10hipError_tPvRmT0_T1_T2_T3_T4_T5_mmT6_P12ihipStream_tbEUlT_E_NS1_11comp_targetILNS1_3genE0ELNS1_11target_archE4294967295ELNS1_3gpuE0ELNS1_3repE0EEENS1_30default_config_static_selectorELNS0_4arch9wavefront6targetE0EEEvS11_, .Lfunc_end587-_ZN7rocprim17ROCPRIM_400000_NS6detail17trampoline_kernelINS0_14default_configENS1_21merge_config_selectorINS0_5tupleIJiiEEENS0_10empty_typeEEEZNS1_10merge_implIS3_NS0_12zip_iteratorINS5_IJN6thrust23THRUST_200600_302600_NS6detail15normal_iteratorINSC_10device_ptrIKiEEEESI_EEEEESK_NSA_INS5_IJNSC_16discard_iteratorINSC_11use_defaultEEESN_EEEEEPS7_SQ_SQ_NSC_11hip_rocprim7__merge17predicate_wrapperIiiNSC_4lessIiEEEEEE10hipError_tPvRmT0_T1_T2_T3_T4_T5_mmT6_P12ihipStream_tbEUlT_E_NS1_11comp_targetILNS1_3genE0ELNS1_11target_archE4294967295ELNS1_3gpuE0ELNS1_3repE0EEENS1_30default_config_static_selectorELNS0_4arch9wavefront6targetE0EEEvS11_
                                        ; -- End function
	.set _ZN7rocprim17ROCPRIM_400000_NS6detail17trampoline_kernelINS0_14default_configENS1_21merge_config_selectorINS0_5tupleIJiiEEENS0_10empty_typeEEEZNS1_10merge_implIS3_NS0_12zip_iteratorINS5_IJN6thrust23THRUST_200600_302600_NS6detail15normal_iteratorINSC_10device_ptrIKiEEEESI_EEEEESK_NSA_INS5_IJNSC_16discard_iteratorINSC_11use_defaultEEESN_EEEEEPS7_SQ_SQ_NSC_11hip_rocprim7__merge17predicate_wrapperIiiNSC_4lessIiEEEEEE10hipError_tPvRmT0_T1_T2_T3_T4_T5_mmT6_P12ihipStream_tbEUlT_E_NS1_11comp_targetILNS1_3genE0ELNS1_11target_archE4294967295ELNS1_3gpuE0ELNS1_3repE0EEENS1_30default_config_static_selectorELNS0_4arch9wavefront6targetE0EEEvS11_.num_vgpr, 0
	.set _ZN7rocprim17ROCPRIM_400000_NS6detail17trampoline_kernelINS0_14default_configENS1_21merge_config_selectorINS0_5tupleIJiiEEENS0_10empty_typeEEEZNS1_10merge_implIS3_NS0_12zip_iteratorINS5_IJN6thrust23THRUST_200600_302600_NS6detail15normal_iteratorINSC_10device_ptrIKiEEEESI_EEEEESK_NSA_INS5_IJNSC_16discard_iteratorINSC_11use_defaultEEESN_EEEEEPS7_SQ_SQ_NSC_11hip_rocprim7__merge17predicate_wrapperIiiNSC_4lessIiEEEEEE10hipError_tPvRmT0_T1_T2_T3_T4_T5_mmT6_P12ihipStream_tbEUlT_E_NS1_11comp_targetILNS1_3genE0ELNS1_11target_archE4294967295ELNS1_3gpuE0ELNS1_3repE0EEENS1_30default_config_static_selectorELNS0_4arch9wavefront6targetE0EEEvS11_.num_agpr, 0
	.set _ZN7rocprim17ROCPRIM_400000_NS6detail17trampoline_kernelINS0_14default_configENS1_21merge_config_selectorINS0_5tupleIJiiEEENS0_10empty_typeEEEZNS1_10merge_implIS3_NS0_12zip_iteratorINS5_IJN6thrust23THRUST_200600_302600_NS6detail15normal_iteratorINSC_10device_ptrIKiEEEESI_EEEEESK_NSA_INS5_IJNSC_16discard_iteratorINSC_11use_defaultEEESN_EEEEEPS7_SQ_SQ_NSC_11hip_rocprim7__merge17predicate_wrapperIiiNSC_4lessIiEEEEEE10hipError_tPvRmT0_T1_T2_T3_T4_T5_mmT6_P12ihipStream_tbEUlT_E_NS1_11comp_targetILNS1_3genE0ELNS1_11target_archE4294967295ELNS1_3gpuE0ELNS1_3repE0EEENS1_30default_config_static_selectorELNS0_4arch9wavefront6targetE0EEEvS11_.numbered_sgpr, 0
	.set _ZN7rocprim17ROCPRIM_400000_NS6detail17trampoline_kernelINS0_14default_configENS1_21merge_config_selectorINS0_5tupleIJiiEEENS0_10empty_typeEEEZNS1_10merge_implIS3_NS0_12zip_iteratorINS5_IJN6thrust23THRUST_200600_302600_NS6detail15normal_iteratorINSC_10device_ptrIKiEEEESI_EEEEESK_NSA_INS5_IJNSC_16discard_iteratorINSC_11use_defaultEEESN_EEEEEPS7_SQ_SQ_NSC_11hip_rocprim7__merge17predicate_wrapperIiiNSC_4lessIiEEEEEE10hipError_tPvRmT0_T1_T2_T3_T4_T5_mmT6_P12ihipStream_tbEUlT_E_NS1_11comp_targetILNS1_3genE0ELNS1_11target_archE4294967295ELNS1_3gpuE0ELNS1_3repE0EEENS1_30default_config_static_selectorELNS0_4arch9wavefront6targetE0EEEvS11_.num_named_barrier, 0
	.set _ZN7rocprim17ROCPRIM_400000_NS6detail17trampoline_kernelINS0_14default_configENS1_21merge_config_selectorINS0_5tupleIJiiEEENS0_10empty_typeEEEZNS1_10merge_implIS3_NS0_12zip_iteratorINS5_IJN6thrust23THRUST_200600_302600_NS6detail15normal_iteratorINSC_10device_ptrIKiEEEESI_EEEEESK_NSA_INS5_IJNSC_16discard_iteratorINSC_11use_defaultEEESN_EEEEEPS7_SQ_SQ_NSC_11hip_rocprim7__merge17predicate_wrapperIiiNSC_4lessIiEEEEEE10hipError_tPvRmT0_T1_T2_T3_T4_T5_mmT6_P12ihipStream_tbEUlT_E_NS1_11comp_targetILNS1_3genE0ELNS1_11target_archE4294967295ELNS1_3gpuE0ELNS1_3repE0EEENS1_30default_config_static_selectorELNS0_4arch9wavefront6targetE0EEEvS11_.private_seg_size, 0
	.set _ZN7rocprim17ROCPRIM_400000_NS6detail17trampoline_kernelINS0_14default_configENS1_21merge_config_selectorINS0_5tupleIJiiEEENS0_10empty_typeEEEZNS1_10merge_implIS3_NS0_12zip_iteratorINS5_IJN6thrust23THRUST_200600_302600_NS6detail15normal_iteratorINSC_10device_ptrIKiEEEESI_EEEEESK_NSA_INS5_IJNSC_16discard_iteratorINSC_11use_defaultEEESN_EEEEEPS7_SQ_SQ_NSC_11hip_rocprim7__merge17predicate_wrapperIiiNSC_4lessIiEEEEEE10hipError_tPvRmT0_T1_T2_T3_T4_T5_mmT6_P12ihipStream_tbEUlT_E_NS1_11comp_targetILNS1_3genE0ELNS1_11target_archE4294967295ELNS1_3gpuE0ELNS1_3repE0EEENS1_30default_config_static_selectorELNS0_4arch9wavefront6targetE0EEEvS11_.uses_vcc, 0
	.set _ZN7rocprim17ROCPRIM_400000_NS6detail17trampoline_kernelINS0_14default_configENS1_21merge_config_selectorINS0_5tupleIJiiEEENS0_10empty_typeEEEZNS1_10merge_implIS3_NS0_12zip_iteratorINS5_IJN6thrust23THRUST_200600_302600_NS6detail15normal_iteratorINSC_10device_ptrIKiEEEESI_EEEEESK_NSA_INS5_IJNSC_16discard_iteratorINSC_11use_defaultEEESN_EEEEEPS7_SQ_SQ_NSC_11hip_rocprim7__merge17predicate_wrapperIiiNSC_4lessIiEEEEEE10hipError_tPvRmT0_T1_T2_T3_T4_T5_mmT6_P12ihipStream_tbEUlT_E_NS1_11comp_targetILNS1_3genE0ELNS1_11target_archE4294967295ELNS1_3gpuE0ELNS1_3repE0EEENS1_30default_config_static_selectorELNS0_4arch9wavefront6targetE0EEEvS11_.uses_flat_scratch, 0
	.set _ZN7rocprim17ROCPRIM_400000_NS6detail17trampoline_kernelINS0_14default_configENS1_21merge_config_selectorINS0_5tupleIJiiEEENS0_10empty_typeEEEZNS1_10merge_implIS3_NS0_12zip_iteratorINS5_IJN6thrust23THRUST_200600_302600_NS6detail15normal_iteratorINSC_10device_ptrIKiEEEESI_EEEEESK_NSA_INS5_IJNSC_16discard_iteratorINSC_11use_defaultEEESN_EEEEEPS7_SQ_SQ_NSC_11hip_rocprim7__merge17predicate_wrapperIiiNSC_4lessIiEEEEEE10hipError_tPvRmT0_T1_T2_T3_T4_T5_mmT6_P12ihipStream_tbEUlT_E_NS1_11comp_targetILNS1_3genE0ELNS1_11target_archE4294967295ELNS1_3gpuE0ELNS1_3repE0EEENS1_30default_config_static_selectorELNS0_4arch9wavefront6targetE0EEEvS11_.has_dyn_sized_stack, 0
	.set _ZN7rocprim17ROCPRIM_400000_NS6detail17trampoline_kernelINS0_14default_configENS1_21merge_config_selectorINS0_5tupleIJiiEEENS0_10empty_typeEEEZNS1_10merge_implIS3_NS0_12zip_iteratorINS5_IJN6thrust23THRUST_200600_302600_NS6detail15normal_iteratorINSC_10device_ptrIKiEEEESI_EEEEESK_NSA_INS5_IJNSC_16discard_iteratorINSC_11use_defaultEEESN_EEEEEPS7_SQ_SQ_NSC_11hip_rocprim7__merge17predicate_wrapperIiiNSC_4lessIiEEEEEE10hipError_tPvRmT0_T1_T2_T3_T4_T5_mmT6_P12ihipStream_tbEUlT_E_NS1_11comp_targetILNS1_3genE0ELNS1_11target_archE4294967295ELNS1_3gpuE0ELNS1_3repE0EEENS1_30default_config_static_selectorELNS0_4arch9wavefront6targetE0EEEvS11_.has_recursion, 0
	.set _ZN7rocprim17ROCPRIM_400000_NS6detail17trampoline_kernelINS0_14default_configENS1_21merge_config_selectorINS0_5tupleIJiiEEENS0_10empty_typeEEEZNS1_10merge_implIS3_NS0_12zip_iteratorINS5_IJN6thrust23THRUST_200600_302600_NS6detail15normal_iteratorINSC_10device_ptrIKiEEEESI_EEEEESK_NSA_INS5_IJNSC_16discard_iteratorINSC_11use_defaultEEESN_EEEEEPS7_SQ_SQ_NSC_11hip_rocprim7__merge17predicate_wrapperIiiNSC_4lessIiEEEEEE10hipError_tPvRmT0_T1_T2_T3_T4_T5_mmT6_P12ihipStream_tbEUlT_E_NS1_11comp_targetILNS1_3genE0ELNS1_11target_archE4294967295ELNS1_3gpuE0ELNS1_3repE0EEENS1_30default_config_static_selectorELNS0_4arch9wavefront6targetE0EEEvS11_.has_indirect_call, 0
	.section	.AMDGPU.csdata,"",@progbits
; Kernel info:
; codeLenInByte = 0
; TotalNumSgprs: 0
; NumVgprs: 0
; ScratchSize: 0
; MemoryBound: 0
; FloatMode: 240
; IeeeMode: 1
; LDSByteSize: 0 bytes/workgroup (compile time only)
; SGPRBlocks: 0
; VGPRBlocks: 0
; NumSGPRsForWavesPerEU: 1
; NumVGPRsForWavesPerEU: 1
; Occupancy: 16
; WaveLimiterHint : 0
; COMPUTE_PGM_RSRC2:SCRATCH_EN: 0
; COMPUTE_PGM_RSRC2:USER_SGPR: 6
; COMPUTE_PGM_RSRC2:TRAP_HANDLER: 0
; COMPUTE_PGM_RSRC2:TGID_X_EN: 1
; COMPUTE_PGM_RSRC2:TGID_Y_EN: 0
; COMPUTE_PGM_RSRC2:TGID_Z_EN: 0
; COMPUTE_PGM_RSRC2:TIDIG_COMP_CNT: 0
	.section	.text._ZN7rocprim17ROCPRIM_400000_NS6detail17trampoline_kernelINS0_14default_configENS1_21merge_config_selectorINS0_5tupleIJiiEEENS0_10empty_typeEEEZNS1_10merge_implIS3_NS0_12zip_iteratorINS5_IJN6thrust23THRUST_200600_302600_NS6detail15normal_iteratorINSC_10device_ptrIKiEEEESI_EEEEESK_NSA_INS5_IJNSC_16discard_iteratorINSC_11use_defaultEEESN_EEEEEPS7_SQ_SQ_NSC_11hip_rocprim7__merge17predicate_wrapperIiiNSC_4lessIiEEEEEE10hipError_tPvRmT0_T1_T2_T3_T4_T5_mmT6_P12ihipStream_tbEUlT_E_NS1_11comp_targetILNS1_3genE5ELNS1_11target_archE942ELNS1_3gpuE9ELNS1_3repE0EEENS1_30default_config_static_selectorELNS0_4arch9wavefront6targetE0EEEvS11_,"axG",@progbits,_ZN7rocprim17ROCPRIM_400000_NS6detail17trampoline_kernelINS0_14default_configENS1_21merge_config_selectorINS0_5tupleIJiiEEENS0_10empty_typeEEEZNS1_10merge_implIS3_NS0_12zip_iteratorINS5_IJN6thrust23THRUST_200600_302600_NS6detail15normal_iteratorINSC_10device_ptrIKiEEEESI_EEEEESK_NSA_INS5_IJNSC_16discard_iteratorINSC_11use_defaultEEESN_EEEEEPS7_SQ_SQ_NSC_11hip_rocprim7__merge17predicate_wrapperIiiNSC_4lessIiEEEEEE10hipError_tPvRmT0_T1_T2_T3_T4_T5_mmT6_P12ihipStream_tbEUlT_E_NS1_11comp_targetILNS1_3genE5ELNS1_11target_archE942ELNS1_3gpuE9ELNS1_3repE0EEENS1_30default_config_static_selectorELNS0_4arch9wavefront6targetE0EEEvS11_,comdat
	.protected	_ZN7rocprim17ROCPRIM_400000_NS6detail17trampoline_kernelINS0_14default_configENS1_21merge_config_selectorINS0_5tupleIJiiEEENS0_10empty_typeEEEZNS1_10merge_implIS3_NS0_12zip_iteratorINS5_IJN6thrust23THRUST_200600_302600_NS6detail15normal_iteratorINSC_10device_ptrIKiEEEESI_EEEEESK_NSA_INS5_IJNSC_16discard_iteratorINSC_11use_defaultEEESN_EEEEEPS7_SQ_SQ_NSC_11hip_rocprim7__merge17predicate_wrapperIiiNSC_4lessIiEEEEEE10hipError_tPvRmT0_T1_T2_T3_T4_T5_mmT6_P12ihipStream_tbEUlT_E_NS1_11comp_targetILNS1_3genE5ELNS1_11target_archE942ELNS1_3gpuE9ELNS1_3repE0EEENS1_30default_config_static_selectorELNS0_4arch9wavefront6targetE0EEEvS11_ ; -- Begin function _ZN7rocprim17ROCPRIM_400000_NS6detail17trampoline_kernelINS0_14default_configENS1_21merge_config_selectorINS0_5tupleIJiiEEENS0_10empty_typeEEEZNS1_10merge_implIS3_NS0_12zip_iteratorINS5_IJN6thrust23THRUST_200600_302600_NS6detail15normal_iteratorINSC_10device_ptrIKiEEEESI_EEEEESK_NSA_INS5_IJNSC_16discard_iteratorINSC_11use_defaultEEESN_EEEEEPS7_SQ_SQ_NSC_11hip_rocprim7__merge17predicate_wrapperIiiNSC_4lessIiEEEEEE10hipError_tPvRmT0_T1_T2_T3_T4_T5_mmT6_P12ihipStream_tbEUlT_E_NS1_11comp_targetILNS1_3genE5ELNS1_11target_archE942ELNS1_3gpuE9ELNS1_3repE0EEENS1_30default_config_static_selectorELNS0_4arch9wavefront6targetE0EEEvS11_
	.globl	_ZN7rocprim17ROCPRIM_400000_NS6detail17trampoline_kernelINS0_14default_configENS1_21merge_config_selectorINS0_5tupleIJiiEEENS0_10empty_typeEEEZNS1_10merge_implIS3_NS0_12zip_iteratorINS5_IJN6thrust23THRUST_200600_302600_NS6detail15normal_iteratorINSC_10device_ptrIKiEEEESI_EEEEESK_NSA_INS5_IJNSC_16discard_iteratorINSC_11use_defaultEEESN_EEEEEPS7_SQ_SQ_NSC_11hip_rocprim7__merge17predicate_wrapperIiiNSC_4lessIiEEEEEE10hipError_tPvRmT0_T1_T2_T3_T4_T5_mmT6_P12ihipStream_tbEUlT_E_NS1_11comp_targetILNS1_3genE5ELNS1_11target_archE942ELNS1_3gpuE9ELNS1_3repE0EEENS1_30default_config_static_selectorELNS0_4arch9wavefront6targetE0EEEvS11_
	.p2align	8
	.type	_ZN7rocprim17ROCPRIM_400000_NS6detail17trampoline_kernelINS0_14default_configENS1_21merge_config_selectorINS0_5tupleIJiiEEENS0_10empty_typeEEEZNS1_10merge_implIS3_NS0_12zip_iteratorINS5_IJN6thrust23THRUST_200600_302600_NS6detail15normal_iteratorINSC_10device_ptrIKiEEEESI_EEEEESK_NSA_INS5_IJNSC_16discard_iteratorINSC_11use_defaultEEESN_EEEEEPS7_SQ_SQ_NSC_11hip_rocprim7__merge17predicate_wrapperIiiNSC_4lessIiEEEEEE10hipError_tPvRmT0_T1_T2_T3_T4_T5_mmT6_P12ihipStream_tbEUlT_E_NS1_11comp_targetILNS1_3genE5ELNS1_11target_archE942ELNS1_3gpuE9ELNS1_3repE0EEENS1_30default_config_static_selectorELNS0_4arch9wavefront6targetE0EEEvS11_,@function
_ZN7rocprim17ROCPRIM_400000_NS6detail17trampoline_kernelINS0_14default_configENS1_21merge_config_selectorINS0_5tupleIJiiEEENS0_10empty_typeEEEZNS1_10merge_implIS3_NS0_12zip_iteratorINS5_IJN6thrust23THRUST_200600_302600_NS6detail15normal_iteratorINSC_10device_ptrIKiEEEESI_EEEEESK_NSA_INS5_IJNSC_16discard_iteratorINSC_11use_defaultEEESN_EEEEEPS7_SQ_SQ_NSC_11hip_rocprim7__merge17predicate_wrapperIiiNSC_4lessIiEEEEEE10hipError_tPvRmT0_T1_T2_T3_T4_T5_mmT6_P12ihipStream_tbEUlT_E_NS1_11comp_targetILNS1_3genE5ELNS1_11target_archE942ELNS1_3gpuE9ELNS1_3repE0EEENS1_30default_config_static_selectorELNS0_4arch9wavefront6targetE0EEEvS11_: ; @_ZN7rocprim17ROCPRIM_400000_NS6detail17trampoline_kernelINS0_14default_configENS1_21merge_config_selectorINS0_5tupleIJiiEEENS0_10empty_typeEEEZNS1_10merge_implIS3_NS0_12zip_iteratorINS5_IJN6thrust23THRUST_200600_302600_NS6detail15normal_iteratorINSC_10device_ptrIKiEEEESI_EEEEESK_NSA_INS5_IJNSC_16discard_iteratorINSC_11use_defaultEEESN_EEEEEPS7_SQ_SQ_NSC_11hip_rocprim7__merge17predicate_wrapperIiiNSC_4lessIiEEEEEE10hipError_tPvRmT0_T1_T2_T3_T4_T5_mmT6_P12ihipStream_tbEUlT_E_NS1_11comp_targetILNS1_3genE5ELNS1_11target_archE942ELNS1_3gpuE9ELNS1_3repE0EEENS1_30default_config_static_selectorELNS0_4arch9wavefront6targetE0EEEvS11_
; %bb.0:
	.section	.rodata,"a",@progbits
	.p2align	6, 0x0
	.amdhsa_kernel _ZN7rocprim17ROCPRIM_400000_NS6detail17trampoline_kernelINS0_14default_configENS1_21merge_config_selectorINS0_5tupleIJiiEEENS0_10empty_typeEEEZNS1_10merge_implIS3_NS0_12zip_iteratorINS5_IJN6thrust23THRUST_200600_302600_NS6detail15normal_iteratorINSC_10device_ptrIKiEEEESI_EEEEESK_NSA_INS5_IJNSC_16discard_iteratorINSC_11use_defaultEEESN_EEEEEPS7_SQ_SQ_NSC_11hip_rocprim7__merge17predicate_wrapperIiiNSC_4lessIiEEEEEE10hipError_tPvRmT0_T1_T2_T3_T4_T5_mmT6_P12ihipStream_tbEUlT_E_NS1_11comp_targetILNS1_3genE5ELNS1_11target_archE942ELNS1_3gpuE9ELNS1_3repE0EEENS1_30default_config_static_selectorELNS0_4arch9wavefront6targetE0EEEvS11_
		.amdhsa_group_segment_fixed_size 0
		.amdhsa_private_segment_fixed_size 0
		.amdhsa_kernarg_size 64
		.amdhsa_user_sgpr_count 6
		.amdhsa_user_sgpr_private_segment_buffer 1
		.amdhsa_user_sgpr_dispatch_ptr 0
		.amdhsa_user_sgpr_queue_ptr 0
		.amdhsa_user_sgpr_kernarg_segment_ptr 1
		.amdhsa_user_sgpr_dispatch_id 0
		.amdhsa_user_sgpr_flat_scratch_init 0
		.amdhsa_user_sgpr_private_segment_size 0
		.amdhsa_wavefront_size32 1
		.amdhsa_uses_dynamic_stack 0
		.amdhsa_system_sgpr_private_segment_wavefront_offset 0
		.amdhsa_system_sgpr_workgroup_id_x 1
		.amdhsa_system_sgpr_workgroup_id_y 0
		.amdhsa_system_sgpr_workgroup_id_z 0
		.amdhsa_system_sgpr_workgroup_info 0
		.amdhsa_system_vgpr_workitem_id 0
		.amdhsa_next_free_vgpr 1
		.amdhsa_next_free_sgpr 1
		.amdhsa_reserve_vcc 0
		.amdhsa_reserve_flat_scratch 0
		.amdhsa_float_round_mode_32 0
		.amdhsa_float_round_mode_16_64 0
		.amdhsa_float_denorm_mode_32 3
		.amdhsa_float_denorm_mode_16_64 3
		.amdhsa_dx10_clamp 1
		.amdhsa_ieee_mode 1
		.amdhsa_fp16_overflow 0
		.amdhsa_workgroup_processor_mode 1
		.amdhsa_memory_ordered 1
		.amdhsa_forward_progress 1
		.amdhsa_shared_vgpr_count 0
		.amdhsa_exception_fp_ieee_invalid_op 0
		.amdhsa_exception_fp_denorm_src 0
		.amdhsa_exception_fp_ieee_div_zero 0
		.amdhsa_exception_fp_ieee_overflow 0
		.amdhsa_exception_fp_ieee_underflow 0
		.amdhsa_exception_fp_ieee_inexact 0
		.amdhsa_exception_int_div_zero 0
	.end_amdhsa_kernel
	.section	.text._ZN7rocprim17ROCPRIM_400000_NS6detail17trampoline_kernelINS0_14default_configENS1_21merge_config_selectorINS0_5tupleIJiiEEENS0_10empty_typeEEEZNS1_10merge_implIS3_NS0_12zip_iteratorINS5_IJN6thrust23THRUST_200600_302600_NS6detail15normal_iteratorINSC_10device_ptrIKiEEEESI_EEEEESK_NSA_INS5_IJNSC_16discard_iteratorINSC_11use_defaultEEESN_EEEEEPS7_SQ_SQ_NSC_11hip_rocprim7__merge17predicate_wrapperIiiNSC_4lessIiEEEEEE10hipError_tPvRmT0_T1_T2_T3_T4_T5_mmT6_P12ihipStream_tbEUlT_E_NS1_11comp_targetILNS1_3genE5ELNS1_11target_archE942ELNS1_3gpuE9ELNS1_3repE0EEENS1_30default_config_static_selectorELNS0_4arch9wavefront6targetE0EEEvS11_,"axG",@progbits,_ZN7rocprim17ROCPRIM_400000_NS6detail17trampoline_kernelINS0_14default_configENS1_21merge_config_selectorINS0_5tupleIJiiEEENS0_10empty_typeEEEZNS1_10merge_implIS3_NS0_12zip_iteratorINS5_IJN6thrust23THRUST_200600_302600_NS6detail15normal_iteratorINSC_10device_ptrIKiEEEESI_EEEEESK_NSA_INS5_IJNSC_16discard_iteratorINSC_11use_defaultEEESN_EEEEEPS7_SQ_SQ_NSC_11hip_rocprim7__merge17predicate_wrapperIiiNSC_4lessIiEEEEEE10hipError_tPvRmT0_T1_T2_T3_T4_T5_mmT6_P12ihipStream_tbEUlT_E_NS1_11comp_targetILNS1_3genE5ELNS1_11target_archE942ELNS1_3gpuE9ELNS1_3repE0EEENS1_30default_config_static_selectorELNS0_4arch9wavefront6targetE0EEEvS11_,comdat
.Lfunc_end588:
	.size	_ZN7rocprim17ROCPRIM_400000_NS6detail17trampoline_kernelINS0_14default_configENS1_21merge_config_selectorINS0_5tupleIJiiEEENS0_10empty_typeEEEZNS1_10merge_implIS3_NS0_12zip_iteratorINS5_IJN6thrust23THRUST_200600_302600_NS6detail15normal_iteratorINSC_10device_ptrIKiEEEESI_EEEEESK_NSA_INS5_IJNSC_16discard_iteratorINSC_11use_defaultEEESN_EEEEEPS7_SQ_SQ_NSC_11hip_rocprim7__merge17predicate_wrapperIiiNSC_4lessIiEEEEEE10hipError_tPvRmT0_T1_T2_T3_T4_T5_mmT6_P12ihipStream_tbEUlT_E_NS1_11comp_targetILNS1_3genE5ELNS1_11target_archE942ELNS1_3gpuE9ELNS1_3repE0EEENS1_30default_config_static_selectorELNS0_4arch9wavefront6targetE0EEEvS11_, .Lfunc_end588-_ZN7rocprim17ROCPRIM_400000_NS6detail17trampoline_kernelINS0_14default_configENS1_21merge_config_selectorINS0_5tupleIJiiEEENS0_10empty_typeEEEZNS1_10merge_implIS3_NS0_12zip_iteratorINS5_IJN6thrust23THRUST_200600_302600_NS6detail15normal_iteratorINSC_10device_ptrIKiEEEESI_EEEEESK_NSA_INS5_IJNSC_16discard_iteratorINSC_11use_defaultEEESN_EEEEEPS7_SQ_SQ_NSC_11hip_rocprim7__merge17predicate_wrapperIiiNSC_4lessIiEEEEEE10hipError_tPvRmT0_T1_T2_T3_T4_T5_mmT6_P12ihipStream_tbEUlT_E_NS1_11comp_targetILNS1_3genE5ELNS1_11target_archE942ELNS1_3gpuE9ELNS1_3repE0EEENS1_30default_config_static_selectorELNS0_4arch9wavefront6targetE0EEEvS11_
                                        ; -- End function
	.set _ZN7rocprim17ROCPRIM_400000_NS6detail17trampoline_kernelINS0_14default_configENS1_21merge_config_selectorINS0_5tupleIJiiEEENS0_10empty_typeEEEZNS1_10merge_implIS3_NS0_12zip_iteratorINS5_IJN6thrust23THRUST_200600_302600_NS6detail15normal_iteratorINSC_10device_ptrIKiEEEESI_EEEEESK_NSA_INS5_IJNSC_16discard_iteratorINSC_11use_defaultEEESN_EEEEEPS7_SQ_SQ_NSC_11hip_rocprim7__merge17predicate_wrapperIiiNSC_4lessIiEEEEEE10hipError_tPvRmT0_T1_T2_T3_T4_T5_mmT6_P12ihipStream_tbEUlT_E_NS1_11comp_targetILNS1_3genE5ELNS1_11target_archE942ELNS1_3gpuE9ELNS1_3repE0EEENS1_30default_config_static_selectorELNS0_4arch9wavefront6targetE0EEEvS11_.num_vgpr, 0
	.set _ZN7rocprim17ROCPRIM_400000_NS6detail17trampoline_kernelINS0_14default_configENS1_21merge_config_selectorINS0_5tupleIJiiEEENS0_10empty_typeEEEZNS1_10merge_implIS3_NS0_12zip_iteratorINS5_IJN6thrust23THRUST_200600_302600_NS6detail15normal_iteratorINSC_10device_ptrIKiEEEESI_EEEEESK_NSA_INS5_IJNSC_16discard_iteratorINSC_11use_defaultEEESN_EEEEEPS7_SQ_SQ_NSC_11hip_rocprim7__merge17predicate_wrapperIiiNSC_4lessIiEEEEEE10hipError_tPvRmT0_T1_T2_T3_T4_T5_mmT6_P12ihipStream_tbEUlT_E_NS1_11comp_targetILNS1_3genE5ELNS1_11target_archE942ELNS1_3gpuE9ELNS1_3repE0EEENS1_30default_config_static_selectorELNS0_4arch9wavefront6targetE0EEEvS11_.num_agpr, 0
	.set _ZN7rocprim17ROCPRIM_400000_NS6detail17trampoline_kernelINS0_14default_configENS1_21merge_config_selectorINS0_5tupleIJiiEEENS0_10empty_typeEEEZNS1_10merge_implIS3_NS0_12zip_iteratorINS5_IJN6thrust23THRUST_200600_302600_NS6detail15normal_iteratorINSC_10device_ptrIKiEEEESI_EEEEESK_NSA_INS5_IJNSC_16discard_iteratorINSC_11use_defaultEEESN_EEEEEPS7_SQ_SQ_NSC_11hip_rocprim7__merge17predicate_wrapperIiiNSC_4lessIiEEEEEE10hipError_tPvRmT0_T1_T2_T3_T4_T5_mmT6_P12ihipStream_tbEUlT_E_NS1_11comp_targetILNS1_3genE5ELNS1_11target_archE942ELNS1_3gpuE9ELNS1_3repE0EEENS1_30default_config_static_selectorELNS0_4arch9wavefront6targetE0EEEvS11_.numbered_sgpr, 0
	.set _ZN7rocprim17ROCPRIM_400000_NS6detail17trampoline_kernelINS0_14default_configENS1_21merge_config_selectorINS0_5tupleIJiiEEENS0_10empty_typeEEEZNS1_10merge_implIS3_NS0_12zip_iteratorINS5_IJN6thrust23THRUST_200600_302600_NS6detail15normal_iteratorINSC_10device_ptrIKiEEEESI_EEEEESK_NSA_INS5_IJNSC_16discard_iteratorINSC_11use_defaultEEESN_EEEEEPS7_SQ_SQ_NSC_11hip_rocprim7__merge17predicate_wrapperIiiNSC_4lessIiEEEEEE10hipError_tPvRmT0_T1_T2_T3_T4_T5_mmT6_P12ihipStream_tbEUlT_E_NS1_11comp_targetILNS1_3genE5ELNS1_11target_archE942ELNS1_3gpuE9ELNS1_3repE0EEENS1_30default_config_static_selectorELNS0_4arch9wavefront6targetE0EEEvS11_.num_named_barrier, 0
	.set _ZN7rocprim17ROCPRIM_400000_NS6detail17trampoline_kernelINS0_14default_configENS1_21merge_config_selectorINS0_5tupleIJiiEEENS0_10empty_typeEEEZNS1_10merge_implIS3_NS0_12zip_iteratorINS5_IJN6thrust23THRUST_200600_302600_NS6detail15normal_iteratorINSC_10device_ptrIKiEEEESI_EEEEESK_NSA_INS5_IJNSC_16discard_iteratorINSC_11use_defaultEEESN_EEEEEPS7_SQ_SQ_NSC_11hip_rocprim7__merge17predicate_wrapperIiiNSC_4lessIiEEEEEE10hipError_tPvRmT0_T1_T2_T3_T4_T5_mmT6_P12ihipStream_tbEUlT_E_NS1_11comp_targetILNS1_3genE5ELNS1_11target_archE942ELNS1_3gpuE9ELNS1_3repE0EEENS1_30default_config_static_selectorELNS0_4arch9wavefront6targetE0EEEvS11_.private_seg_size, 0
	.set _ZN7rocprim17ROCPRIM_400000_NS6detail17trampoline_kernelINS0_14default_configENS1_21merge_config_selectorINS0_5tupleIJiiEEENS0_10empty_typeEEEZNS1_10merge_implIS3_NS0_12zip_iteratorINS5_IJN6thrust23THRUST_200600_302600_NS6detail15normal_iteratorINSC_10device_ptrIKiEEEESI_EEEEESK_NSA_INS5_IJNSC_16discard_iteratorINSC_11use_defaultEEESN_EEEEEPS7_SQ_SQ_NSC_11hip_rocprim7__merge17predicate_wrapperIiiNSC_4lessIiEEEEEE10hipError_tPvRmT0_T1_T2_T3_T4_T5_mmT6_P12ihipStream_tbEUlT_E_NS1_11comp_targetILNS1_3genE5ELNS1_11target_archE942ELNS1_3gpuE9ELNS1_3repE0EEENS1_30default_config_static_selectorELNS0_4arch9wavefront6targetE0EEEvS11_.uses_vcc, 0
	.set _ZN7rocprim17ROCPRIM_400000_NS6detail17trampoline_kernelINS0_14default_configENS1_21merge_config_selectorINS0_5tupleIJiiEEENS0_10empty_typeEEEZNS1_10merge_implIS3_NS0_12zip_iteratorINS5_IJN6thrust23THRUST_200600_302600_NS6detail15normal_iteratorINSC_10device_ptrIKiEEEESI_EEEEESK_NSA_INS5_IJNSC_16discard_iteratorINSC_11use_defaultEEESN_EEEEEPS7_SQ_SQ_NSC_11hip_rocprim7__merge17predicate_wrapperIiiNSC_4lessIiEEEEEE10hipError_tPvRmT0_T1_T2_T3_T4_T5_mmT6_P12ihipStream_tbEUlT_E_NS1_11comp_targetILNS1_3genE5ELNS1_11target_archE942ELNS1_3gpuE9ELNS1_3repE0EEENS1_30default_config_static_selectorELNS0_4arch9wavefront6targetE0EEEvS11_.uses_flat_scratch, 0
	.set _ZN7rocprim17ROCPRIM_400000_NS6detail17trampoline_kernelINS0_14default_configENS1_21merge_config_selectorINS0_5tupleIJiiEEENS0_10empty_typeEEEZNS1_10merge_implIS3_NS0_12zip_iteratorINS5_IJN6thrust23THRUST_200600_302600_NS6detail15normal_iteratorINSC_10device_ptrIKiEEEESI_EEEEESK_NSA_INS5_IJNSC_16discard_iteratorINSC_11use_defaultEEESN_EEEEEPS7_SQ_SQ_NSC_11hip_rocprim7__merge17predicate_wrapperIiiNSC_4lessIiEEEEEE10hipError_tPvRmT0_T1_T2_T3_T4_T5_mmT6_P12ihipStream_tbEUlT_E_NS1_11comp_targetILNS1_3genE5ELNS1_11target_archE942ELNS1_3gpuE9ELNS1_3repE0EEENS1_30default_config_static_selectorELNS0_4arch9wavefront6targetE0EEEvS11_.has_dyn_sized_stack, 0
	.set _ZN7rocprim17ROCPRIM_400000_NS6detail17trampoline_kernelINS0_14default_configENS1_21merge_config_selectorINS0_5tupleIJiiEEENS0_10empty_typeEEEZNS1_10merge_implIS3_NS0_12zip_iteratorINS5_IJN6thrust23THRUST_200600_302600_NS6detail15normal_iteratorINSC_10device_ptrIKiEEEESI_EEEEESK_NSA_INS5_IJNSC_16discard_iteratorINSC_11use_defaultEEESN_EEEEEPS7_SQ_SQ_NSC_11hip_rocprim7__merge17predicate_wrapperIiiNSC_4lessIiEEEEEE10hipError_tPvRmT0_T1_T2_T3_T4_T5_mmT6_P12ihipStream_tbEUlT_E_NS1_11comp_targetILNS1_3genE5ELNS1_11target_archE942ELNS1_3gpuE9ELNS1_3repE0EEENS1_30default_config_static_selectorELNS0_4arch9wavefront6targetE0EEEvS11_.has_recursion, 0
	.set _ZN7rocprim17ROCPRIM_400000_NS6detail17trampoline_kernelINS0_14default_configENS1_21merge_config_selectorINS0_5tupleIJiiEEENS0_10empty_typeEEEZNS1_10merge_implIS3_NS0_12zip_iteratorINS5_IJN6thrust23THRUST_200600_302600_NS6detail15normal_iteratorINSC_10device_ptrIKiEEEESI_EEEEESK_NSA_INS5_IJNSC_16discard_iteratorINSC_11use_defaultEEESN_EEEEEPS7_SQ_SQ_NSC_11hip_rocprim7__merge17predicate_wrapperIiiNSC_4lessIiEEEEEE10hipError_tPvRmT0_T1_T2_T3_T4_T5_mmT6_P12ihipStream_tbEUlT_E_NS1_11comp_targetILNS1_3genE5ELNS1_11target_archE942ELNS1_3gpuE9ELNS1_3repE0EEENS1_30default_config_static_selectorELNS0_4arch9wavefront6targetE0EEEvS11_.has_indirect_call, 0
	.section	.AMDGPU.csdata,"",@progbits
; Kernel info:
; codeLenInByte = 0
; TotalNumSgprs: 0
; NumVgprs: 0
; ScratchSize: 0
; MemoryBound: 0
; FloatMode: 240
; IeeeMode: 1
; LDSByteSize: 0 bytes/workgroup (compile time only)
; SGPRBlocks: 0
; VGPRBlocks: 0
; NumSGPRsForWavesPerEU: 1
; NumVGPRsForWavesPerEU: 1
; Occupancy: 16
; WaveLimiterHint : 0
; COMPUTE_PGM_RSRC2:SCRATCH_EN: 0
; COMPUTE_PGM_RSRC2:USER_SGPR: 6
; COMPUTE_PGM_RSRC2:TRAP_HANDLER: 0
; COMPUTE_PGM_RSRC2:TGID_X_EN: 1
; COMPUTE_PGM_RSRC2:TGID_Y_EN: 0
; COMPUTE_PGM_RSRC2:TGID_Z_EN: 0
; COMPUTE_PGM_RSRC2:TIDIG_COMP_CNT: 0
	.section	.text._ZN7rocprim17ROCPRIM_400000_NS6detail17trampoline_kernelINS0_14default_configENS1_21merge_config_selectorINS0_5tupleIJiiEEENS0_10empty_typeEEEZNS1_10merge_implIS3_NS0_12zip_iteratorINS5_IJN6thrust23THRUST_200600_302600_NS6detail15normal_iteratorINSC_10device_ptrIKiEEEESI_EEEEESK_NSA_INS5_IJNSC_16discard_iteratorINSC_11use_defaultEEESN_EEEEEPS7_SQ_SQ_NSC_11hip_rocprim7__merge17predicate_wrapperIiiNSC_4lessIiEEEEEE10hipError_tPvRmT0_T1_T2_T3_T4_T5_mmT6_P12ihipStream_tbEUlT_E_NS1_11comp_targetILNS1_3genE4ELNS1_11target_archE910ELNS1_3gpuE8ELNS1_3repE0EEENS1_30default_config_static_selectorELNS0_4arch9wavefront6targetE0EEEvS11_,"axG",@progbits,_ZN7rocprim17ROCPRIM_400000_NS6detail17trampoline_kernelINS0_14default_configENS1_21merge_config_selectorINS0_5tupleIJiiEEENS0_10empty_typeEEEZNS1_10merge_implIS3_NS0_12zip_iteratorINS5_IJN6thrust23THRUST_200600_302600_NS6detail15normal_iteratorINSC_10device_ptrIKiEEEESI_EEEEESK_NSA_INS5_IJNSC_16discard_iteratorINSC_11use_defaultEEESN_EEEEEPS7_SQ_SQ_NSC_11hip_rocprim7__merge17predicate_wrapperIiiNSC_4lessIiEEEEEE10hipError_tPvRmT0_T1_T2_T3_T4_T5_mmT6_P12ihipStream_tbEUlT_E_NS1_11comp_targetILNS1_3genE4ELNS1_11target_archE910ELNS1_3gpuE8ELNS1_3repE0EEENS1_30default_config_static_selectorELNS0_4arch9wavefront6targetE0EEEvS11_,comdat
	.protected	_ZN7rocprim17ROCPRIM_400000_NS6detail17trampoline_kernelINS0_14default_configENS1_21merge_config_selectorINS0_5tupleIJiiEEENS0_10empty_typeEEEZNS1_10merge_implIS3_NS0_12zip_iteratorINS5_IJN6thrust23THRUST_200600_302600_NS6detail15normal_iteratorINSC_10device_ptrIKiEEEESI_EEEEESK_NSA_INS5_IJNSC_16discard_iteratorINSC_11use_defaultEEESN_EEEEEPS7_SQ_SQ_NSC_11hip_rocprim7__merge17predicate_wrapperIiiNSC_4lessIiEEEEEE10hipError_tPvRmT0_T1_T2_T3_T4_T5_mmT6_P12ihipStream_tbEUlT_E_NS1_11comp_targetILNS1_3genE4ELNS1_11target_archE910ELNS1_3gpuE8ELNS1_3repE0EEENS1_30default_config_static_selectorELNS0_4arch9wavefront6targetE0EEEvS11_ ; -- Begin function _ZN7rocprim17ROCPRIM_400000_NS6detail17trampoline_kernelINS0_14default_configENS1_21merge_config_selectorINS0_5tupleIJiiEEENS0_10empty_typeEEEZNS1_10merge_implIS3_NS0_12zip_iteratorINS5_IJN6thrust23THRUST_200600_302600_NS6detail15normal_iteratorINSC_10device_ptrIKiEEEESI_EEEEESK_NSA_INS5_IJNSC_16discard_iteratorINSC_11use_defaultEEESN_EEEEEPS7_SQ_SQ_NSC_11hip_rocprim7__merge17predicate_wrapperIiiNSC_4lessIiEEEEEE10hipError_tPvRmT0_T1_T2_T3_T4_T5_mmT6_P12ihipStream_tbEUlT_E_NS1_11comp_targetILNS1_3genE4ELNS1_11target_archE910ELNS1_3gpuE8ELNS1_3repE0EEENS1_30default_config_static_selectorELNS0_4arch9wavefront6targetE0EEEvS11_
	.globl	_ZN7rocprim17ROCPRIM_400000_NS6detail17trampoline_kernelINS0_14default_configENS1_21merge_config_selectorINS0_5tupleIJiiEEENS0_10empty_typeEEEZNS1_10merge_implIS3_NS0_12zip_iteratorINS5_IJN6thrust23THRUST_200600_302600_NS6detail15normal_iteratorINSC_10device_ptrIKiEEEESI_EEEEESK_NSA_INS5_IJNSC_16discard_iteratorINSC_11use_defaultEEESN_EEEEEPS7_SQ_SQ_NSC_11hip_rocprim7__merge17predicate_wrapperIiiNSC_4lessIiEEEEEE10hipError_tPvRmT0_T1_T2_T3_T4_T5_mmT6_P12ihipStream_tbEUlT_E_NS1_11comp_targetILNS1_3genE4ELNS1_11target_archE910ELNS1_3gpuE8ELNS1_3repE0EEENS1_30default_config_static_selectorELNS0_4arch9wavefront6targetE0EEEvS11_
	.p2align	8
	.type	_ZN7rocprim17ROCPRIM_400000_NS6detail17trampoline_kernelINS0_14default_configENS1_21merge_config_selectorINS0_5tupleIJiiEEENS0_10empty_typeEEEZNS1_10merge_implIS3_NS0_12zip_iteratorINS5_IJN6thrust23THRUST_200600_302600_NS6detail15normal_iteratorINSC_10device_ptrIKiEEEESI_EEEEESK_NSA_INS5_IJNSC_16discard_iteratorINSC_11use_defaultEEESN_EEEEEPS7_SQ_SQ_NSC_11hip_rocprim7__merge17predicate_wrapperIiiNSC_4lessIiEEEEEE10hipError_tPvRmT0_T1_T2_T3_T4_T5_mmT6_P12ihipStream_tbEUlT_E_NS1_11comp_targetILNS1_3genE4ELNS1_11target_archE910ELNS1_3gpuE8ELNS1_3repE0EEENS1_30default_config_static_selectorELNS0_4arch9wavefront6targetE0EEEvS11_,@function
_ZN7rocprim17ROCPRIM_400000_NS6detail17trampoline_kernelINS0_14default_configENS1_21merge_config_selectorINS0_5tupleIJiiEEENS0_10empty_typeEEEZNS1_10merge_implIS3_NS0_12zip_iteratorINS5_IJN6thrust23THRUST_200600_302600_NS6detail15normal_iteratorINSC_10device_ptrIKiEEEESI_EEEEESK_NSA_INS5_IJNSC_16discard_iteratorINSC_11use_defaultEEESN_EEEEEPS7_SQ_SQ_NSC_11hip_rocprim7__merge17predicate_wrapperIiiNSC_4lessIiEEEEEE10hipError_tPvRmT0_T1_T2_T3_T4_T5_mmT6_P12ihipStream_tbEUlT_E_NS1_11comp_targetILNS1_3genE4ELNS1_11target_archE910ELNS1_3gpuE8ELNS1_3repE0EEENS1_30default_config_static_selectorELNS0_4arch9wavefront6targetE0EEEvS11_: ; @_ZN7rocprim17ROCPRIM_400000_NS6detail17trampoline_kernelINS0_14default_configENS1_21merge_config_selectorINS0_5tupleIJiiEEENS0_10empty_typeEEEZNS1_10merge_implIS3_NS0_12zip_iteratorINS5_IJN6thrust23THRUST_200600_302600_NS6detail15normal_iteratorINSC_10device_ptrIKiEEEESI_EEEEESK_NSA_INS5_IJNSC_16discard_iteratorINSC_11use_defaultEEESN_EEEEEPS7_SQ_SQ_NSC_11hip_rocprim7__merge17predicate_wrapperIiiNSC_4lessIiEEEEEE10hipError_tPvRmT0_T1_T2_T3_T4_T5_mmT6_P12ihipStream_tbEUlT_E_NS1_11comp_targetILNS1_3genE4ELNS1_11target_archE910ELNS1_3gpuE8ELNS1_3repE0EEENS1_30default_config_static_selectorELNS0_4arch9wavefront6targetE0EEEvS11_
; %bb.0:
	.section	.rodata,"a",@progbits
	.p2align	6, 0x0
	.amdhsa_kernel _ZN7rocprim17ROCPRIM_400000_NS6detail17trampoline_kernelINS0_14default_configENS1_21merge_config_selectorINS0_5tupleIJiiEEENS0_10empty_typeEEEZNS1_10merge_implIS3_NS0_12zip_iteratorINS5_IJN6thrust23THRUST_200600_302600_NS6detail15normal_iteratorINSC_10device_ptrIKiEEEESI_EEEEESK_NSA_INS5_IJNSC_16discard_iteratorINSC_11use_defaultEEESN_EEEEEPS7_SQ_SQ_NSC_11hip_rocprim7__merge17predicate_wrapperIiiNSC_4lessIiEEEEEE10hipError_tPvRmT0_T1_T2_T3_T4_T5_mmT6_P12ihipStream_tbEUlT_E_NS1_11comp_targetILNS1_3genE4ELNS1_11target_archE910ELNS1_3gpuE8ELNS1_3repE0EEENS1_30default_config_static_selectorELNS0_4arch9wavefront6targetE0EEEvS11_
		.amdhsa_group_segment_fixed_size 0
		.amdhsa_private_segment_fixed_size 0
		.amdhsa_kernarg_size 64
		.amdhsa_user_sgpr_count 6
		.amdhsa_user_sgpr_private_segment_buffer 1
		.amdhsa_user_sgpr_dispatch_ptr 0
		.amdhsa_user_sgpr_queue_ptr 0
		.amdhsa_user_sgpr_kernarg_segment_ptr 1
		.amdhsa_user_sgpr_dispatch_id 0
		.amdhsa_user_sgpr_flat_scratch_init 0
		.amdhsa_user_sgpr_private_segment_size 0
		.amdhsa_wavefront_size32 1
		.amdhsa_uses_dynamic_stack 0
		.amdhsa_system_sgpr_private_segment_wavefront_offset 0
		.amdhsa_system_sgpr_workgroup_id_x 1
		.amdhsa_system_sgpr_workgroup_id_y 0
		.amdhsa_system_sgpr_workgroup_id_z 0
		.amdhsa_system_sgpr_workgroup_info 0
		.amdhsa_system_vgpr_workitem_id 0
		.amdhsa_next_free_vgpr 1
		.amdhsa_next_free_sgpr 1
		.amdhsa_reserve_vcc 0
		.amdhsa_reserve_flat_scratch 0
		.amdhsa_float_round_mode_32 0
		.amdhsa_float_round_mode_16_64 0
		.amdhsa_float_denorm_mode_32 3
		.amdhsa_float_denorm_mode_16_64 3
		.amdhsa_dx10_clamp 1
		.amdhsa_ieee_mode 1
		.amdhsa_fp16_overflow 0
		.amdhsa_workgroup_processor_mode 1
		.amdhsa_memory_ordered 1
		.amdhsa_forward_progress 1
		.amdhsa_shared_vgpr_count 0
		.amdhsa_exception_fp_ieee_invalid_op 0
		.amdhsa_exception_fp_denorm_src 0
		.amdhsa_exception_fp_ieee_div_zero 0
		.amdhsa_exception_fp_ieee_overflow 0
		.amdhsa_exception_fp_ieee_underflow 0
		.amdhsa_exception_fp_ieee_inexact 0
		.amdhsa_exception_int_div_zero 0
	.end_amdhsa_kernel
	.section	.text._ZN7rocprim17ROCPRIM_400000_NS6detail17trampoline_kernelINS0_14default_configENS1_21merge_config_selectorINS0_5tupleIJiiEEENS0_10empty_typeEEEZNS1_10merge_implIS3_NS0_12zip_iteratorINS5_IJN6thrust23THRUST_200600_302600_NS6detail15normal_iteratorINSC_10device_ptrIKiEEEESI_EEEEESK_NSA_INS5_IJNSC_16discard_iteratorINSC_11use_defaultEEESN_EEEEEPS7_SQ_SQ_NSC_11hip_rocprim7__merge17predicate_wrapperIiiNSC_4lessIiEEEEEE10hipError_tPvRmT0_T1_T2_T3_T4_T5_mmT6_P12ihipStream_tbEUlT_E_NS1_11comp_targetILNS1_3genE4ELNS1_11target_archE910ELNS1_3gpuE8ELNS1_3repE0EEENS1_30default_config_static_selectorELNS0_4arch9wavefront6targetE0EEEvS11_,"axG",@progbits,_ZN7rocprim17ROCPRIM_400000_NS6detail17trampoline_kernelINS0_14default_configENS1_21merge_config_selectorINS0_5tupleIJiiEEENS0_10empty_typeEEEZNS1_10merge_implIS3_NS0_12zip_iteratorINS5_IJN6thrust23THRUST_200600_302600_NS6detail15normal_iteratorINSC_10device_ptrIKiEEEESI_EEEEESK_NSA_INS5_IJNSC_16discard_iteratorINSC_11use_defaultEEESN_EEEEEPS7_SQ_SQ_NSC_11hip_rocprim7__merge17predicate_wrapperIiiNSC_4lessIiEEEEEE10hipError_tPvRmT0_T1_T2_T3_T4_T5_mmT6_P12ihipStream_tbEUlT_E_NS1_11comp_targetILNS1_3genE4ELNS1_11target_archE910ELNS1_3gpuE8ELNS1_3repE0EEENS1_30default_config_static_selectorELNS0_4arch9wavefront6targetE0EEEvS11_,comdat
.Lfunc_end589:
	.size	_ZN7rocprim17ROCPRIM_400000_NS6detail17trampoline_kernelINS0_14default_configENS1_21merge_config_selectorINS0_5tupleIJiiEEENS0_10empty_typeEEEZNS1_10merge_implIS3_NS0_12zip_iteratorINS5_IJN6thrust23THRUST_200600_302600_NS6detail15normal_iteratorINSC_10device_ptrIKiEEEESI_EEEEESK_NSA_INS5_IJNSC_16discard_iteratorINSC_11use_defaultEEESN_EEEEEPS7_SQ_SQ_NSC_11hip_rocprim7__merge17predicate_wrapperIiiNSC_4lessIiEEEEEE10hipError_tPvRmT0_T1_T2_T3_T4_T5_mmT6_P12ihipStream_tbEUlT_E_NS1_11comp_targetILNS1_3genE4ELNS1_11target_archE910ELNS1_3gpuE8ELNS1_3repE0EEENS1_30default_config_static_selectorELNS0_4arch9wavefront6targetE0EEEvS11_, .Lfunc_end589-_ZN7rocprim17ROCPRIM_400000_NS6detail17trampoline_kernelINS0_14default_configENS1_21merge_config_selectorINS0_5tupleIJiiEEENS0_10empty_typeEEEZNS1_10merge_implIS3_NS0_12zip_iteratorINS5_IJN6thrust23THRUST_200600_302600_NS6detail15normal_iteratorINSC_10device_ptrIKiEEEESI_EEEEESK_NSA_INS5_IJNSC_16discard_iteratorINSC_11use_defaultEEESN_EEEEEPS7_SQ_SQ_NSC_11hip_rocprim7__merge17predicate_wrapperIiiNSC_4lessIiEEEEEE10hipError_tPvRmT0_T1_T2_T3_T4_T5_mmT6_P12ihipStream_tbEUlT_E_NS1_11comp_targetILNS1_3genE4ELNS1_11target_archE910ELNS1_3gpuE8ELNS1_3repE0EEENS1_30default_config_static_selectorELNS0_4arch9wavefront6targetE0EEEvS11_
                                        ; -- End function
	.set _ZN7rocprim17ROCPRIM_400000_NS6detail17trampoline_kernelINS0_14default_configENS1_21merge_config_selectorINS0_5tupleIJiiEEENS0_10empty_typeEEEZNS1_10merge_implIS3_NS0_12zip_iteratorINS5_IJN6thrust23THRUST_200600_302600_NS6detail15normal_iteratorINSC_10device_ptrIKiEEEESI_EEEEESK_NSA_INS5_IJNSC_16discard_iteratorINSC_11use_defaultEEESN_EEEEEPS7_SQ_SQ_NSC_11hip_rocprim7__merge17predicate_wrapperIiiNSC_4lessIiEEEEEE10hipError_tPvRmT0_T1_T2_T3_T4_T5_mmT6_P12ihipStream_tbEUlT_E_NS1_11comp_targetILNS1_3genE4ELNS1_11target_archE910ELNS1_3gpuE8ELNS1_3repE0EEENS1_30default_config_static_selectorELNS0_4arch9wavefront6targetE0EEEvS11_.num_vgpr, 0
	.set _ZN7rocprim17ROCPRIM_400000_NS6detail17trampoline_kernelINS0_14default_configENS1_21merge_config_selectorINS0_5tupleIJiiEEENS0_10empty_typeEEEZNS1_10merge_implIS3_NS0_12zip_iteratorINS5_IJN6thrust23THRUST_200600_302600_NS6detail15normal_iteratorINSC_10device_ptrIKiEEEESI_EEEEESK_NSA_INS5_IJNSC_16discard_iteratorINSC_11use_defaultEEESN_EEEEEPS7_SQ_SQ_NSC_11hip_rocprim7__merge17predicate_wrapperIiiNSC_4lessIiEEEEEE10hipError_tPvRmT0_T1_T2_T3_T4_T5_mmT6_P12ihipStream_tbEUlT_E_NS1_11comp_targetILNS1_3genE4ELNS1_11target_archE910ELNS1_3gpuE8ELNS1_3repE0EEENS1_30default_config_static_selectorELNS0_4arch9wavefront6targetE0EEEvS11_.num_agpr, 0
	.set _ZN7rocprim17ROCPRIM_400000_NS6detail17trampoline_kernelINS0_14default_configENS1_21merge_config_selectorINS0_5tupleIJiiEEENS0_10empty_typeEEEZNS1_10merge_implIS3_NS0_12zip_iteratorINS5_IJN6thrust23THRUST_200600_302600_NS6detail15normal_iteratorINSC_10device_ptrIKiEEEESI_EEEEESK_NSA_INS5_IJNSC_16discard_iteratorINSC_11use_defaultEEESN_EEEEEPS7_SQ_SQ_NSC_11hip_rocprim7__merge17predicate_wrapperIiiNSC_4lessIiEEEEEE10hipError_tPvRmT0_T1_T2_T3_T4_T5_mmT6_P12ihipStream_tbEUlT_E_NS1_11comp_targetILNS1_3genE4ELNS1_11target_archE910ELNS1_3gpuE8ELNS1_3repE0EEENS1_30default_config_static_selectorELNS0_4arch9wavefront6targetE0EEEvS11_.numbered_sgpr, 0
	.set _ZN7rocprim17ROCPRIM_400000_NS6detail17trampoline_kernelINS0_14default_configENS1_21merge_config_selectorINS0_5tupleIJiiEEENS0_10empty_typeEEEZNS1_10merge_implIS3_NS0_12zip_iteratorINS5_IJN6thrust23THRUST_200600_302600_NS6detail15normal_iteratorINSC_10device_ptrIKiEEEESI_EEEEESK_NSA_INS5_IJNSC_16discard_iteratorINSC_11use_defaultEEESN_EEEEEPS7_SQ_SQ_NSC_11hip_rocprim7__merge17predicate_wrapperIiiNSC_4lessIiEEEEEE10hipError_tPvRmT0_T1_T2_T3_T4_T5_mmT6_P12ihipStream_tbEUlT_E_NS1_11comp_targetILNS1_3genE4ELNS1_11target_archE910ELNS1_3gpuE8ELNS1_3repE0EEENS1_30default_config_static_selectorELNS0_4arch9wavefront6targetE0EEEvS11_.num_named_barrier, 0
	.set _ZN7rocprim17ROCPRIM_400000_NS6detail17trampoline_kernelINS0_14default_configENS1_21merge_config_selectorINS0_5tupleIJiiEEENS0_10empty_typeEEEZNS1_10merge_implIS3_NS0_12zip_iteratorINS5_IJN6thrust23THRUST_200600_302600_NS6detail15normal_iteratorINSC_10device_ptrIKiEEEESI_EEEEESK_NSA_INS5_IJNSC_16discard_iteratorINSC_11use_defaultEEESN_EEEEEPS7_SQ_SQ_NSC_11hip_rocprim7__merge17predicate_wrapperIiiNSC_4lessIiEEEEEE10hipError_tPvRmT0_T1_T2_T3_T4_T5_mmT6_P12ihipStream_tbEUlT_E_NS1_11comp_targetILNS1_3genE4ELNS1_11target_archE910ELNS1_3gpuE8ELNS1_3repE0EEENS1_30default_config_static_selectorELNS0_4arch9wavefront6targetE0EEEvS11_.private_seg_size, 0
	.set _ZN7rocprim17ROCPRIM_400000_NS6detail17trampoline_kernelINS0_14default_configENS1_21merge_config_selectorINS0_5tupleIJiiEEENS0_10empty_typeEEEZNS1_10merge_implIS3_NS0_12zip_iteratorINS5_IJN6thrust23THRUST_200600_302600_NS6detail15normal_iteratorINSC_10device_ptrIKiEEEESI_EEEEESK_NSA_INS5_IJNSC_16discard_iteratorINSC_11use_defaultEEESN_EEEEEPS7_SQ_SQ_NSC_11hip_rocprim7__merge17predicate_wrapperIiiNSC_4lessIiEEEEEE10hipError_tPvRmT0_T1_T2_T3_T4_T5_mmT6_P12ihipStream_tbEUlT_E_NS1_11comp_targetILNS1_3genE4ELNS1_11target_archE910ELNS1_3gpuE8ELNS1_3repE0EEENS1_30default_config_static_selectorELNS0_4arch9wavefront6targetE0EEEvS11_.uses_vcc, 0
	.set _ZN7rocprim17ROCPRIM_400000_NS6detail17trampoline_kernelINS0_14default_configENS1_21merge_config_selectorINS0_5tupleIJiiEEENS0_10empty_typeEEEZNS1_10merge_implIS3_NS0_12zip_iteratorINS5_IJN6thrust23THRUST_200600_302600_NS6detail15normal_iteratorINSC_10device_ptrIKiEEEESI_EEEEESK_NSA_INS5_IJNSC_16discard_iteratorINSC_11use_defaultEEESN_EEEEEPS7_SQ_SQ_NSC_11hip_rocprim7__merge17predicate_wrapperIiiNSC_4lessIiEEEEEE10hipError_tPvRmT0_T1_T2_T3_T4_T5_mmT6_P12ihipStream_tbEUlT_E_NS1_11comp_targetILNS1_3genE4ELNS1_11target_archE910ELNS1_3gpuE8ELNS1_3repE0EEENS1_30default_config_static_selectorELNS0_4arch9wavefront6targetE0EEEvS11_.uses_flat_scratch, 0
	.set _ZN7rocprim17ROCPRIM_400000_NS6detail17trampoline_kernelINS0_14default_configENS1_21merge_config_selectorINS0_5tupleIJiiEEENS0_10empty_typeEEEZNS1_10merge_implIS3_NS0_12zip_iteratorINS5_IJN6thrust23THRUST_200600_302600_NS6detail15normal_iteratorINSC_10device_ptrIKiEEEESI_EEEEESK_NSA_INS5_IJNSC_16discard_iteratorINSC_11use_defaultEEESN_EEEEEPS7_SQ_SQ_NSC_11hip_rocprim7__merge17predicate_wrapperIiiNSC_4lessIiEEEEEE10hipError_tPvRmT0_T1_T2_T3_T4_T5_mmT6_P12ihipStream_tbEUlT_E_NS1_11comp_targetILNS1_3genE4ELNS1_11target_archE910ELNS1_3gpuE8ELNS1_3repE0EEENS1_30default_config_static_selectorELNS0_4arch9wavefront6targetE0EEEvS11_.has_dyn_sized_stack, 0
	.set _ZN7rocprim17ROCPRIM_400000_NS6detail17trampoline_kernelINS0_14default_configENS1_21merge_config_selectorINS0_5tupleIJiiEEENS0_10empty_typeEEEZNS1_10merge_implIS3_NS0_12zip_iteratorINS5_IJN6thrust23THRUST_200600_302600_NS6detail15normal_iteratorINSC_10device_ptrIKiEEEESI_EEEEESK_NSA_INS5_IJNSC_16discard_iteratorINSC_11use_defaultEEESN_EEEEEPS7_SQ_SQ_NSC_11hip_rocprim7__merge17predicate_wrapperIiiNSC_4lessIiEEEEEE10hipError_tPvRmT0_T1_T2_T3_T4_T5_mmT6_P12ihipStream_tbEUlT_E_NS1_11comp_targetILNS1_3genE4ELNS1_11target_archE910ELNS1_3gpuE8ELNS1_3repE0EEENS1_30default_config_static_selectorELNS0_4arch9wavefront6targetE0EEEvS11_.has_recursion, 0
	.set _ZN7rocprim17ROCPRIM_400000_NS6detail17trampoline_kernelINS0_14default_configENS1_21merge_config_selectorINS0_5tupleIJiiEEENS0_10empty_typeEEEZNS1_10merge_implIS3_NS0_12zip_iteratorINS5_IJN6thrust23THRUST_200600_302600_NS6detail15normal_iteratorINSC_10device_ptrIKiEEEESI_EEEEESK_NSA_INS5_IJNSC_16discard_iteratorINSC_11use_defaultEEESN_EEEEEPS7_SQ_SQ_NSC_11hip_rocprim7__merge17predicate_wrapperIiiNSC_4lessIiEEEEEE10hipError_tPvRmT0_T1_T2_T3_T4_T5_mmT6_P12ihipStream_tbEUlT_E_NS1_11comp_targetILNS1_3genE4ELNS1_11target_archE910ELNS1_3gpuE8ELNS1_3repE0EEENS1_30default_config_static_selectorELNS0_4arch9wavefront6targetE0EEEvS11_.has_indirect_call, 0
	.section	.AMDGPU.csdata,"",@progbits
; Kernel info:
; codeLenInByte = 0
; TotalNumSgprs: 0
; NumVgprs: 0
; ScratchSize: 0
; MemoryBound: 0
; FloatMode: 240
; IeeeMode: 1
; LDSByteSize: 0 bytes/workgroup (compile time only)
; SGPRBlocks: 0
; VGPRBlocks: 0
; NumSGPRsForWavesPerEU: 1
; NumVGPRsForWavesPerEU: 1
; Occupancy: 16
; WaveLimiterHint : 0
; COMPUTE_PGM_RSRC2:SCRATCH_EN: 0
; COMPUTE_PGM_RSRC2:USER_SGPR: 6
; COMPUTE_PGM_RSRC2:TRAP_HANDLER: 0
; COMPUTE_PGM_RSRC2:TGID_X_EN: 1
; COMPUTE_PGM_RSRC2:TGID_Y_EN: 0
; COMPUTE_PGM_RSRC2:TGID_Z_EN: 0
; COMPUTE_PGM_RSRC2:TIDIG_COMP_CNT: 0
	.section	.text._ZN7rocprim17ROCPRIM_400000_NS6detail17trampoline_kernelINS0_14default_configENS1_21merge_config_selectorINS0_5tupleIJiiEEENS0_10empty_typeEEEZNS1_10merge_implIS3_NS0_12zip_iteratorINS5_IJN6thrust23THRUST_200600_302600_NS6detail15normal_iteratorINSC_10device_ptrIKiEEEESI_EEEEESK_NSA_INS5_IJNSC_16discard_iteratorINSC_11use_defaultEEESN_EEEEEPS7_SQ_SQ_NSC_11hip_rocprim7__merge17predicate_wrapperIiiNSC_4lessIiEEEEEE10hipError_tPvRmT0_T1_T2_T3_T4_T5_mmT6_P12ihipStream_tbEUlT_E_NS1_11comp_targetILNS1_3genE3ELNS1_11target_archE908ELNS1_3gpuE7ELNS1_3repE0EEENS1_30default_config_static_selectorELNS0_4arch9wavefront6targetE0EEEvS11_,"axG",@progbits,_ZN7rocprim17ROCPRIM_400000_NS6detail17trampoline_kernelINS0_14default_configENS1_21merge_config_selectorINS0_5tupleIJiiEEENS0_10empty_typeEEEZNS1_10merge_implIS3_NS0_12zip_iteratorINS5_IJN6thrust23THRUST_200600_302600_NS6detail15normal_iteratorINSC_10device_ptrIKiEEEESI_EEEEESK_NSA_INS5_IJNSC_16discard_iteratorINSC_11use_defaultEEESN_EEEEEPS7_SQ_SQ_NSC_11hip_rocprim7__merge17predicate_wrapperIiiNSC_4lessIiEEEEEE10hipError_tPvRmT0_T1_T2_T3_T4_T5_mmT6_P12ihipStream_tbEUlT_E_NS1_11comp_targetILNS1_3genE3ELNS1_11target_archE908ELNS1_3gpuE7ELNS1_3repE0EEENS1_30default_config_static_selectorELNS0_4arch9wavefront6targetE0EEEvS11_,comdat
	.protected	_ZN7rocprim17ROCPRIM_400000_NS6detail17trampoline_kernelINS0_14default_configENS1_21merge_config_selectorINS0_5tupleIJiiEEENS0_10empty_typeEEEZNS1_10merge_implIS3_NS0_12zip_iteratorINS5_IJN6thrust23THRUST_200600_302600_NS6detail15normal_iteratorINSC_10device_ptrIKiEEEESI_EEEEESK_NSA_INS5_IJNSC_16discard_iteratorINSC_11use_defaultEEESN_EEEEEPS7_SQ_SQ_NSC_11hip_rocprim7__merge17predicate_wrapperIiiNSC_4lessIiEEEEEE10hipError_tPvRmT0_T1_T2_T3_T4_T5_mmT6_P12ihipStream_tbEUlT_E_NS1_11comp_targetILNS1_3genE3ELNS1_11target_archE908ELNS1_3gpuE7ELNS1_3repE0EEENS1_30default_config_static_selectorELNS0_4arch9wavefront6targetE0EEEvS11_ ; -- Begin function _ZN7rocprim17ROCPRIM_400000_NS6detail17trampoline_kernelINS0_14default_configENS1_21merge_config_selectorINS0_5tupleIJiiEEENS0_10empty_typeEEEZNS1_10merge_implIS3_NS0_12zip_iteratorINS5_IJN6thrust23THRUST_200600_302600_NS6detail15normal_iteratorINSC_10device_ptrIKiEEEESI_EEEEESK_NSA_INS5_IJNSC_16discard_iteratorINSC_11use_defaultEEESN_EEEEEPS7_SQ_SQ_NSC_11hip_rocprim7__merge17predicate_wrapperIiiNSC_4lessIiEEEEEE10hipError_tPvRmT0_T1_T2_T3_T4_T5_mmT6_P12ihipStream_tbEUlT_E_NS1_11comp_targetILNS1_3genE3ELNS1_11target_archE908ELNS1_3gpuE7ELNS1_3repE0EEENS1_30default_config_static_selectorELNS0_4arch9wavefront6targetE0EEEvS11_
	.globl	_ZN7rocprim17ROCPRIM_400000_NS6detail17trampoline_kernelINS0_14default_configENS1_21merge_config_selectorINS0_5tupleIJiiEEENS0_10empty_typeEEEZNS1_10merge_implIS3_NS0_12zip_iteratorINS5_IJN6thrust23THRUST_200600_302600_NS6detail15normal_iteratorINSC_10device_ptrIKiEEEESI_EEEEESK_NSA_INS5_IJNSC_16discard_iteratorINSC_11use_defaultEEESN_EEEEEPS7_SQ_SQ_NSC_11hip_rocprim7__merge17predicate_wrapperIiiNSC_4lessIiEEEEEE10hipError_tPvRmT0_T1_T2_T3_T4_T5_mmT6_P12ihipStream_tbEUlT_E_NS1_11comp_targetILNS1_3genE3ELNS1_11target_archE908ELNS1_3gpuE7ELNS1_3repE0EEENS1_30default_config_static_selectorELNS0_4arch9wavefront6targetE0EEEvS11_
	.p2align	8
	.type	_ZN7rocprim17ROCPRIM_400000_NS6detail17trampoline_kernelINS0_14default_configENS1_21merge_config_selectorINS0_5tupleIJiiEEENS0_10empty_typeEEEZNS1_10merge_implIS3_NS0_12zip_iteratorINS5_IJN6thrust23THRUST_200600_302600_NS6detail15normal_iteratorINSC_10device_ptrIKiEEEESI_EEEEESK_NSA_INS5_IJNSC_16discard_iteratorINSC_11use_defaultEEESN_EEEEEPS7_SQ_SQ_NSC_11hip_rocprim7__merge17predicate_wrapperIiiNSC_4lessIiEEEEEE10hipError_tPvRmT0_T1_T2_T3_T4_T5_mmT6_P12ihipStream_tbEUlT_E_NS1_11comp_targetILNS1_3genE3ELNS1_11target_archE908ELNS1_3gpuE7ELNS1_3repE0EEENS1_30default_config_static_selectorELNS0_4arch9wavefront6targetE0EEEvS11_,@function
_ZN7rocprim17ROCPRIM_400000_NS6detail17trampoline_kernelINS0_14default_configENS1_21merge_config_selectorINS0_5tupleIJiiEEENS0_10empty_typeEEEZNS1_10merge_implIS3_NS0_12zip_iteratorINS5_IJN6thrust23THRUST_200600_302600_NS6detail15normal_iteratorINSC_10device_ptrIKiEEEESI_EEEEESK_NSA_INS5_IJNSC_16discard_iteratorINSC_11use_defaultEEESN_EEEEEPS7_SQ_SQ_NSC_11hip_rocprim7__merge17predicate_wrapperIiiNSC_4lessIiEEEEEE10hipError_tPvRmT0_T1_T2_T3_T4_T5_mmT6_P12ihipStream_tbEUlT_E_NS1_11comp_targetILNS1_3genE3ELNS1_11target_archE908ELNS1_3gpuE7ELNS1_3repE0EEENS1_30default_config_static_selectorELNS0_4arch9wavefront6targetE0EEEvS11_: ; @_ZN7rocprim17ROCPRIM_400000_NS6detail17trampoline_kernelINS0_14default_configENS1_21merge_config_selectorINS0_5tupleIJiiEEENS0_10empty_typeEEEZNS1_10merge_implIS3_NS0_12zip_iteratorINS5_IJN6thrust23THRUST_200600_302600_NS6detail15normal_iteratorINSC_10device_ptrIKiEEEESI_EEEEESK_NSA_INS5_IJNSC_16discard_iteratorINSC_11use_defaultEEESN_EEEEEPS7_SQ_SQ_NSC_11hip_rocprim7__merge17predicate_wrapperIiiNSC_4lessIiEEEEEE10hipError_tPvRmT0_T1_T2_T3_T4_T5_mmT6_P12ihipStream_tbEUlT_E_NS1_11comp_targetILNS1_3genE3ELNS1_11target_archE908ELNS1_3gpuE7ELNS1_3repE0EEENS1_30default_config_static_selectorELNS0_4arch9wavefront6targetE0EEEvS11_
; %bb.0:
	.section	.rodata,"a",@progbits
	.p2align	6, 0x0
	.amdhsa_kernel _ZN7rocprim17ROCPRIM_400000_NS6detail17trampoline_kernelINS0_14default_configENS1_21merge_config_selectorINS0_5tupleIJiiEEENS0_10empty_typeEEEZNS1_10merge_implIS3_NS0_12zip_iteratorINS5_IJN6thrust23THRUST_200600_302600_NS6detail15normal_iteratorINSC_10device_ptrIKiEEEESI_EEEEESK_NSA_INS5_IJNSC_16discard_iteratorINSC_11use_defaultEEESN_EEEEEPS7_SQ_SQ_NSC_11hip_rocprim7__merge17predicate_wrapperIiiNSC_4lessIiEEEEEE10hipError_tPvRmT0_T1_T2_T3_T4_T5_mmT6_P12ihipStream_tbEUlT_E_NS1_11comp_targetILNS1_3genE3ELNS1_11target_archE908ELNS1_3gpuE7ELNS1_3repE0EEENS1_30default_config_static_selectorELNS0_4arch9wavefront6targetE0EEEvS11_
		.amdhsa_group_segment_fixed_size 0
		.amdhsa_private_segment_fixed_size 0
		.amdhsa_kernarg_size 64
		.amdhsa_user_sgpr_count 6
		.amdhsa_user_sgpr_private_segment_buffer 1
		.amdhsa_user_sgpr_dispatch_ptr 0
		.amdhsa_user_sgpr_queue_ptr 0
		.amdhsa_user_sgpr_kernarg_segment_ptr 1
		.amdhsa_user_sgpr_dispatch_id 0
		.amdhsa_user_sgpr_flat_scratch_init 0
		.amdhsa_user_sgpr_private_segment_size 0
		.amdhsa_wavefront_size32 1
		.amdhsa_uses_dynamic_stack 0
		.amdhsa_system_sgpr_private_segment_wavefront_offset 0
		.amdhsa_system_sgpr_workgroup_id_x 1
		.amdhsa_system_sgpr_workgroup_id_y 0
		.amdhsa_system_sgpr_workgroup_id_z 0
		.amdhsa_system_sgpr_workgroup_info 0
		.amdhsa_system_vgpr_workitem_id 0
		.amdhsa_next_free_vgpr 1
		.amdhsa_next_free_sgpr 1
		.amdhsa_reserve_vcc 0
		.amdhsa_reserve_flat_scratch 0
		.amdhsa_float_round_mode_32 0
		.amdhsa_float_round_mode_16_64 0
		.amdhsa_float_denorm_mode_32 3
		.amdhsa_float_denorm_mode_16_64 3
		.amdhsa_dx10_clamp 1
		.amdhsa_ieee_mode 1
		.amdhsa_fp16_overflow 0
		.amdhsa_workgroup_processor_mode 1
		.amdhsa_memory_ordered 1
		.amdhsa_forward_progress 1
		.amdhsa_shared_vgpr_count 0
		.amdhsa_exception_fp_ieee_invalid_op 0
		.amdhsa_exception_fp_denorm_src 0
		.amdhsa_exception_fp_ieee_div_zero 0
		.amdhsa_exception_fp_ieee_overflow 0
		.amdhsa_exception_fp_ieee_underflow 0
		.amdhsa_exception_fp_ieee_inexact 0
		.amdhsa_exception_int_div_zero 0
	.end_amdhsa_kernel
	.section	.text._ZN7rocprim17ROCPRIM_400000_NS6detail17trampoline_kernelINS0_14default_configENS1_21merge_config_selectorINS0_5tupleIJiiEEENS0_10empty_typeEEEZNS1_10merge_implIS3_NS0_12zip_iteratorINS5_IJN6thrust23THRUST_200600_302600_NS6detail15normal_iteratorINSC_10device_ptrIKiEEEESI_EEEEESK_NSA_INS5_IJNSC_16discard_iteratorINSC_11use_defaultEEESN_EEEEEPS7_SQ_SQ_NSC_11hip_rocprim7__merge17predicate_wrapperIiiNSC_4lessIiEEEEEE10hipError_tPvRmT0_T1_T2_T3_T4_T5_mmT6_P12ihipStream_tbEUlT_E_NS1_11comp_targetILNS1_3genE3ELNS1_11target_archE908ELNS1_3gpuE7ELNS1_3repE0EEENS1_30default_config_static_selectorELNS0_4arch9wavefront6targetE0EEEvS11_,"axG",@progbits,_ZN7rocprim17ROCPRIM_400000_NS6detail17trampoline_kernelINS0_14default_configENS1_21merge_config_selectorINS0_5tupleIJiiEEENS0_10empty_typeEEEZNS1_10merge_implIS3_NS0_12zip_iteratorINS5_IJN6thrust23THRUST_200600_302600_NS6detail15normal_iteratorINSC_10device_ptrIKiEEEESI_EEEEESK_NSA_INS5_IJNSC_16discard_iteratorINSC_11use_defaultEEESN_EEEEEPS7_SQ_SQ_NSC_11hip_rocprim7__merge17predicate_wrapperIiiNSC_4lessIiEEEEEE10hipError_tPvRmT0_T1_T2_T3_T4_T5_mmT6_P12ihipStream_tbEUlT_E_NS1_11comp_targetILNS1_3genE3ELNS1_11target_archE908ELNS1_3gpuE7ELNS1_3repE0EEENS1_30default_config_static_selectorELNS0_4arch9wavefront6targetE0EEEvS11_,comdat
.Lfunc_end590:
	.size	_ZN7rocprim17ROCPRIM_400000_NS6detail17trampoline_kernelINS0_14default_configENS1_21merge_config_selectorINS0_5tupleIJiiEEENS0_10empty_typeEEEZNS1_10merge_implIS3_NS0_12zip_iteratorINS5_IJN6thrust23THRUST_200600_302600_NS6detail15normal_iteratorINSC_10device_ptrIKiEEEESI_EEEEESK_NSA_INS5_IJNSC_16discard_iteratorINSC_11use_defaultEEESN_EEEEEPS7_SQ_SQ_NSC_11hip_rocprim7__merge17predicate_wrapperIiiNSC_4lessIiEEEEEE10hipError_tPvRmT0_T1_T2_T3_T4_T5_mmT6_P12ihipStream_tbEUlT_E_NS1_11comp_targetILNS1_3genE3ELNS1_11target_archE908ELNS1_3gpuE7ELNS1_3repE0EEENS1_30default_config_static_selectorELNS0_4arch9wavefront6targetE0EEEvS11_, .Lfunc_end590-_ZN7rocprim17ROCPRIM_400000_NS6detail17trampoline_kernelINS0_14default_configENS1_21merge_config_selectorINS0_5tupleIJiiEEENS0_10empty_typeEEEZNS1_10merge_implIS3_NS0_12zip_iteratorINS5_IJN6thrust23THRUST_200600_302600_NS6detail15normal_iteratorINSC_10device_ptrIKiEEEESI_EEEEESK_NSA_INS5_IJNSC_16discard_iteratorINSC_11use_defaultEEESN_EEEEEPS7_SQ_SQ_NSC_11hip_rocprim7__merge17predicate_wrapperIiiNSC_4lessIiEEEEEE10hipError_tPvRmT0_T1_T2_T3_T4_T5_mmT6_P12ihipStream_tbEUlT_E_NS1_11comp_targetILNS1_3genE3ELNS1_11target_archE908ELNS1_3gpuE7ELNS1_3repE0EEENS1_30default_config_static_selectorELNS0_4arch9wavefront6targetE0EEEvS11_
                                        ; -- End function
	.set _ZN7rocprim17ROCPRIM_400000_NS6detail17trampoline_kernelINS0_14default_configENS1_21merge_config_selectorINS0_5tupleIJiiEEENS0_10empty_typeEEEZNS1_10merge_implIS3_NS0_12zip_iteratorINS5_IJN6thrust23THRUST_200600_302600_NS6detail15normal_iteratorINSC_10device_ptrIKiEEEESI_EEEEESK_NSA_INS5_IJNSC_16discard_iteratorINSC_11use_defaultEEESN_EEEEEPS7_SQ_SQ_NSC_11hip_rocprim7__merge17predicate_wrapperIiiNSC_4lessIiEEEEEE10hipError_tPvRmT0_T1_T2_T3_T4_T5_mmT6_P12ihipStream_tbEUlT_E_NS1_11comp_targetILNS1_3genE3ELNS1_11target_archE908ELNS1_3gpuE7ELNS1_3repE0EEENS1_30default_config_static_selectorELNS0_4arch9wavefront6targetE0EEEvS11_.num_vgpr, 0
	.set _ZN7rocprim17ROCPRIM_400000_NS6detail17trampoline_kernelINS0_14default_configENS1_21merge_config_selectorINS0_5tupleIJiiEEENS0_10empty_typeEEEZNS1_10merge_implIS3_NS0_12zip_iteratorINS5_IJN6thrust23THRUST_200600_302600_NS6detail15normal_iteratorINSC_10device_ptrIKiEEEESI_EEEEESK_NSA_INS5_IJNSC_16discard_iteratorINSC_11use_defaultEEESN_EEEEEPS7_SQ_SQ_NSC_11hip_rocprim7__merge17predicate_wrapperIiiNSC_4lessIiEEEEEE10hipError_tPvRmT0_T1_T2_T3_T4_T5_mmT6_P12ihipStream_tbEUlT_E_NS1_11comp_targetILNS1_3genE3ELNS1_11target_archE908ELNS1_3gpuE7ELNS1_3repE0EEENS1_30default_config_static_selectorELNS0_4arch9wavefront6targetE0EEEvS11_.num_agpr, 0
	.set _ZN7rocprim17ROCPRIM_400000_NS6detail17trampoline_kernelINS0_14default_configENS1_21merge_config_selectorINS0_5tupleIJiiEEENS0_10empty_typeEEEZNS1_10merge_implIS3_NS0_12zip_iteratorINS5_IJN6thrust23THRUST_200600_302600_NS6detail15normal_iteratorINSC_10device_ptrIKiEEEESI_EEEEESK_NSA_INS5_IJNSC_16discard_iteratorINSC_11use_defaultEEESN_EEEEEPS7_SQ_SQ_NSC_11hip_rocprim7__merge17predicate_wrapperIiiNSC_4lessIiEEEEEE10hipError_tPvRmT0_T1_T2_T3_T4_T5_mmT6_P12ihipStream_tbEUlT_E_NS1_11comp_targetILNS1_3genE3ELNS1_11target_archE908ELNS1_3gpuE7ELNS1_3repE0EEENS1_30default_config_static_selectorELNS0_4arch9wavefront6targetE0EEEvS11_.numbered_sgpr, 0
	.set _ZN7rocprim17ROCPRIM_400000_NS6detail17trampoline_kernelINS0_14default_configENS1_21merge_config_selectorINS0_5tupleIJiiEEENS0_10empty_typeEEEZNS1_10merge_implIS3_NS0_12zip_iteratorINS5_IJN6thrust23THRUST_200600_302600_NS6detail15normal_iteratorINSC_10device_ptrIKiEEEESI_EEEEESK_NSA_INS5_IJNSC_16discard_iteratorINSC_11use_defaultEEESN_EEEEEPS7_SQ_SQ_NSC_11hip_rocprim7__merge17predicate_wrapperIiiNSC_4lessIiEEEEEE10hipError_tPvRmT0_T1_T2_T3_T4_T5_mmT6_P12ihipStream_tbEUlT_E_NS1_11comp_targetILNS1_3genE3ELNS1_11target_archE908ELNS1_3gpuE7ELNS1_3repE0EEENS1_30default_config_static_selectorELNS0_4arch9wavefront6targetE0EEEvS11_.num_named_barrier, 0
	.set _ZN7rocprim17ROCPRIM_400000_NS6detail17trampoline_kernelINS0_14default_configENS1_21merge_config_selectorINS0_5tupleIJiiEEENS0_10empty_typeEEEZNS1_10merge_implIS3_NS0_12zip_iteratorINS5_IJN6thrust23THRUST_200600_302600_NS6detail15normal_iteratorINSC_10device_ptrIKiEEEESI_EEEEESK_NSA_INS5_IJNSC_16discard_iteratorINSC_11use_defaultEEESN_EEEEEPS7_SQ_SQ_NSC_11hip_rocprim7__merge17predicate_wrapperIiiNSC_4lessIiEEEEEE10hipError_tPvRmT0_T1_T2_T3_T4_T5_mmT6_P12ihipStream_tbEUlT_E_NS1_11comp_targetILNS1_3genE3ELNS1_11target_archE908ELNS1_3gpuE7ELNS1_3repE0EEENS1_30default_config_static_selectorELNS0_4arch9wavefront6targetE0EEEvS11_.private_seg_size, 0
	.set _ZN7rocprim17ROCPRIM_400000_NS6detail17trampoline_kernelINS0_14default_configENS1_21merge_config_selectorINS0_5tupleIJiiEEENS0_10empty_typeEEEZNS1_10merge_implIS3_NS0_12zip_iteratorINS5_IJN6thrust23THRUST_200600_302600_NS6detail15normal_iteratorINSC_10device_ptrIKiEEEESI_EEEEESK_NSA_INS5_IJNSC_16discard_iteratorINSC_11use_defaultEEESN_EEEEEPS7_SQ_SQ_NSC_11hip_rocprim7__merge17predicate_wrapperIiiNSC_4lessIiEEEEEE10hipError_tPvRmT0_T1_T2_T3_T4_T5_mmT6_P12ihipStream_tbEUlT_E_NS1_11comp_targetILNS1_3genE3ELNS1_11target_archE908ELNS1_3gpuE7ELNS1_3repE0EEENS1_30default_config_static_selectorELNS0_4arch9wavefront6targetE0EEEvS11_.uses_vcc, 0
	.set _ZN7rocprim17ROCPRIM_400000_NS6detail17trampoline_kernelINS0_14default_configENS1_21merge_config_selectorINS0_5tupleIJiiEEENS0_10empty_typeEEEZNS1_10merge_implIS3_NS0_12zip_iteratorINS5_IJN6thrust23THRUST_200600_302600_NS6detail15normal_iteratorINSC_10device_ptrIKiEEEESI_EEEEESK_NSA_INS5_IJNSC_16discard_iteratorINSC_11use_defaultEEESN_EEEEEPS7_SQ_SQ_NSC_11hip_rocprim7__merge17predicate_wrapperIiiNSC_4lessIiEEEEEE10hipError_tPvRmT0_T1_T2_T3_T4_T5_mmT6_P12ihipStream_tbEUlT_E_NS1_11comp_targetILNS1_3genE3ELNS1_11target_archE908ELNS1_3gpuE7ELNS1_3repE0EEENS1_30default_config_static_selectorELNS0_4arch9wavefront6targetE0EEEvS11_.uses_flat_scratch, 0
	.set _ZN7rocprim17ROCPRIM_400000_NS6detail17trampoline_kernelINS0_14default_configENS1_21merge_config_selectorINS0_5tupleIJiiEEENS0_10empty_typeEEEZNS1_10merge_implIS3_NS0_12zip_iteratorINS5_IJN6thrust23THRUST_200600_302600_NS6detail15normal_iteratorINSC_10device_ptrIKiEEEESI_EEEEESK_NSA_INS5_IJNSC_16discard_iteratorINSC_11use_defaultEEESN_EEEEEPS7_SQ_SQ_NSC_11hip_rocprim7__merge17predicate_wrapperIiiNSC_4lessIiEEEEEE10hipError_tPvRmT0_T1_T2_T3_T4_T5_mmT6_P12ihipStream_tbEUlT_E_NS1_11comp_targetILNS1_3genE3ELNS1_11target_archE908ELNS1_3gpuE7ELNS1_3repE0EEENS1_30default_config_static_selectorELNS0_4arch9wavefront6targetE0EEEvS11_.has_dyn_sized_stack, 0
	.set _ZN7rocprim17ROCPRIM_400000_NS6detail17trampoline_kernelINS0_14default_configENS1_21merge_config_selectorINS0_5tupleIJiiEEENS0_10empty_typeEEEZNS1_10merge_implIS3_NS0_12zip_iteratorINS5_IJN6thrust23THRUST_200600_302600_NS6detail15normal_iteratorINSC_10device_ptrIKiEEEESI_EEEEESK_NSA_INS5_IJNSC_16discard_iteratorINSC_11use_defaultEEESN_EEEEEPS7_SQ_SQ_NSC_11hip_rocprim7__merge17predicate_wrapperIiiNSC_4lessIiEEEEEE10hipError_tPvRmT0_T1_T2_T3_T4_T5_mmT6_P12ihipStream_tbEUlT_E_NS1_11comp_targetILNS1_3genE3ELNS1_11target_archE908ELNS1_3gpuE7ELNS1_3repE0EEENS1_30default_config_static_selectorELNS0_4arch9wavefront6targetE0EEEvS11_.has_recursion, 0
	.set _ZN7rocprim17ROCPRIM_400000_NS6detail17trampoline_kernelINS0_14default_configENS1_21merge_config_selectorINS0_5tupleIJiiEEENS0_10empty_typeEEEZNS1_10merge_implIS3_NS0_12zip_iteratorINS5_IJN6thrust23THRUST_200600_302600_NS6detail15normal_iteratorINSC_10device_ptrIKiEEEESI_EEEEESK_NSA_INS5_IJNSC_16discard_iteratorINSC_11use_defaultEEESN_EEEEEPS7_SQ_SQ_NSC_11hip_rocprim7__merge17predicate_wrapperIiiNSC_4lessIiEEEEEE10hipError_tPvRmT0_T1_T2_T3_T4_T5_mmT6_P12ihipStream_tbEUlT_E_NS1_11comp_targetILNS1_3genE3ELNS1_11target_archE908ELNS1_3gpuE7ELNS1_3repE0EEENS1_30default_config_static_selectorELNS0_4arch9wavefront6targetE0EEEvS11_.has_indirect_call, 0
	.section	.AMDGPU.csdata,"",@progbits
; Kernel info:
; codeLenInByte = 0
; TotalNumSgprs: 0
; NumVgprs: 0
; ScratchSize: 0
; MemoryBound: 0
; FloatMode: 240
; IeeeMode: 1
; LDSByteSize: 0 bytes/workgroup (compile time only)
; SGPRBlocks: 0
; VGPRBlocks: 0
; NumSGPRsForWavesPerEU: 1
; NumVGPRsForWavesPerEU: 1
; Occupancy: 16
; WaveLimiterHint : 0
; COMPUTE_PGM_RSRC2:SCRATCH_EN: 0
; COMPUTE_PGM_RSRC2:USER_SGPR: 6
; COMPUTE_PGM_RSRC2:TRAP_HANDLER: 0
; COMPUTE_PGM_RSRC2:TGID_X_EN: 1
; COMPUTE_PGM_RSRC2:TGID_Y_EN: 0
; COMPUTE_PGM_RSRC2:TGID_Z_EN: 0
; COMPUTE_PGM_RSRC2:TIDIG_COMP_CNT: 0
	.section	.text._ZN7rocprim17ROCPRIM_400000_NS6detail17trampoline_kernelINS0_14default_configENS1_21merge_config_selectorINS0_5tupleIJiiEEENS0_10empty_typeEEEZNS1_10merge_implIS3_NS0_12zip_iteratorINS5_IJN6thrust23THRUST_200600_302600_NS6detail15normal_iteratorINSC_10device_ptrIKiEEEESI_EEEEESK_NSA_INS5_IJNSC_16discard_iteratorINSC_11use_defaultEEESN_EEEEEPS7_SQ_SQ_NSC_11hip_rocprim7__merge17predicate_wrapperIiiNSC_4lessIiEEEEEE10hipError_tPvRmT0_T1_T2_T3_T4_T5_mmT6_P12ihipStream_tbEUlT_E_NS1_11comp_targetILNS1_3genE2ELNS1_11target_archE906ELNS1_3gpuE6ELNS1_3repE0EEENS1_30default_config_static_selectorELNS0_4arch9wavefront6targetE0EEEvS11_,"axG",@progbits,_ZN7rocprim17ROCPRIM_400000_NS6detail17trampoline_kernelINS0_14default_configENS1_21merge_config_selectorINS0_5tupleIJiiEEENS0_10empty_typeEEEZNS1_10merge_implIS3_NS0_12zip_iteratorINS5_IJN6thrust23THRUST_200600_302600_NS6detail15normal_iteratorINSC_10device_ptrIKiEEEESI_EEEEESK_NSA_INS5_IJNSC_16discard_iteratorINSC_11use_defaultEEESN_EEEEEPS7_SQ_SQ_NSC_11hip_rocprim7__merge17predicate_wrapperIiiNSC_4lessIiEEEEEE10hipError_tPvRmT0_T1_T2_T3_T4_T5_mmT6_P12ihipStream_tbEUlT_E_NS1_11comp_targetILNS1_3genE2ELNS1_11target_archE906ELNS1_3gpuE6ELNS1_3repE0EEENS1_30default_config_static_selectorELNS0_4arch9wavefront6targetE0EEEvS11_,comdat
	.protected	_ZN7rocprim17ROCPRIM_400000_NS6detail17trampoline_kernelINS0_14default_configENS1_21merge_config_selectorINS0_5tupleIJiiEEENS0_10empty_typeEEEZNS1_10merge_implIS3_NS0_12zip_iteratorINS5_IJN6thrust23THRUST_200600_302600_NS6detail15normal_iteratorINSC_10device_ptrIKiEEEESI_EEEEESK_NSA_INS5_IJNSC_16discard_iteratorINSC_11use_defaultEEESN_EEEEEPS7_SQ_SQ_NSC_11hip_rocprim7__merge17predicate_wrapperIiiNSC_4lessIiEEEEEE10hipError_tPvRmT0_T1_T2_T3_T4_T5_mmT6_P12ihipStream_tbEUlT_E_NS1_11comp_targetILNS1_3genE2ELNS1_11target_archE906ELNS1_3gpuE6ELNS1_3repE0EEENS1_30default_config_static_selectorELNS0_4arch9wavefront6targetE0EEEvS11_ ; -- Begin function _ZN7rocprim17ROCPRIM_400000_NS6detail17trampoline_kernelINS0_14default_configENS1_21merge_config_selectorINS0_5tupleIJiiEEENS0_10empty_typeEEEZNS1_10merge_implIS3_NS0_12zip_iteratorINS5_IJN6thrust23THRUST_200600_302600_NS6detail15normal_iteratorINSC_10device_ptrIKiEEEESI_EEEEESK_NSA_INS5_IJNSC_16discard_iteratorINSC_11use_defaultEEESN_EEEEEPS7_SQ_SQ_NSC_11hip_rocprim7__merge17predicate_wrapperIiiNSC_4lessIiEEEEEE10hipError_tPvRmT0_T1_T2_T3_T4_T5_mmT6_P12ihipStream_tbEUlT_E_NS1_11comp_targetILNS1_3genE2ELNS1_11target_archE906ELNS1_3gpuE6ELNS1_3repE0EEENS1_30default_config_static_selectorELNS0_4arch9wavefront6targetE0EEEvS11_
	.globl	_ZN7rocprim17ROCPRIM_400000_NS6detail17trampoline_kernelINS0_14default_configENS1_21merge_config_selectorINS0_5tupleIJiiEEENS0_10empty_typeEEEZNS1_10merge_implIS3_NS0_12zip_iteratorINS5_IJN6thrust23THRUST_200600_302600_NS6detail15normal_iteratorINSC_10device_ptrIKiEEEESI_EEEEESK_NSA_INS5_IJNSC_16discard_iteratorINSC_11use_defaultEEESN_EEEEEPS7_SQ_SQ_NSC_11hip_rocprim7__merge17predicate_wrapperIiiNSC_4lessIiEEEEEE10hipError_tPvRmT0_T1_T2_T3_T4_T5_mmT6_P12ihipStream_tbEUlT_E_NS1_11comp_targetILNS1_3genE2ELNS1_11target_archE906ELNS1_3gpuE6ELNS1_3repE0EEENS1_30default_config_static_selectorELNS0_4arch9wavefront6targetE0EEEvS11_
	.p2align	8
	.type	_ZN7rocprim17ROCPRIM_400000_NS6detail17trampoline_kernelINS0_14default_configENS1_21merge_config_selectorINS0_5tupleIJiiEEENS0_10empty_typeEEEZNS1_10merge_implIS3_NS0_12zip_iteratorINS5_IJN6thrust23THRUST_200600_302600_NS6detail15normal_iteratorINSC_10device_ptrIKiEEEESI_EEEEESK_NSA_INS5_IJNSC_16discard_iteratorINSC_11use_defaultEEESN_EEEEEPS7_SQ_SQ_NSC_11hip_rocprim7__merge17predicate_wrapperIiiNSC_4lessIiEEEEEE10hipError_tPvRmT0_T1_T2_T3_T4_T5_mmT6_P12ihipStream_tbEUlT_E_NS1_11comp_targetILNS1_3genE2ELNS1_11target_archE906ELNS1_3gpuE6ELNS1_3repE0EEENS1_30default_config_static_selectorELNS0_4arch9wavefront6targetE0EEEvS11_,@function
_ZN7rocprim17ROCPRIM_400000_NS6detail17trampoline_kernelINS0_14default_configENS1_21merge_config_selectorINS0_5tupleIJiiEEENS0_10empty_typeEEEZNS1_10merge_implIS3_NS0_12zip_iteratorINS5_IJN6thrust23THRUST_200600_302600_NS6detail15normal_iteratorINSC_10device_ptrIKiEEEESI_EEEEESK_NSA_INS5_IJNSC_16discard_iteratorINSC_11use_defaultEEESN_EEEEEPS7_SQ_SQ_NSC_11hip_rocprim7__merge17predicate_wrapperIiiNSC_4lessIiEEEEEE10hipError_tPvRmT0_T1_T2_T3_T4_T5_mmT6_P12ihipStream_tbEUlT_E_NS1_11comp_targetILNS1_3genE2ELNS1_11target_archE906ELNS1_3gpuE6ELNS1_3repE0EEENS1_30default_config_static_selectorELNS0_4arch9wavefront6targetE0EEEvS11_: ; @_ZN7rocprim17ROCPRIM_400000_NS6detail17trampoline_kernelINS0_14default_configENS1_21merge_config_selectorINS0_5tupleIJiiEEENS0_10empty_typeEEEZNS1_10merge_implIS3_NS0_12zip_iteratorINS5_IJN6thrust23THRUST_200600_302600_NS6detail15normal_iteratorINSC_10device_ptrIKiEEEESI_EEEEESK_NSA_INS5_IJNSC_16discard_iteratorINSC_11use_defaultEEESN_EEEEEPS7_SQ_SQ_NSC_11hip_rocprim7__merge17predicate_wrapperIiiNSC_4lessIiEEEEEE10hipError_tPvRmT0_T1_T2_T3_T4_T5_mmT6_P12ihipStream_tbEUlT_E_NS1_11comp_targetILNS1_3genE2ELNS1_11target_archE906ELNS1_3gpuE6ELNS1_3repE0EEENS1_30default_config_static_selectorELNS0_4arch9wavefront6targetE0EEEvS11_
; %bb.0:
	.section	.rodata,"a",@progbits
	.p2align	6, 0x0
	.amdhsa_kernel _ZN7rocprim17ROCPRIM_400000_NS6detail17trampoline_kernelINS0_14default_configENS1_21merge_config_selectorINS0_5tupleIJiiEEENS0_10empty_typeEEEZNS1_10merge_implIS3_NS0_12zip_iteratorINS5_IJN6thrust23THRUST_200600_302600_NS6detail15normal_iteratorINSC_10device_ptrIKiEEEESI_EEEEESK_NSA_INS5_IJNSC_16discard_iteratorINSC_11use_defaultEEESN_EEEEEPS7_SQ_SQ_NSC_11hip_rocprim7__merge17predicate_wrapperIiiNSC_4lessIiEEEEEE10hipError_tPvRmT0_T1_T2_T3_T4_T5_mmT6_P12ihipStream_tbEUlT_E_NS1_11comp_targetILNS1_3genE2ELNS1_11target_archE906ELNS1_3gpuE6ELNS1_3repE0EEENS1_30default_config_static_selectorELNS0_4arch9wavefront6targetE0EEEvS11_
		.amdhsa_group_segment_fixed_size 0
		.amdhsa_private_segment_fixed_size 0
		.amdhsa_kernarg_size 64
		.amdhsa_user_sgpr_count 6
		.amdhsa_user_sgpr_private_segment_buffer 1
		.amdhsa_user_sgpr_dispatch_ptr 0
		.amdhsa_user_sgpr_queue_ptr 0
		.amdhsa_user_sgpr_kernarg_segment_ptr 1
		.amdhsa_user_sgpr_dispatch_id 0
		.amdhsa_user_sgpr_flat_scratch_init 0
		.amdhsa_user_sgpr_private_segment_size 0
		.amdhsa_wavefront_size32 1
		.amdhsa_uses_dynamic_stack 0
		.amdhsa_system_sgpr_private_segment_wavefront_offset 0
		.amdhsa_system_sgpr_workgroup_id_x 1
		.amdhsa_system_sgpr_workgroup_id_y 0
		.amdhsa_system_sgpr_workgroup_id_z 0
		.amdhsa_system_sgpr_workgroup_info 0
		.amdhsa_system_vgpr_workitem_id 0
		.amdhsa_next_free_vgpr 1
		.amdhsa_next_free_sgpr 1
		.amdhsa_reserve_vcc 0
		.amdhsa_reserve_flat_scratch 0
		.amdhsa_float_round_mode_32 0
		.amdhsa_float_round_mode_16_64 0
		.amdhsa_float_denorm_mode_32 3
		.amdhsa_float_denorm_mode_16_64 3
		.amdhsa_dx10_clamp 1
		.amdhsa_ieee_mode 1
		.amdhsa_fp16_overflow 0
		.amdhsa_workgroup_processor_mode 1
		.amdhsa_memory_ordered 1
		.amdhsa_forward_progress 1
		.amdhsa_shared_vgpr_count 0
		.amdhsa_exception_fp_ieee_invalid_op 0
		.amdhsa_exception_fp_denorm_src 0
		.amdhsa_exception_fp_ieee_div_zero 0
		.amdhsa_exception_fp_ieee_overflow 0
		.amdhsa_exception_fp_ieee_underflow 0
		.amdhsa_exception_fp_ieee_inexact 0
		.amdhsa_exception_int_div_zero 0
	.end_amdhsa_kernel
	.section	.text._ZN7rocprim17ROCPRIM_400000_NS6detail17trampoline_kernelINS0_14default_configENS1_21merge_config_selectorINS0_5tupleIJiiEEENS0_10empty_typeEEEZNS1_10merge_implIS3_NS0_12zip_iteratorINS5_IJN6thrust23THRUST_200600_302600_NS6detail15normal_iteratorINSC_10device_ptrIKiEEEESI_EEEEESK_NSA_INS5_IJNSC_16discard_iteratorINSC_11use_defaultEEESN_EEEEEPS7_SQ_SQ_NSC_11hip_rocprim7__merge17predicate_wrapperIiiNSC_4lessIiEEEEEE10hipError_tPvRmT0_T1_T2_T3_T4_T5_mmT6_P12ihipStream_tbEUlT_E_NS1_11comp_targetILNS1_3genE2ELNS1_11target_archE906ELNS1_3gpuE6ELNS1_3repE0EEENS1_30default_config_static_selectorELNS0_4arch9wavefront6targetE0EEEvS11_,"axG",@progbits,_ZN7rocprim17ROCPRIM_400000_NS6detail17trampoline_kernelINS0_14default_configENS1_21merge_config_selectorINS0_5tupleIJiiEEENS0_10empty_typeEEEZNS1_10merge_implIS3_NS0_12zip_iteratorINS5_IJN6thrust23THRUST_200600_302600_NS6detail15normal_iteratorINSC_10device_ptrIKiEEEESI_EEEEESK_NSA_INS5_IJNSC_16discard_iteratorINSC_11use_defaultEEESN_EEEEEPS7_SQ_SQ_NSC_11hip_rocprim7__merge17predicate_wrapperIiiNSC_4lessIiEEEEEE10hipError_tPvRmT0_T1_T2_T3_T4_T5_mmT6_P12ihipStream_tbEUlT_E_NS1_11comp_targetILNS1_3genE2ELNS1_11target_archE906ELNS1_3gpuE6ELNS1_3repE0EEENS1_30default_config_static_selectorELNS0_4arch9wavefront6targetE0EEEvS11_,comdat
.Lfunc_end591:
	.size	_ZN7rocprim17ROCPRIM_400000_NS6detail17trampoline_kernelINS0_14default_configENS1_21merge_config_selectorINS0_5tupleIJiiEEENS0_10empty_typeEEEZNS1_10merge_implIS3_NS0_12zip_iteratorINS5_IJN6thrust23THRUST_200600_302600_NS6detail15normal_iteratorINSC_10device_ptrIKiEEEESI_EEEEESK_NSA_INS5_IJNSC_16discard_iteratorINSC_11use_defaultEEESN_EEEEEPS7_SQ_SQ_NSC_11hip_rocprim7__merge17predicate_wrapperIiiNSC_4lessIiEEEEEE10hipError_tPvRmT0_T1_T2_T3_T4_T5_mmT6_P12ihipStream_tbEUlT_E_NS1_11comp_targetILNS1_3genE2ELNS1_11target_archE906ELNS1_3gpuE6ELNS1_3repE0EEENS1_30default_config_static_selectorELNS0_4arch9wavefront6targetE0EEEvS11_, .Lfunc_end591-_ZN7rocprim17ROCPRIM_400000_NS6detail17trampoline_kernelINS0_14default_configENS1_21merge_config_selectorINS0_5tupleIJiiEEENS0_10empty_typeEEEZNS1_10merge_implIS3_NS0_12zip_iteratorINS5_IJN6thrust23THRUST_200600_302600_NS6detail15normal_iteratorINSC_10device_ptrIKiEEEESI_EEEEESK_NSA_INS5_IJNSC_16discard_iteratorINSC_11use_defaultEEESN_EEEEEPS7_SQ_SQ_NSC_11hip_rocprim7__merge17predicate_wrapperIiiNSC_4lessIiEEEEEE10hipError_tPvRmT0_T1_T2_T3_T4_T5_mmT6_P12ihipStream_tbEUlT_E_NS1_11comp_targetILNS1_3genE2ELNS1_11target_archE906ELNS1_3gpuE6ELNS1_3repE0EEENS1_30default_config_static_selectorELNS0_4arch9wavefront6targetE0EEEvS11_
                                        ; -- End function
	.set _ZN7rocprim17ROCPRIM_400000_NS6detail17trampoline_kernelINS0_14default_configENS1_21merge_config_selectorINS0_5tupleIJiiEEENS0_10empty_typeEEEZNS1_10merge_implIS3_NS0_12zip_iteratorINS5_IJN6thrust23THRUST_200600_302600_NS6detail15normal_iteratorINSC_10device_ptrIKiEEEESI_EEEEESK_NSA_INS5_IJNSC_16discard_iteratorINSC_11use_defaultEEESN_EEEEEPS7_SQ_SQ_NSC_11hip_rocprim7__merge17predicate_wrapperIiiNSC_4lessIiEEEEEE10hipError_tPvRmT0_T1_T2_T3_T4_T5_mmT6_P12ihipStream_tbEUlT_E_NS1_11comp_targetILNS1_3genE2ELNS1_11target_archE906ELNS1_3gpuE6ELNS1_3repE0EEENS1_30default_config_static_selectorELNS0_4arch9wavefront6targetE0EEEvS11_.num_vgpr, 0
	.set _ZN7rocprim17ROCPRIM_400000_NS6detail17trampoline_kernelINS0_14default_configENS1_21merge_config_selectorINS0_5tupleIJiiEEENS0_10empty_typeEEEZNS1_10merge_implIS3_NS0_12zip_iteratorINS5_IJN6thrust23THRUST_200600_302600_NS6detail15normal_iteratorINSC_10device_ptrIKiEEEESI_EEEEESK_NSA_INS5_IJNSC_16discard_iteratorINSC_11use_defaultEEESN_EEEEEPS7_SQ_SQ_NSC_11hip_rocprim7__merge17predicate_wrapperIiiNSC_4lessIiEEEEEE10hipError_tPvRmT0_T1_T2_T3_T4_T5_mmT6_P12ihipStream_tbEUlT_E_NS1_11comp_targetILNS1_3genE2ELNS1_11target_archE906ELNS1_3gpuE6ELNS1_3repE0EEENS1_30default_config_static_selectorELNS0_4arch9wavefront6targetE0EEEvS11_.num_agpr, 0
	.set _ZN7rocprim17ROCPRIM_400000_NS6detail17trampoline_kernelINS0_14default_configENS1_21merge_config_selectorINS0_5tupleIJiiEEENS0_10empty_typeEEEZNS1_10merge_implIS3_NS0_12zip_iteratorINS5_IJN6thrust23THRUST_200600_302600_NS6detail15normal_iteratorINSC_10device_ptrIKiEEEESI_EEEEESK_NSA_INS5_IJNSC_16discard_iteratorINSC_11use_defaultEEESN_EEEEEPS7_SQ_SQ_NSC_11hip_rocprim7__merge17predicate_wrapperIiiNSC_4lessIiEEEEEE10hipError_tPvRmT0_T1_T2_T3_T4_T5_mmT6_P12ihipStream_tbEUlT_E_NS1_11comp_targetILNS1_3genE2ELNS1_11target_archE906ELNS1_3gpuE6ELNS1_3repE0EEENS1_30default_config_static_selectorELNS0_4arch9wavefront6targetE0EEEvS11_.numbered_sgpr, 0
	.set _ZN7rocprim17ROCPRIM_400000_NS6detail17trampoline_kernelINS0_14default_configENS1_21merge_config_selectorINS0_5tupleIJiiEEENS0_10empty_typeEEEZNS1_10merge_implIS3_NS0_12zip_iteratorINS5_IJN6thrust23THRUST_200600_302600_NS6detail15normal_iteratorINSC_10device_ptrIKiEEEESI_EEEEESK_NSA_INS5_IJNSC_16discard_iteratorINSC_11use_defaultEEESN_EEEEEPS7_SQ_SQ_NSC_11hip_rocprim7__merge17predicate_wrapperIiiNSC_4lessIiEEEEEE10hipError_tPvRmT0_T1_T2_T3_T4_T5_mmT6_P12ihipStream_tbEUlT_E_NS1_11comp_targetILNS1_3genE2ELNS1_11target_archE906ELNS1_3gpuE6ELNS1_3repE0EEENS1_30default_config_static_selectorELNS0_4arch9wavefront6targetE0EEEvS11_.num_named_barrier, 0
	.set _ZN7rocprim17ROCPRIM_400000_NS6detail17trampoline_kernelINS0_14default_configENS1_21merge_config_selectorINS0_5tupleIJiiEEENS0_10empty_typeEEEZNS1_10merge_implIS3_NS0_12zip_iteratorINS5_IJN6thrust23THRUST_200600_302600_NS6detail15normal_iteratorINSC_10device_ptrIKiEEEESI_EEEEESK_NSA_INS5_IJNSC_16discard_iteratorINSC_11use_defaultEEESN_EEEEEPS7_SQ_SQ_NSC_11hip_rocprim7__merge17predicate_wrapperIiiNSC_4lessIiEEEEEE10hipError_tPvRmT0_T1_T2_T3_T4_T5_mmT6_P12ihipStream_tbEUlT_E_NS1_11comp_targetILNS1_3genE2ELNS1_11target_archE906ELNS1_3gpuE6ELNS1_3repE0EEENS1_30default_config_static_selectorELNS0_4arch9wavefront6targetE0EEEvS11_.private_seg_size, 0
	.set _ZN7rocprim17ROCPRIM_400000_NS6detail17trampoline_kernelINS0_14default_configENS1_21merge_config_selectorINS0_5tupleIJiiEEENS0_10empty_typeEEEZNS1_10merge_implIS3_NS0_12zip_iteratorINS5_IJN6thrust23THRUST_200600_302600_NS6detail15normal_iteratorINSC_10device_ptrIKiEEEESI_EEEEESK_NSA_INS5_IJNSC_16discard_iteratorINSC_11use_defaultEEESN_EEEEEPS7_SQ_SQ_NSC_11hip_rocprim7__merge17predicate_wrapperIiiNSC_4lessIiEEEEEE10hipError_tPvRmT0_T1_T2_T3_T4_T5_mmT6_P12ihipStream_tbEUlT_E_NS1_11comp_targetILNS1_3genE2ELNS1_11target_archE906ELNS1_3gpuE6ELNS1_3repE0EEENS1_30default_config_static_selectorELNS0_4arch9wavefront6targetE0EEEvS11_.uses_vcc, 0
	.set _ZN7rocprim17ROCPRIM_400000_NS6detail17trampoline_kernelINS0_14default_configENS1_21merge_config_selectorINS0_5tupleIJiiEEENS0_10empty_typeEEEZNS1_10merge_implIS3_NS0_12zip_iteratorINS5_IJN6thrust23THRUST_200600_302600_NS6detail15normal_iteratorINSC_10device_ptrIKiEEEESI_EEEEESK_NSA_INS5_IJNSC_16discard_iteratorINSC_11use_defaultEEESN_EEEEEPS7_SQ_SQ_NSC_11hip_rocprim7__merge17predicate_wrapperIiiNSC_4lessIiEEEEEE10hipError_tPvRmT0_T1_T2_T3_T4_T5_mmT6_P12ihipStream_tbEUlT_E_NS1_11comp_targetILNS1_3genE2ELNS1_11target_archE906ELNS1_3gpuE6ELNS1_3repE0EEENS1_30default_config_static_selectorELNS0_4arch9wavefront6targetE0EEEvS11_.uses_flat_scratch, 0
	.set _ZN7rocprim17ROCPRIM_400000_NS6detail17trampoline_kernelINS0_14default_configENS1_21merge_config_selectorINS0_5tupleIJiiEEENS0_10empty_typeEEEZNS1_10merge_implIS3_NS0_12zip_iteratorINS5_IJN6thrust23THRUST_200600_302600_NS6detail15normal_iteratorINSC_10device_ptrIKiEEEESI_EEEEESK_NSA_INS5_IJNSC_16discard_iteratorINSC_11use_defaultEEESN_EEEEEPS7_SQ_SQ_NSC_11hip_rocprim7__merge17predicate_wrapperIiiNSC_4lessIiEEEEEE10hipError_tPvRmT0_T1_T2_T3_T4_T5_mmT6_P12ihipStream_tbEUlT_E_NS1_11comp_targetILNS1_3genE2ELNS1_11target_archE906ELNS1_3gpuE6ELNS1_3repE0EEENS1_30default_config_static_selectorELNS0_4arch9wavefront6targetE0EEEvS11_.has_dyn_sized_stack, 0
	.set _ZN7rocprim17ROCPRIM_400000_NS6detail17trampoline_kernelINS0_14default_configENS1_21merge_config_selectorINS0_5tupleIJiiEEENS0_10empty_typeEEEZNS1_10merge_implIS3_NS0_12zip_iteratorINS5_IJN6thrust23THRUST_200600_302600_NS6detail15normal_iteratorINSC_10device_ptrIKiEEEESI_EEEEESK_NSA_INS5_IJNSC_16discard_iteratorINSC_11use_defaultEEESN_EEEEEPS7_SQ_SQ_NSC_11hip_rocprim7__merge17predicate_wrapperIiiNSC_4lessIiEEEEEE10hipError_tPvRmT0_T1_T2_T3_T4_T5_mmT6_P12ihipStream_tbEUlT_E_NS1_11comp_targetILNS1_3genE2ELNS1_11target_archE906ELNS1_3gpuE6ELNS1_3repE0EEENS1_30default_config_static_selectorELNS0_4arch9wavefront6targetE0EEEvS11_.has_recursion, 0
	.set _ZN7rocprim17ROCPRIM_400000_NS6detail17trampoline_kernelINS0_14default_configENS1_21merge_config_selectorINS0_5tupleIJiiEEENS0_10empty_typeEEEZNS1_10merge_implIS3_NS0_12zip_iteratorINS5_IJN6thrust23THRUST_200600_302600_NS6detail15normal_iteratorINSC_10device_ptrIKiEEEESI_EEEEESK_NSA_INS5_IJNSC_16discard_iteratorINSC_11use_defaultEEESN_EEEEEPS7_SQ_SQ_NSC_11hip_rocprim7__merge17predicate_wrapperIiiNSC_4lessIiEEEEEE10hipError_tPvRmT0_T1_T2_T3_T4_T5_mmT6_P12ihipStream_tbEUlT_E_NS1_11comp_targetILNS1_3genE2ELNS1_11target_archE906ELNS1_3gpuE6ELNS1_3repE0EEENS1_30default_config_static_selectorELNS0_4arch9wavefront6targetE0EEEvS11_.has_indirect_call, 0
	.section	.AMDGPU.csdata,"",@progbits
; Kernel info:
; codeLenInByte = 0
; TotalNumSgprs: 0
; NumVgprs: 0
; ScratchSize: 0
; MemoryBound: 0
; FloatMode: 240
; IeeeMode: 1
; LDSByteSize: 0 bytes/workgroup (compile time only)
; SGPRBlocks: 0
; VGPRBlocks: 0
; NumSGPRsForWavesPerEU: 1
; NumVGPRsForWavesPerEU: 1
; Occupancy: 16
; WaveLimiterHint : 0
; COMPUTE_PGM_RSRC2:SCRATCH_EN: 0
; COMPUTE_PGM_RSRC2:USER_SGPR: 6
; COMPUTE_PGM_RSRC2:TRAP_HANDLER: 0
; COMPUTE_PGM_RSRC2:TGID_X_EN: 1
; COMPUTE_PGM_RSRC2:TGID_Y_EN: 0
; COMPUTE_PGM_RSRC2:TGID_Z_EN: 0
; COMPUTE_PGM_RSRC2:TIDIG_COMP_CNT: 0
	.section	.text._ZN7rocprim17ROCPRIM_400000_NS6detail17trampoline_kernelINS0_14default_configENS1_21merge_config_selectorINS0_5tupleIJiiEEENS0_10empty_typeEEEZNS1_10merge_implIS3_NS0_12zip_iteratorINS5_IJN6thrust23THRUST_200600_302600_NS6detail15normal_iteratorINSC_10device_ptrIKiEEEESI_EEEEESK_NSA_INS5_IJNSC_16discard_iteratorINSC_11use_defaultEEESN_EEEEEPS7_SQ_SQ_NSC_11hip_rocprim7__merge17predicate_wrapperIiiNSC_4lessIiEEEEEE10hipError_tPvRmT0_T1_T2_T3_T4_T5_mmT6_P12ihipStream_tbEUlT_E_NS1_11comp_targetILNS1_3genE10ELNS1_11target_archE1201ELNS1_3gpuE5ELNS1_3repE0EEENS1_30default_config_static_selectorELNS0_4arch9wavefront6targetE0EEEvS11_,"axG",@progbits,_ZN7rocprim17ROCPRIM_400000_NS6detail17trampoline_kernelINS0_14default_configENS1_21merge_config_selectorINS0_5tupleIJiiEEENS0_10empty_typeEEEZNS1_10merge_implIS3_NS0_12zip_iteratorINS5_IJN6thrust23THRUST_200600_302600_NS6detail15normal_iteratorINSC_10device_ptrIKiEEEESI_EEEEESK_NSA_INS5_IJNSC_16discard_iteratorINSC_11use_defaultEEESN_EEEEEPS7_SQ_SQ_NSC_11hip_rocprim7__merge17predicate_wrapperIiiNSC_4lessIiEEEEEE10hipError_tPvRmT0_T1_T2_T3_T4_T5_mmT6_P12ihipStream_tbEUlT_E_NS1_11comp_targetILNS1_3genE10ELNS1_11target_archE1201ELNS1_3gpuE5ELNS1_3repE0EEENS1_30default_config_static_selectorELNS0_4arch9wavefront6targetE0EEEvS11_,comdat
	.protected	_ZN7rocprim17ROCPRIM_400000_NS6detail17trampoline_kernelINS0_14default_configENS1_21merge_config_selectorINS0_5tupleIJiiEEENS0_10empty_typeEEEZNS1_10merge_implIS3_NS0_12zip_iteratorINS5_IJN6thrust23THRUST_200600_302600_NS6detail15normal_iteratorINSC_10device_ptrIKiEEEESI_EEEEESK_NSA_INS5_IJNSC_16discard_iteratorINSC_11use_defaultEEESN_EEEEEPS7_SQ_SQ_NSC_11hip_rocprim7__merge17predicate_wrapperIiiNSC_4lessIiEEEEEE10hipError_tPvRmT0_T1_T2_T3_T4_T5_mmT6_P12ihipStream_tbEUlT_E_NS1_11comp_targetILNS1_3genE10ELNS1_11target_archE1201ELNS1_3gpuE5ELNS1_3repE0EEENS1_30default_config_static_selectorELNS0_4arch9wavefront6targetE0EEEvS11_ ; -- Begin function _ZN7rocprim17ROCPRIM_400000_NS6detail17trampoline_kernelINS0_14default_configENS1_21merge_config_selectorINS0_5tupleIJiiEEENS0_10empty_typeEEEZNS1_10merge_implIS3_NS0_12zip_iteratorINS5_IJN6thrust23THRUST_200600_302600_NS6detail15normal_iteratorINSC_10device_ptrIKiEEEESI_EEEEESK_NSA_INS5_IJNSC_16discard_iteratorINSC_11use_defaultEEESN_EEEEEPS7_SQ_SQ_NSC_11hip_rocprim7__merge17predicate_wrapperIiiNSC_4lessIiEEEEEE10hipError_tPvRmT0_T1_T2_T3_T4_T5_mmT6_P12ihipStream_tbEUlT_E_NS1_11comp_targetILNS1_3genE10ELNS1_11target_archE1201ELNS1_3gpuE5ELNS1_3repE0EEENS1_30default_config_static_selectorELNS0_4arch9wavefront6targetE0EEEvS11_
	.globl	_ZN7rocprim17ROCPRIM_400000_NS6detail17trampoline_kernelINS0_14default_configENS1_21merge_config_selectorINS0_5tupleIJiiEEENS0_10empty_typeEEEZNS1_10merge_implIS3_NS0_12zip_iteratorINS5_IJN6thrust23THRUST_200600_302600_NS6detail15normal_iteratorINSC_10device_ptrIKiEEEESI_EEEEESK_NSA_INS5_IJNSC_16discard_iteratorINSC_11use_defaultEEESN_EEEEEPS7_SQ_SQ_NSC_11hip_rocprim7__merge17predicate_wrapperIiiNSC_4lessIiEEEEEE10hipError_tPvRmT0_T1_T2_T3_T4_T5_mmT6_P12ihipStream_tbEUlT_E_NS1_11comp_targetILNS1_3genE10ELNS1_11target_archE1201ELNS1_3gpuE5ELNS1_3repE0EEENS1_30default_config_static_selectorELNS0_4arch9wavefront6targetE0EEEvS11_
	.p2align	8
	.type	_ZN7rocprim17ROCPRIM_400000_NS6detail17trampoline_kernelINS0_14default_configENS1_21merge_config_selectorINS0_5tupleIJiiEEENS0_10empty_typeEEEZNS1_10merge_implIS3_NS0_12zip_iteratorINS5_IJN6thrust23THRUST_200600_302600_NS6detail15normal_iteratorINSC_10device_ptrIKiEEEESI_EEEEESK_NSA_INS5_IJNSC_16discard_iteratorINSC_11use_defaultEEESN_EEEEEPS7_SQ_SQ_NSC_11hip_rocprim7__merge17predicate_wrapperIiiNSC_4lessIiEEEEEE10hipError_tPvRmT0_T1_T2_T3_T4_T5_mmT6_P12ihipStream_tbEUlT_E_NS1_11comp_targetILNS1_3genE10ELNS1_11target_archE1201ELNS1_3gpuE5ELNS1_3repE0EEENS1_30default_config_static_selectorELNS0_4arch9wavefront6targetE0EEEvS11_,@function
_ZN7rocprim17ROCPRIM_400000_NS6detail17trampoline_kernelINS0_14default_configENS1_21merge_config_selectorINS0_5tupleIJiiEEENS0_10empty_typeEEEZNS1_10merge_implIS3_NS0_12zip_iteratorINS5_IJN6thrust23THRUST_200600_302600_NS6detail15normal_iteratorINSC_10device_ptrIKiEEEESI_EEEEESK_NSA_INS5_IJNSC_16discard_iteratorINSC_11use_defaultEEESN_EEEEEPS7_SQ_SQ_NSC_11hip_rocprim7__merge17predicate_wrapperIiiNSC_4lessIiEEEEEE10hipError_tPvRmT0_T1_T2_T3_T4_T5_mmT6_P12ihipStream_tbEUlT_E_NS1_11comp_targetILNS1_3genE10ELNS1_11target_archE1201ELNS1_3gpuE5ELNS1_3repE0EEENS1_30default_config_static_selectorELNS0_4arch9wavefront6targetE0EEEvS11_: ; @_ZN7rocprim17ROCPRIM_400000_NS6detail17trampoline_kernelINS0_14default_configENS1_21merge_config_selectorINS0_5tupleIJiiEEENS0_10empty_typeEEEZNS1_10merge_implIS3_NS0_12zip_iteratorINS5_IJN6thrust23THRUST_200600_302600_NS6detail15normal_iteratorINSC_10device_ptrIKiEEEESI_EEEEESK_NSA_INS5_IJNSC_16discard_iteratorINSC_11use_defaultEEESN_EEEEEPS7_SQ_SQ_NSC_11hip_rocprim7__merge17predicate_wrapperIiiNSC_4lessIiEEEEEE10hipError_tPvRmT0_T1_T2_T3_T4_T5_mmT6_P12ihipStream_tbEUlT_E_NS1_11comp_targetILNS1_3genE10ELNS1_11target_archE1201ELNS1_3gpuE5ELNS1_3repE0EEENS1_30default_config_static_selectorELNS0_4arch9wavefront6targetE0EEEvS11_
; %bb.0:
	.section	.rodata,"a",@progbits
	.p2align	6, 0x0
	.amdhsa_kernel _ZN7rocprim17ROCPRIM_400000_NS6detail17trampoline_kernelINS0_14default_configENS1_21merge_config_selectorINS0_5tupleIJiiEEENS0_10empty_typeEEEZNS1_10merge_implIS3_NS0_12zip_iteratorINS5_IJN6thrust23THRUST_200600_302600_NS6detail15normal_iteratorINSC_10device_ptrIKiEEEESI_EEEEESK_NSA_INS5_IJNSC_16discard_iteratorINSC_11use_defaultEEESN_EEEEEPS7_SQ_SQ_NSC_11hip_rocprim7__merge17predicate_wrapperIiiNSC_4lessIiEEEEEE10hipError_tPvRmT0_T1_T2_T3_T4_T5_mmT6_P12ihipStream_tbEUlT_E_NS1_11comp_targetILNS1_3genE10ELNS1_11target_archE1201ELNS1_3gpuE5ELNS1_3repE0EEENS1_30default_config_static_selectorELNS0_4arch9wavefront6targetE0EEEvS11_
		.amdhsa_group_segment_fixed_size 0
		.amdhsa_private_segment_fixed_size 0
		.amdhsa_kernarg_size 64
		.amdhsa_user_sgpr_count 6
		.amdhsa_user_sgpr_private_segment_buffer 1
		.amdhsa_user_sgpr_dispatch_ptr 0
		.amdhsa_user_sgpr_queue_ptr 0
		.amdhsa_user_sgpr_kernarg_segment_ptr 1
		.amdhsa_user_sgpr_dispatch_id 0
		.amdhsa_user_sgpr_flat_scratch_init 0
		.amdhsa_user_sgpr_private_segment_size 0
		.amdhsa_wavefront_size32 1
		.amdhsa_uses_dynamic_stack 0
		.amdhsa_system_sgpr_private_segment_wavefront_offset 0
		.amdhsa_system_sgpr_workgroup_id_x 1
		.amdhsa_system_sgpr_workgroup_id_y 0
		.amdhsa_system_sgpr_workgroup_id_z 0
		.amdhsa_system_sgpr_workgroup_info 0
		.amdhsa_system_vgpr_workitem_id 0
		.amdhsa_next_free_vgpr 1
		.amdhsa_next_free_sgpr 1
		.amdhsa_reserve_vcc 0
		.amdhsa_reserve_flat_scratch 0
		.amdhsa_float_round_mode_32 0
		.amdhsa_float_round_mode_16_64 0
		.amdhsa_float_denorm_mode_32 3
		.amdhsa_float_denorm_mode_16_64 3
		.amdhsa_dx10_clamp 1
		.amdhsa_ieee_mode 1
		.amdhsa_fp16_overflow 0
		.amdhsa_workgroup_processor_mode 1
		.amdhsa_memory_ordered 1
		.amdhsa_forward_progress 1
		.amdhsa_shared_vgpr_count 0
		.amdhsa_exception_fp_ieee_invalid_op 0
		.amdhsa_exception_fp_denorm_src 0
		.amdhsa_exception_fp_ieee_div_zero 0
		.amdhsa_exception_fp_ieee_overflow 0
		.amdhsa_exception_fp_ieee_underflow 0
		.amdhsa_exception_fp_ieee_inexact 0
		.amdhsa_exception_int_div_zero 0
	.end_amdhsa_kernel
	.section	.text._ZN7rocprim17ROCPRIM_400000_NS6detail17trampoline_kernelINS0_14default_configENS1_21merge_config_selectorINS0_5tupleIJiiEEENS0_10empty_typeEEEZNS1_10merge_implIS3_NS0_12zip_iteratorINS5_IJN6thrust23THRUST_200600_302600_NS6detail15normal_iteratorINSC_10device_ptrIKiEEEESI_EEEEESK_NSA_INS5_IJNSC_16discard_iteratorINSC_11use_defaultEEESN_EEEEEPS7_SQ_SQ_NSC_11hip_rocprim7__merge17predicate_wrapperIiiNSC_4lessIiEEEEEE10hipError_tPvRmT0_T1_T2_T3_T4_T5_mmT6_P12ihipStream_tbEUlT_E_NS1_11comp_targetILNS1_3genE10ELNS1_11target_archE1201ELNS1_3gpuE5ELNS1_3repE0EEENS1_30default_config_static_selectorELNS0_4arch9wavefront6targetE0EEEvS11_,"axG",@progbits,_ZN7rocprim17ROCPRIM_400000_NS6detail17trampoline_kernelINS0_14default_configENS1_21merge_config_selectorINS0_5tupleIJiiEEENS0_10empty_typeEEEZNS1_10merge_implIS3_NS0_12zip_iteratorINS5_IJN6thrust23THRUST_200600_302600_NS6detail15normal_iteratorINSC_10device_ptrIKiEEEESI_EEEEESK_NSA_INS5_IJNSC_16discard_iteratorINSC_11use_defaultEEESN_EEEEEPS7_SQ_SQ_NSC_11hip_rocprim7__merge17predicate_wrapperIiiNSC_4lessIiEEEEEE10hipError_tPvRmT0_T1_T2_T3_T4_T5_mmT6_P12ihipStream_tbEUlT_E_NS1_11comp_targetILNS1_3genE10ELNS1_11target_archE1201ELNS1_3gpuE5ELNS1_3repE0EEENS1_30default_config_static_selectorELNS0_4arch9wavefront6targetE0EEEvS11_,comdat
.Lfunc_end592:
	.size	_ZN7rocprim17ROCPRIM_400000_NS6detail17trampoline_kernelINS0_14default_configENS1_21merge_config_selectorINS0_5tupleIJiiEEENS0_10empty_typeEEEZNS1_10merge_implIS3_NS0_12zip_iteratorINS5_IJN6thrust23THRUST_200600_302600_NS6detail15normal_iteratorINSC_10device_ptrIKiEEEESI_EEEEESK_NSA_INS5_IJNSC_16discard_iteratorINSC_11use_defaultEEESN_EEEEEPS7_SQ_SQ_NSC_11hip_rocprim7__merge17predicate_wrapperIiiNSC_4lessIiEEEEEE10hipError_tPvRmT0_T1_T2_T3_T4_T5_mmT6_P12ihipStream_tbEUlT_E_NS1_11comp_targetILNS1_3genE10ELNS1_11target_archE1201ELNS1_3gpuE5ELNS1_3repE0EEENS1_30default_config_static_selectorELNS0_4arch9wavefront6targetE0EEEvS11_, .Lfunc_end592-_ZN7rocprim17ROCPRIM_400000_NS6detail17trampoline_kernelINS0_14default_configENS1_21merge_config_selectorINS0_5tupleIJiiEEENS0_10empty_typeEEEZNS1_10merge_implIS3_NS0_12zip_iteratorINS5_IJN6thrust23THRUST_200600_302600_NS6detail15normal_iteratorINSC_10device_ptrIKiEEEESI_EEEEESK_NSA_INS5_IJNSC_16discard_iteratorINSC_11use_defaultEEESN_EEEEEPS7_SQ_SQ_NSC_11hip_rocprim7__merge17predicate_wrapperIiiNSC_4lessIiEEEEEE10hipError_tPvRmT0_T1_T2_T3_T4_T5_mmT6_P12ihipStream_tbEUlT_E_NS1_11comp_targetILNS1_3genE10ELNS1_11target_archE1201ELNS1_3gpuE5ELNS1_3repE0EEENS1_30default_config_static_selectorELNS0_4arch9wavefront6targetE0EEEvS11_
                                        ; -- End function
	.set _ZN7rocprim17ROCPRIM_400000_NS6detail17trampoline_kernelINS0_14default_configENS1_21merge_config_selectorINS0_5tupleIJiiEEENS0_10empty_typeEEEZNS1_10merge_implIS3_NS0_12zip_iteratorINS5_IJN6thrust23THRUST_200600_302600_NS6detail15normal_iteratorINSC_10device_ptrIKiEEEESI_EEEEESK_NSA_INS5_IJNSC_16discard_iteratorINSC_11use_defaultEEESN_EEEEEPS7_SQ_SQ_NSC_11hip_rocprim7__merge17predicate_wrapperIiiNSC_4lessIiEEEEEE10hipError_tPvRmT0_T1_T2_T3_T4_T5_mmT6_P12ihipStream_tbEUlT_E_NS1_11comp_targetILNS1_3genE10ELNS1_11target_archE1201ELNS1_3gpuE5ELNS1_3repE0EEENS1_30default_config_static_selectorELNS0_4arch9wavefront6targetE0EEEvS11_.num_vgpr, 0
	.set _ZN7rocprim17ROCPRIM_400000_NS6detail17trampoline_kernelINS0_14default_configENS1_21merge_config_selectorINS0_5tupleIJiiEEENS0_10empty_typeEEEZNS1_10merge_implIS3_NS0_12zip_iteratorINS5_IJN6thrust23THRUST_200600_302600_NS6detail15normal_iteratorINSC_10device_ptrIKiEEEESI_EEEEESK_NSA_INS5_IJNSC_16discard_iteratorINSC_11use_defaultEEESN_EEEEEPS7_SQ_SQ_NSC_11hip_rocprim7__merge17predicate_wrapperIiiNSC_4lessIiEEEEEE10hipError_tPvRmT0_T1_T2_T3_T4_T5_mmT6_P12ihipStream_tbEUlT_E_NS1_11comp_targetILNS1_3genE10ELNS1_11target_archE1201ELNS1_3gpuE5ELNS1_3repE0EEENS1_30default_config_static_selectorELNS0_4arch9wavefront6targetE0EEEvS11_.num_agpr, 0
	.set _ZN7rocprim17ROCPRIM_400000_NS6detail17trampoline_kernelINS0_14default_configENS1_21merge_config_selectorINS0_5tupleIJiiEEENS0_10empty_typeEEEZNS1_10merge_implIS3_NS0_12zip_iteratorINS5_IJN6thrust23THRUST_200600_302600_NS6detail15normal_iteratorINSC_10device_ptrIKiEEEESI_EEEEESK_NSA_INS5_IJNSC_16discard_iteratorINSC_11use_defaultEEESN_EEEEEPS7_SQ_SQ_NSC_11hip_rocprim7__merge17predicate_wrapperIiiNSC_4lessIiEEEEEE10hipError_tPvRmT0_T1_T2_T3_T4_T5_mmT6_P12ihipStream_tbEUlT_E_NS1_11comp_targetILNS1_3genE10ELNS1_11target_archE1201ELNS1_3gpuE5ELNS1_3repE0EEENS1_30default_config_static_selectorELNS0_4arch9wavefront6targetE0EEEvS11_.numbered_sgpr, 0
	.set _ZN7rocprim17ROCPRIM_400000_NS6detail17trampoline_kernelINS0_14default_configENS1_21merge_config_selectorINS0_5tupleIJiiEEENS0_10empty_typeEEEZNS1_10merge_implIS3_NS0_12zip_iteratorINS5_IJN6thrust23THRUST_200600_302600_NS6detail15normal_iteratorINSC_10device_ptrIKiEEEESI_EEEEESK_NSA_INS5_IJNSC_16discard_iteratorINSC_11use_defaultEEESN_EEEEEPS7_SQ_SQ_NSC_11hip_rocprim7__merge17predicate_wrapperIiiNSC_4lessIiEEEEEE10hipError_tPvRmT0_T1_T2_T3_T4_T5_mmT6_P12ihipStream_tbEUlT_E_NS1_11comp_targetILNS1_3genE10ELNS1_11target_archE1201ELNS1_3gpuE5ELNS1_3repE0EEENS1_30default_config_static_selectorELNS0_4arch9wavefront6targetE0EEEvS11_.num_named_barrier, 0
	.set _ZN7rocprim17ROCPRIM_400000_NS6detail17trampoline_kernelINS0_14default_configENS1_21merge_config_selectorINS0_5tupleIJiiEEENS0_10empty_typeEEEZNS1_10merge_implIS3_NS0_12zip_iteratorINS5_IJN6thrust23THRUST_200600_302600_NS6detail15normal_iteratorINSC_10device_ptrIKiEEEESI_EEEEESK_NSA_INS5_IJNSC_16discard_iteratorINSC_11use_defaultEEESN_EEEEEPS7_SQ_SQ_NSC_11hip_rocprim7__merge17predicate_wrapperIiiNSC_4lessIiEEEEEE10hipError_tPvRmT0_T1_T2_T3_T4_T5_mmT6_P12ihipStream_tbEUlT_E_NS1_11comp_targetILNS1_3genE10ELNS1_11target_archE1201ELNS1_3gpuE5ELNS1_3repE0EEENS1_30default_config_static_selectorELNS0_4arch9wavefront6targetE0EEEvS11_.private_seg_size, 0
	.set _ZN7rocprim17ROCPRIM_400000_NS6detail17trampoline_kernelINS0_14default_configENS1_21merge_config_selectorINS0_5tupleIJiiEEENS0_10empty_typeEEEZNS1_10merge_implIS3_NS0_12zip_iteratorINS5_IJN6thrust23THRUST_200600_302600_NS6detail15normal_iteratorINSC_10device_ptrIKiEEEESI_EEEEESK_NSA_INS5_IJNSC_16discard_iteratorINSC_11use_defaultEEESN_EEEEEPS7_SQ_SQ_NSC_11hip_rocprim7__merge17predicate_wrapperIiiNSC_4lessIiEEEEEE10hipError_tPvRmT0_T1_T2_T3_T4_T5_mmT6_P12ihipStream_tbEUlT_E_NS1_11comp_targetILNS1_3genE10ELNS1_11target_archE1201ELNS1_3gpuE5ELNS1_3repE0EEENS1_30default_config_static_selectorELNS0_4arch9wavefront6targetE0EEEvS11_.uses_vcc, 0
	.set _ZN7rocprim17ROCPRIM_400000_NS6detail17trampoline_kernelINS0_14default_configENS1_21merge_config_selectorINS0_5tupleIJiiEEENS0_10empty_typeEEEZNS1_10merge_implIS3_NS0_12zip_iteratorINS5_IJN6thrust23THRUST_200600_302600_NS6detail15normal_iteratorINSC_10device_ptrIKiEEEESI_EEEEESK_NSA_INS5_IJNSC_16discard_iteratorINSC_11use_defaultEEESN_EEEEEPS7_SQ_SQ_NSC_11hip_rocprim7__merge17predicate_wrapperIiiNSC_4lessIiEEEEEE10hipError_tPvRmT0_T1_T2_T3_T4_T5_mmT6_P12ihipStream_tbEUlT_E_NS1_11comp_targetILNS1_3genE10ELNS1_11target_archE1201ELNS1_3gpuE5ELNS1_3repE0EEENS1_30default_config_static_selectorELNS0_4arch9wavefront6targetE0EEEvS11_.uses_flat_scratch, 0
	.set _ZN7rocprim17ROCPRIM_400000_NS6detail17trampoline_kernelINS0_14default_configENS1_21merge_config_selectorINS0_5tupleIJiiEEENS0_10empty_typeEEEZNS1_10merge_implIS3_NS0_12zip_iteratorINS5_IJN6thrust23THRUST_200600_302600_NS6detail15normal_iteratorINSC_10device_ptrIKiEEEESI_EEEEESK_NSA_INS5_IJNSC_16discard_iteratorINSC_11use_defaultEEESN_EEEEEPS7_SQ_SQ_NSC_11hip_rocprim7__merge17predicate_wrapperIiiNSC_4lessIiEEEEEE10hipError_tPvRmT0_T1_T2_T3_T4_T5_mmT6_P12ihipStream_tbEUlT_E_NS1_11comp_targetILNS1_3genE10ELNS1_11target_archE1201ELNS1_3gpuE5ELNS1_3repE0EEENS1_30default_config_static_selectorELNS0_4arch9wavefront6targetE0EEEvS11_.has_dyn_sized_stack, 0
	.set _ZN7rocprim17ROCPRIM_400000_NS6detail17trampoline_kernelINS0_14default_configENS1_21merge_config_selectorINS0_5tupleIJiiEEENS0_10empty_typeEEEZNS1_10merge_implIS3_NS0_12zip_iteratorINS5_IJN6thrust23THRUST_200600_302600_NS6detail15normal_iteratorINSC_10device_ptrIKiEEEESI_EEEEESK_NSA_INS5_IJNSC_16discard_iteratorINSC_11use_defaultEEESN_EEEEEPS7_SQ_SQ_NSC_11hip_rocprim7__merge17predicate_wrapperIiiNSC_4lessIiEEEEEE10hipError_tPvRmT0_T1_T2_T3_T4_T5_mmT6_P12ihipStream_tbEUlT_E_NS1_11comp_targetILNS1_3genE10ELNS1_11target_archE1201ELNS1_3gpuE5ELNS1_3repE0EEENS1_30default_config_static_selectorELNS0_4arch9wavefront6targetE0EEEvS11_.has_recursion, 0
	.set _ZN7rocprim17ROCPRIM_400000_NS6detail17trampoline_kernelINS0_14default_configENS1_21merge_config_selectorINS0_5tupleIJiiEEENS0_10empty_typeEEEZNS1_10merge_implIS3_NS0_12zip_iteratorINS5_IJN6thrust23THRUST_200600_302600_NS6detail15normal_iteratorINSC_10device_ptrIKiEEEESI_EEEEESK_NSA_INS5_IJNSC_16discard_iteratorINSC_11use_defaultEEESN_EEEEEPS7_SQ_SQ_NSC_11hip_rocprim7__merge17predicate_wrapperIiiNSC_4lessIiEEEEEE10hipError_tPvRmT0_T1_T2_T3_T4_T5_mmT6_P12ihipStream_tbEUlT_E_NS1_11comp_targetILNS1_3genE10ELNS1_11target_archE1201ELNS1_3gpuE5ELNS1_3repE0EEENS1_30default_config_static_selectorELNS0_4arch9wavefront6targetE0EEEvS11_.has_indirect_call, 0
	.section	.AMDGPU.csdata,"",@progbits
; Kernel info:
; codeLenInByte = 0
; TotalNumSgprs: 0
; NumVgprs: 0
; ScratchSize: 0
; MemoryBound: 0
; FloatMode: 240
; IeeeMode: 1
; LDSByteSize: 0 bytes/workgroup (compile time only)
; SGPRBlocks: 0
; VGPRBlocks: 0
; NumSGPRsForWavesPerEU: 1
; NumVGPRsForWavesPerEU: 1
; Occupancy: 16
; WaveLimiterHint : 0
; COMPUTE_PGM_RSRC2:SCRATCH_EN: 0
; COMPUTE_PGM_RSRC2:USER_SGPR: 6
; COMPUTE_PGM_RSRC2:TRAP_HANDLER: 0
; COMPUTE_PGM_RSRC2:TGID_X_EN: 1
; COMPUTE_PGM_RSRC2:TGID_Y_EN: 0
; COMPUTE_PGM_RSRC2:TGID_Z_EN: 0
; COMPUTE_PGM_RSRC2:TIDIG_COMP_CNT: 0
	.section	.text._ZN7rocprim17ROCPRIM_400000_NS6detail17trampoline_kernelINS0_14default_configENS1_21merge_config_selectorINS0_5tupleIJiiEEENS0_10empty_typeEEEZNS1_10merge_implIS3_NS0_12zip_iteratorINS5_IJN6thrust23THRUST_200600_302600_NS6detail15normal_iteratorINSC_10device_ptrIKiEEEESI_EEEEESK_NSA_INS5_IJNSC_16discard_iteratorINSC_11use_defaultEEESN_EEEEEPS7_SQ_SQ_NSC_11hip_rocprim7__merge17predicate_wrapperIiiNSC_4lessIiEEEEEE10hipError_tPvRmT0_T1_T2_T3_T4_T5_mmT6_P12ihipStream_tbEUlT_E_NS1_11comp_targetILNS1_3genE10ELNS1_11target_archE1200ELNS1_3gpuE4ELNS1_3repE0EEENS1_30default_config_static_selectorELNS0_4arch9wavefront6targetE0EEEvS11_,"axG",@progbits,_ZN7rocprim17ROCPRIM_400000_NS6detail17trampoline_kernelINS0_14default_configENS1_21merge_config_selectorINS0_5tupleIJiiEEENS0_10empty_typeEEEZNS1_10merge_implIS3_NS0_12zip_iteratorINS5_IJN6thrust23THRUST_200600_302600_NS6detail15normal_iteratorINSC_10device_ptrIKiEEEESI_EEEEESK_NSA_INS5_IJNSC_16discard_iteratorINSC_11use_defaultEEESN_EEEEEPS7_SQ_SQ_NSC_11hip_rocprim7__merge17predicate_wrapperIiiNSC_4lessIiEEEEEE10hipError_tPvRmT0_T1_T2_T3_T4_T5_mmT6_P12ihipStream_tbEUlT_E_NS1_11comp_targetILNS1_3genE10ELNS1_11target_archE1200ELNS1_3gpuE4ELNS1_3repE0EEENS1_30default_config_static_selectorELNS0_4arch9wavefront6targetE0EEEvS11_,comdat
	.protected	_ZN7rocprim17ROCPRIM_400000_NS6detail17trampoline_kernelINS0_14default_configENS1_21merge_config_selectorINS0_5tupleIJiiEEENS0_10empty_typeEEEZNS1_10merge_implIS3_NS0_12zip_iteratorINS5_IJN6thrust23THRUST_200600_302600_NS6detail15normal_iteratorINSC_10device_ptrIKiEEEESI_EEEEESK_NSA_INS5_IJNSC_16discard_iteratorINSC_11use_defaultEEESN_EEEEEPS7_SQ_SQ_NSC_11hip_rocprim7__merge17predicate_wrapperIiiNSC_4lessIiEEEEEE10hipError_tPvRmT0_T1_T2_T3_T4_T5_mmT6_P12ihipStream_tbEUlT_E_NS1_11comp_targetILNS1_3genE10ELNS1_11target_archE1200ELNS1_3gpuE4ELNS1_3repE0EEENS1_30default_config_static_selectorELNS0_4arch9wavefront6targetE0EEEvS11_ ; -- Begin function _ZN7rocprim17ROCPRIM_400000_NS6detail17trampoline_kernelINS0_14default_configENS1_21merge_config_selectorINS0_5tupleIJiiEEENS0_10empty_typeEEEZNS1_10merge_implIS3_NS0_12zip_iteratorINS5_IJN6thrust23THRUST_200600_302600_NS6detail15normal_iteratorINSC_10device_ptrIKiEEEESI_EEEEESK_NSA_INS5_IJNSC_16discard_iteratorINSC_11use_defaultEEESN_EEEEEPS7_SQ_SQ_NSC_11hip_rocprim7__merge17predicate_wrapperIiiNSC_4lessIiEEEEEE10hipError_tPvRmT0_T1_T2_T3_T4_T5_mmT6_P12ihipStream_tbEUlT_E_NS1_11comp_targetILNS1_3genE10ELNS1_11target_archE1200ELNS1_3gpuE4ELNS1_3repE0EEENS1_30default_config_static_selectorELNS0_4arch9wavefront6targetE0EEEvS11_
	.globl	_ZN7rocprim17ROCPRIM_400000_NS6detail17trampoline_kernelINS0_14default_configENS1_21merge_config_selectorINS0_5tupleIJiiEEENS0_10empty_typeEEEZNS1_10merge_implIS3_NS0_12zip_iteratorINS5_IJN6thrust23THRUST_200600_302600_NS6detail15normal_iteratorINSC_10device_ptrIKiEEEESI_EEEEESK_NSA_INS5_IJNSC_16discard_iteratorINSC_11use_defaultEEESN_EEEEEPS7_SQ_SQ_NSC_11hip_rocprim7__merge17predicate_wrapperIiiNSC_4lessIiEEEEEE10hipError_tPvRmT0_T1_T2_T3_T4_T5_mmT6_P12ihipStream_tbEUlT_E_NS1_11comp_targetILNS1_3genE10ELNS1_11target_archE1200ELNS1_3gpuE4ELNS1_3repE0EEENS1_30default_config_static_selectorELNS0_4arch9wavefront6targetE0EEEvS11_
	.p2align	8
	.type	_ZN7rocprim17ROCPRIM_400000_NS6detail17trampoline_kernelINS0_14default_configENS1_21merge_config_selectorINS0_5tupleIJiiEEENS0_10empty_typeEEEZNS1_10merge_implIS3_NS0_12zip_iteratorINS5_IJN6thrust23THRUST_200600_302600_NS6detail15normal_iteratorINSC_10device_ptrIKiEEEESI_EEEEESK_NSA_INS5_IJNSC_16discard_iteratorINSC_11use_defaultEEESN_EEEEEPS7_SQ_SQ_NSC_11hip_rocprim7__merge17predicate_wrapperIiiNSC_4lessIiEEEEEE10hipError_tPvRmT0_T1_T2_T3_T4_T5_mmT6_P12ihipStream_tbEUlT_E_NS1_11comp_targetILNS1_3genE10ELNS1_11target_archE1200ELNS1_3gpuE4ELNS1_3repE0EEENS1_30default_config_static_selectorELNS0_4arch9wavefront6targetE0EEEvS11_,@function
_ZN7rocprim17ROCPRIM_400000_NS6detail17trampoline_kernelINS0_14default_configENS1_21merge_config_selectorINS0_5tupleIJiiEEENS0_10empty_typeEEEZNS1_10merge_implIS3_NS0_12zip_iteratorINS5_IJN6thrust23THRUST_200600_302600_NS6detail15normal_iteratorINSC_10device_ptrIKiEEEESI_EEEEESK_NSA_INS5_IJNSC_16discard_iteratorINSC_11use_defaultEEESN_EEEEEPS7_SQ_SQ_NSC_11hip_rocprim7__merge17predicate_wrapperIiiNSC_4lessIiEEEEEE10hipError_tPvRmT0_T1_T2_T3_T4_T5_mmT6_P12ihipStream_tbEUlT_E_NS1_11comp_targetILNS1_3genE10ELNS1_11target_archE1200ELNS1_3gpuE4ELNS1_3repE0EEENS1_30default_config_static_selectorELNS0_4arch9wavefront6targetE0EEEvS11_: ; @_ZN7rocprim17ROCPRIM_400000_NS6detail17trampoline_kernelINS0_14default_configENS1_21merge_config_selectorINS0_5tupleIJiiEEENS0_10empty_typeEEEZNS1_10merge_implIS3_NS0_12zip_iteratorINS5_IJN6thrust23THRUST_200600_302600_NS6detail15normal_iteratorINSC_10device_ptrIKiEEEESI_EEEEESK_NSA_INS5_IJNSC_16discard_iteratorINSC_11use_defaultEEESN_EEEEEPS7_SQ_SQ_NSC_11hip_rocprim7__merge17predicate_wrapperIiiNSC_4lessIiEEEEEE10hipError_tPvRmT0_T1_T2_T3_T4_T5_mmT6_P12ihipStream_tbEUlT_E_NS1_11comp_targetILNS1_3genE10ELNS1_11target_archE1200ELNS1_3gpuE4ELNS1_3repE0EEENS1_30default_config_static_selectorELNS0_4arch9wavefront6targetE0EEEvS11_
; %bb.0:
	.section	.rodata,"a",@progbits
	.p2align	6, 0x0
	.amdhsa_kernel _ZN7rocprim17ROCPRIM_400000_NS6detail17trampoline_kernelINS0_14default_configENS1_21merge_config_selectorINS0_5tupleIJiiEEENS0_10empty_typeEEEZNS1_10merge_implIS3_NS0_12zip_iteratorINS5_IJN6thrust23THRUST_200600_302600_NS6detail15normal_iteratorINSC_10device_ptrIKiEEEESI_EEEEESK_NSA_INS5_IJNSC_16discard_iteratorINSC_11use_defaultEEESN_EEEEEPS7_SQ_SQ_NSC_11hip_rocprim7__merge17predicate_wrapperIiiNSC_4lessIiEEEEEE10hipError_tPvRmT0_T1_T2_T3_T4_T5_mmT6_P12ihipStream_tbEUlT_E_NS1_11comp_targetILNS1_3genE10ELNS1_11target_archE1200ELNS1_3gpuE4ELNS1_3repE0EEENS1_30default_config_static_selectorELNS0_4arch9wavefront6targetE0EEEvS11_
		.amdhsa_group_segment_fixed_size 0
		.amdhsa_private_segment_fixed_size 0
		.amdhsa_kernarg_size 64
		.amdhsa_user_sgpr_count 6
		.amdhsa_user_sgpr_private_segment_buffer 1
		.amdhsa_user_sgpr_dispatch_ptr 0
		.amdhsa_user_sgpr_queue_ptr 0
		.amdhsa_user_sgpr_kernarg_segment_ptr 1
		.amdhsa_user_sgpr_dispatch_id 0
		.amdhsa_user_sgpr_flat_scratch_init 0
		.amdhsa_user_sgpr_private_segment_size 0
		.amdhsa_wavefront_size32 1
		.amdhsa_uses_dynamic_stack 0
		.amdhsa_system_sgpr_private_segment_wavefront_offset 0
		.amdhsa_system_sgpr_workgroup_id_x 1
		.amdhsa_system_sgpr_workgroup_id_y 0
		.amdhsa_system_sgpr_workgroup_id_z 0
		.amdhsa_system_sgpr_workgroup_info 0
		.amdhsa_system_vgpr_workitem_id 0
		.amdhsa_next_free_vgpr 1
		.amdhsa_next_free_sgpr 1
		.amdhsa_reserve_vcc 0
		.amdhsa_reserve_flat_scratch 0
		.amdhsa_float_round_mode_32 0
		.amdhsa_float_round_mode_16_64 0
		.amdhsa_float_denorm_mode_32 3
		.amdhsa_float_denorm_mode_16_64 3
		.amdhsa_dx10_clamp 1
		.amdhsa_ieee_mode 1
		.amdhsa_fp16_overflow 0
		.amdhsa_workgroup_processor_mode 1
		.amdhsa_memory_ordered 1
		.amdhsa_forward_progress 1
		.amdhsa_shared_vgpr_count 0
		.amdhsa_exception_fp_ieee_invalid_op 0
		.amdhsa_exception_fp_denorm_src 0
		.amdhsa_exception_fp_ieee_div_zero 0
		.amdhsa_exception_fp_ieee_overflow 0
		.amdhsa_exception_fp_ieee_underflow 0
		.amdhsa_exception_fp_ieee_inexact 0
		.amdhsa_exception_int_div_zero 0
	.end_amdhsa_kernel
	.section	.text._ZN7rocprim17ROCPRIM_400000_NS6detail17trampoline_kernelINS0_14default_configENS1_21merge_config_selectorINS0_5tupleIJiiEEENS0_10empty_typeEEEZNS1_10merge_implIS3_NS0_12zip_iteratorINS5_IJN6thrust23THRUST_200600_302600_NS6detail15normal_iteratorINSC_10device_ptrIKiEEEESI_EEEEESK_NSA_INS5_IJNSC_16discard_iteratorINSC_11use_defaultEEESN_EEEEEPS7_SQ_SQ_NSC_11hip_rocprim7__merge17predicate_wrapperIiiNSC_4lessIiEEEEEE10hipError_tPvRmT0_T1_T2_T3_T4_T5_mmT6_P12ihipStream_tbEUlT_E_NS1_11comp_targetILNS1_3genE10ELNS1_11target_archE1200ELNS1_3gpuE4ELNS1_3repE0EEENS1_30default_config_static_selectorELNS0_4arch9wavefront6targetE0EEEvS11_,"axG",@progbits,_ZN7rocprim17ROCPRIM_400000_NS6detail17trampoline_kernelINS0_14default_configENS1_21merge_config_selectorINS0_5tupleIJiiEEENS0_10empty_typeEEEZNS1_10merge_implIS3_NS0_12zip_iteratorINS5_IJN6thrust23THRUST_200600_302600_NS6detail15normal_iteratorINSC_10device_ptrIKiEEEESI_EEEEESK_NSA_INS5_IJNSC_16discard_iteratorINSC_11use_defaultEEESN_EEEEEPS7_SQ_SQ_NSC_11hip_rocprim7__merge17predicate_wrapperIiiNSC_4lessIiEEEEEE10hipError_tPvRmT0_T1_T2_T3_T4_T5_mmT6_P12ihipStream_tbEUlT_E_NS1_11comp_targetILNS1_3genE10ELNS1_11target_archE1200ELNS1_3gpuE4ELNS1_3repE0EEENS1_30default_config_static_selectorELNS0_4arch9wavefront6targetE0EEEvS11_,comdat
.Lfunc_end593:
	.size	_ZN7rocprim17ROCPRIM_400000_NS6detail17trampoline_kernelINS0_14default_configENS1_21merge_config_selectorINS0_5tupleIJiiEEENS0_10empty_typeEEEZNS1_10merge_implIS3_NS0_12zip_iteratorINS5_IJN6thrust23THRUST_200600_302600_NS6detail15normal_iteratorINSC_10device_ptrIKiEEEESI_EEEEESK_NSA_INS5_IJNSC_16discard_iteratorINSC_11use_defaultEEESN_EEEEEPS7_SQ_SQ_NSC_11hip_rocprim7__merge17predicate_wrapperIiiNSC_4lessIiEEEEEE10hipError_tPvRmT0_T1_T2_T3_T4_T5_mmT6_P12ihipStream_tbEUlT_E_NS1_11comp_targetILNS1_3genE10ELNS1_11target_archE1200ELNS1_3gpuE4ELNS1_3repE0EEENS1_30default_config_static_selectorELNS0_4arch9wavefront6targetE0EEEvS11_, .Lfunc_end593-_ZN7rocprim17ROCPRIM_400000_NS6detail17trampoline_kernelINS0_14default_configENS1_21merge_config_selectorINS0_5tupleIJiiEEENS0_10empty_typeEEEZNS1_10merge_implIS3_NS0_12zip_iteratorINS5_IJN6thrust23THRUST_200600_302600_NS6detail15normal_iteratorINSC_10device_ptrIKiEEEESI_EEEEESK_NSA_INS5_IJNSC_16discard_iteratorINSC_11use_defaultEEESN_EEEEEPS7_SQ_SQ_NSC_11hip_rocprim7__merge17predicate_wrapperIiiNSC_4lessIiEEEEEE10hipError_tPvRmT0_T1_T2_T3_T4_T5_mmT6_P12ihipStream_tbEUlT_E_NS1_11comp_targetILNS1_3genE10ELNS1_11target_archE1200ELNS1_3gpuE4ELNS1_3repE0EEENS1_30default_config_static_selectorELNS0_4arch9wavefront6targetE0EEEvS11_
                                        ; -- End function
	.set _ZN7rocprim17ROCPRIM_400000_NS6detail17trampoline_kernelINS0_14default_configENS1_21merge_config_selectorINS0_5tupleIJiiEEENS0_10empty_typeEEEZNS1_10merge_implIS3_NS0_12zip_iteratorINS5_IJN6thrust23THRUST_200600_302600_NS6detail15normal_iteratorINSC_10device_ptrIKiEEEESI_EEEEESK_NSA_INS5_IJNSC_16discard_iteratorINSC_11use_defaultEEESN_EEEEEPS7_SQ_SQ_NSC_11hip_rocprim7__merge17predicate_wrapperIiiNSC_4lessIiEEEEEE10hipError_tPvRmT0_T1_T2_T3_T4_T5_mmT6_P12ihipStream_tbEUlT_E_NS1_11comp_targetILNS1_3genE10ELNS1_11target_archE1200ELNS1_3gpuE4ELNS1_3repE0EEENS1_30default_config_static_selectorELNS0_4arch9wavefront6targetE0EEEvS11_.num_vgpr, 0
	.set _ZN7rocprim17ROCPRIM_400000_NS6detail17trampoline_kernelINS0_14default_configENS1_21merge_config_selectorINS0_5tupleIJiiEEENS0_10empty_typeEEEZNS1_10merge_implIS3_NS0_12zip_iteratorINS5_IJN6thrust23THRUST_200600_302600_NS6detail15normal_iteratorINSC_10device_ptrIKiEEEESI_EEEEESK_NSA_INS5_IJNSC_16discard_iteratorINSC_11use_defaultEEESN_EEEEEPS7_SQ_SQ_NSC_11hip_rocprim7__merge17predicate_wrapperIiiNSC_4lessIiEEEEEE10hipError_tPvRmT0_T1_T2_T3_T4_T5_mmT6_P12ihipStream_tbEUlT_E_NS1_11comp_targetILNS1_3genE10ELNS1_11target_archE1200ELNS1_3gpuE4ELNS1_3repE0EEENS1_30default_config_static_selectorELNS0_4arch9wavefront6targetE0EEEvS11_.num_agpr, 0
	.set _ZN7rocprim17ROCPRIM_400000_NS6detail17trampoline_kernelINS0_14default_configENS1_21merge_config_selectorINS0_5tupleIJiiEEENS0_10empty_typeEEEZNS1_10merge_implIS3_NS0_12zip_iteratorINS5_IJN6thrust23THRUST_200600_302600_NS6detail15normal_iteratorINSC_10device_ptrIKiEEEESI_EEEEESK_NSA_INS5_IJNSC_16discard_iteratorINSC_11use_defaultEEESN_EEEEEPS7_SQ_SQ_NSC_11hip_rocprim7__merge17predicate_wrapperIiiNSC_4lessIiEEEEEE10hipError_tPvRmT0_T1_T2_T3_T4_T5_mmT6_P12ihipStream_tbEUlT_E_NS1_11comp_targetILNS1_3genE10ELNS1_11target_archE1200ELNS1_3gpuE4ELNS1_3repE0EEENS1_30default_config_static_selectorELNS0_4arch9wavefront6targetE0EEEvS11_.numbered_sgpr, 0
	.set _ZN7rocprim17ROCPRIM_400000_NS6detail17trampoline_kernelINS0_14default_configENS1_21merge_config_selectorINS0_5tupleIJiiEEENS0_10empty_typeEEEZNS1_10merge_implIS3_NS0_12zip_iteratorINS5_IJN6thrust23THRUST_200600_302600_NS6detail15normal_iteratorINSC_10device_ptrIKiEEEESI_EEEEESK_NSA_INS5_IJNSC_16discard_iteratorINSC_11use_defaultEEESN_EEEEEPS7_SQ_SQ_NSC_11hip_rocprim7__merge17predicate_wrapperIiiNSC_4lessIiEEEEEE10hipError_tPvRmT0_T1_T2_T3_T4_T5_mmT6_P12ihipStream_tbEUlT_E_NS1_11comp_targetILNS1_3genE10ELNS1_11target_archE1200ELNS1_3gpuE4ELNS1_3repE0EEENS1_30default_config_static_selectorELNS0_4arch9wavefront6targetE0EEEvS11_.num_named_barrier, 0
	.set _ZN7rocprim17ROCPRIM_400000_NS6detail17trampoline_kernelINS0_14default_configENS1_21merge_config_selectorINS0_5tupleIJiiEEENS0_10empty_typeEEEZNS1_10merge_implIS3_NS0_12zip_iteratorINS5_IJN6thrust23THRUST_200600_302600_NS6detail15normal_iteratorINSC_10device_ptrIKiEEEESI_EEEEESK_NSA_INS5_IJNSC_16discard_iteratorINSC_11use_defaultEEESN_EEEEEPS7_SQ_SQ_NSC_11hip_rocprim7__merge17predicate_wrapperIiiNSC_4lessIiEEEEEE10hipError_tPvRmT0_T1_T2_T3_T4_T5_mmT6_P12ihipStream_tbEUlT_E_NS1_11comp_targetILNS1_3genE10ELNS1_11target_archE1200ELNS1_3gpuE4ELNS1_3repE0EEENS1_30default_config_static_selectorELNS0_4arch9wavefront6targetE0EEEvS11_.private_seg_size, 0
	.set _ZN7rocprim17ROCPRIM_400000_NS6detail17trampoline_kernelINS0_14default_configENS1_21merge_config_selectorINS0_5tupleIJiiEEENS0_10empty_typeEEEZNS1_10merge_implIS3_NS0_12zip_iteratorINS5_IJN6thrust23THRUST_200600_302600_NS6detail15normal_iteratorINSC_10device_ptrIKiEEEESI_EEEEESK_NSA_INS5_IJNSC_16discard_iteratorINSC_11use_defaultEEESN_EEEEEPS7_SQ_SQ_NSC_11hip_rocprim7__merge17predicate_wrapperIiiNSC_4lessIiEEEEEE10hipError_tPvRmT0_T1_T2_T3_T4_T5_mmT6_P12ihipStream_tbEUlT_E_NS1_11comp_targetILNS1_3genE10ELNS1_11target_archE1200ELNS1_3gpuE4ELNS1_3repE0EEENS1_30default_config_static_selectorELNS0_4arch9wavefront6targetE0EEEvS11_.uses_vcc, 0
	.set _ZN7rocprim17ROCPRIM_400000_NS6detail17trampoline_kernelINS0_14default_configENS1_21merge_config_selectorINS0_5tupleIJiiEEENS0_10empty_typeEEEZNS1_10merge_implIS3_NS0_12zip_iteratorINS5_IJN6thrust23THRUST_200600_302600_NS6detail15normal_iteratorINSC_10device_ptrIKiEEEESI_EEEEESK_NSA_INS5_IJNSC_16discard_iteratorINSC_11use_defaultEEESN_EEEEEPS7_SQ_SQ_NSC_11hip_rocprim7__merge17predicate_wrapperIiiNSC_4lessIiEEEEEE10hipError_tPvRmT0_T1_T2_T3_T4_T5_mmT6_P12ihipStream_tbEUlT_E_NS1_11comp_targetILNS1_3genE10ELNS1_11target_archE1200ELNS1_3gpuE4ELNS1_3repE0EEENS1_30default_config_static_selectorELNS0_4arch9wavefront6targetE0EEEvS11_.uses_flat_scratch, 0
	.set _ZN7rocprim17ROCPRIM_400000_NS6detail17trampoline_kernelINS0_14default_configENS1_21merge_config_selectorINS0_5tupleIJiiEEENS0_10empty_typeEEEZNS1_10merge_implIS3_NS0_12zip_iteratorINS5_IJN6thrust23THRUST_200600_302600_NS6detail15normal_iteratorINSC_10device_ptrIKiEEEESI_EEEEESK_NSA_INS5_IJNSC_16discard_iteratorINSC_11use_defaultEEESN_EEEEEPS7_SQ_SQ_NSC_11hip_rocprim7__merge17predicate_wrapperIiiNSC_4lessIiEEEEEE10hipError_tPvRmT0_T1_T2_T3_T4_T5_mmT6_P12ihipStream_tbEUlT_E_NS1_11comp_targetILNS1_3genE10ELNS1_11target_archE1200ELNS1_3gpuE4ELNS1_3repE0EEENS1_30default_config_static_selectorELNS0_4arch9wavefront6targetE0EEEvS11_.has_dyn_sized_stack, 0
	.set _ZN7rocprim17ROCPRIM_400000_NS6detail17trampoline_kernelINS0_14default_configENS1_21merge_config_selectorINS0_5tupleIJiiEEENS0_10empty_typeEEEZNS1_10merge_implIS3_NS0_12zip_iteratorINS5_IJN6thrust23THRUST_200600_302600_NS6detail15normal_iteratorINSC_10device_ptrIKiEEEESI_EEEEESK_NSA_INS5_IJNSC_16discard_iteratorINSC_11use_defaultEEESN_EEEEEPS7_SQ_SQ_NSC_11hip_rocprim7__merge17predicate_wrapperIiiNSC_4lessIiEEEEEE10hipError_tPvRmT0_T1_T2_T3_T4_T5_mmT6_P12ihipStream_tbEUlT_E_NS1_11comp_targetILNS1_3genE10ELNS1_11target_archE1200ELNS1_3gpuE4ELNS1_3repE0EEENS1_30default_config_static_selectorELNS0_4arch9wavefront6targetE0EEEvS11_.has_recursion, 0
	.set _ZN7rocprim17ROCPRIM_400000_NS6detail17trampoline_kernelINS0_14default_configENS1_21merge_config_selectorINS0_5tupleIJiiEEENS0_10empty_typeEEEZNS1_10merge_implIS3_NS0_12zip_iteratorINS5_IJN6thrust23THRUST_200600_302600_NS6detail15normal_iteratorINSC_10device_ptrIKiEEEESI_EEEEESK_NSA_INS5_IJNSC_16discard_iteratorINSC_11use_defaultEEESN_EEEEEPS7_SQ_SQ_NSC_11hip_rocprim7__merge17predicate_wrapperIiiNSC_4lessIiEEEEEE10hipError_tPvRmT0_T1_T2_T3_T4_T5_mmT6_P12ihipStream_tbEUlT_E_NS1_11comp_targetILNS1_3genE10ELNS1_11target_archE1200ELNS1_3gpuE4ELNS1_3repE0EEENS1_30default_config_static_selectorELNS0_4arch9wavefront6targetE0EEEvS11_.has_indirect_call, 0
	.section	.AMDGPU.csdata,"",@progbits
; Kernel info:
; codeLenInByte = 0
; TotalNumSgprs: 0
; NumVgprs: 0
; ScratchSize: 0
; MemoryBound: 0
; FloatMode: 240
; IeeeMode: 1
; LDSByteSize: 0 bytes/workgroup (compile time only)
; SGPRBlocks: 0
; VGPRBlocks: 0
; NumSGPRsForWavesPerEU: 1
; NumVGPRsForWavesPerEU: 1
; Occupancy: 16
; WaveLimiterHint : 0
; COMPUTE_PGM_RSRC2:SCRATCH_EN: 0
; COMPUTE_PGM_RSRC2:USER_SGPR: 6
; COMPUTE_PGM_RSRC2:TRAP_HANDLER: 0
; COMPUTE_PGM_RSRC2:TGID_X_EN: 1
; COMPUTE_PGM_RSRC2:TGID_Y_EN: 0
; COMPUTE_PGM_RSRC2:TGID_Z_EN: 0
; COMPUTE_PGM_RSRC2:TIDIG_COMP_CNT: 0
	.section	.text._ZN7rocprim17ROCPRIM_400000_NS6detail17trampoline_kernelINS0_14default_configENS1_21merge_config_selectorINS0_5tupleIJiiEEENS0_10empty_typeEEEZNS1_10merge_implIS3_NS0_12zip_iteratorINS5_IJN6thrust23THRUST_200600_302600_NS6detail15normal_iteratorINSC_10device_ptrIKiEEEESI_EEEEESK_NSA_INS5_IJNSC_16discard_iteratorINSC_11use_defaultEEESN_EEEEEPS7_SQ_SQ_NSC_11hip_rocprim7__merge17predicate_wrapperIiiNSC_4lessIiEEEEEE10hipError_tPvRmT0_T1_T2_T3_T4_T5_mmT6_P12ihipStream_tbEUlT_E_NS1_11comp_targetILNS1_3genE9ELNS1_11target_archE1100ELNS1_3gpuE3ELNS1_3repE0EEENS1_30default_config_static_selectorELNS0_4arch9wavefront6targetE0EEEvS11_,"axG",@progbits,_ZN7rocprim17ROCPRIM_400000_NS6detail17trampoline_kernelINS0_14default_configENS1_21merge_config_selectorINS0_5tupleIJiiEEENS0_10empty_typeEEEZNS1_10merge_implIS3_NS0_12zip_iteratorINS5_IJN6thrust23THRUST_200600_302600_NS6detail15normal_iteratorINSC_10device_ptrIKiEEEESI_EEEEESK_NSA_INS5_IJNSC_16discard_iteratorINSC_11use_defaultEEESN_EEEEEPS7_SQ_SQ_NSC_11hip_rocprim7__merge17predicate_wrapperIiiNSC_4lessIiEEEEEE10hipError_tPvRmT0_T1_T2_T3_T4_T5_mmT6_P12ihipStream_tbEUlT_E_NS1_11comp_targetILNS1_3genE9ELNS1_11target_archE1100ELNS1_3gpuE3ELNS1_3repE0EEENS1_30default_config_static_selectorELNS0_4arch9wavefront6targetE0EEEvS11_,comdat
	.protected	_ZN7rocprim17ROCPRIM_400000_NS6detail17trampoline_kernelINS0_14default_configENS1_21merge_config_selectorINS0_5tupleIJiiEEENS0_10empty_typeEEEZNS1_10merge_implIS3_NS0_12zip_iteratorINS5_IJN6thrust23THRUST_200600_302600_NS6detail15normal_iteratorINSC_10device_ptrIKiEEEESI_EEEEESK_NSA_INS5_IJNSC_16discard_iteratorINSC_11use_defaultEEESN_EEEEEPS7_SQ_SQ_NSC_11hip_rocprim7__merge17predicate_wrapperIiiNSC_4lessIiEEEEEE10hipError_tPvRmT0_T1_T2_T3_T4_T5_mmT6_P12ihipStream_tbEUlT_E_NS1_11comp_targetILNS1_3genE9ELNS1_11target_archE1100ELNS1_3gpuE3ELNS1_3repE0EEENS1_30default_config_static_selectorELNS0_4arch9wavefront6targetE0EEEvS11_ ; -- Begin function _ZN7rocprim17ROCPRIM_400000_NS6detail17trampoline_kernelINS0_14default_configENS1_21merge_config_selectorINS0_5tupleIJiiEEENS0_10empty_typeEEEZNS1_10merge_implIS3_NS0_12zip_iteratorINS5_IJN6thrust23THRUST_200600_302600_NS6detail15normal_iteratorINSC_10device_ptrIKiEEEESI_EEEEESK_NSA_INS5_IJNSC_16discard_iteratorINSC_11use_defaultEEESN_EEEEEPS7_SQ_SQ_NSC_11hip_rocprim7__merge17predicate_wrapperIiiNSC_4lessIiEEEEEE10hipError_tPvRmT0_T1_T2_T3_T4_T5_mmT6_P12ihipStream_tbEUlT_E_NS1_11comp_targetILNS1_3genE9ELNS1_11target_archE1100ELNS1_3gpuE3ELNS1_3repE0EEENS1_30default_config_static_selectorELNS0_4arch9wavefront6targetE0EEEvS11_
	.globl	_ZN7rocprim17ROCPRIM_400000_NS6detail17trampoline_kernelINS0_14default_configENS1_21merge_config_selectorINS0_5tupleIJiiEEENS0_10empty_typeEEEZNS1_10merge_implIS3_NS0_12zip_iteratorINS5_IJN6thrust23THRUST_200600_302600_NS6detail15normal_iteratorINSC_10device_ptrIKiEEEESI_EEEEESK_NSA_INS5_IJNSC_16discard_iteratorINSC_11use_defaultEEESN_EEEEEPS7_SQ_SQ_NSC_11hip_rocprim7__merge17predicate_wrapperIiiNSC_4lessIiEEEEEE10hipError_tPvRmT0_T1_T2_T3_T4_T5_mmT6_P12ihipStream_tbEUlT_E_NS1_11comp_targetILNS1_3genE9ELNS1_11target_archE1100ELNS1_3gpuE3ELNS1_3repE0EEENS1_30default_config_static_selectorELNS0_4arch9wavefront6targetE0EEEvS11_
	.p2align	8
	.type	_ZN7rocprim17ROCPRIM_400000_NS6detail17trampoline_kernelINS0_14default_configENS1_21merge_config_selectorINS0_5tupleIJiiEEENS0_10empty_typeEEEZNS1_10merge_implIS3_NS0_12zip_iteratorINS5_IJN6thrust23THRUST_200600_302600_NS6detail15normal_iteratorINSC_10device_ptrIKiEEEESI_EEEEESK_NSA_INS5_IJNSC_16discard_iteratorINSC_11use_defaultEEESN_EEEEEPS7_SQ_SQ_NSC_11hip_rocprim7__merge17predicate_wrapperIiiNSC_4lessIiEEEEEE10hipError_tPvRmT0_T1_T2_T3_T4_T5_mmT6_P12ihipStream_tbEUlT_E_NS1_11comp_targetILNS1_3genE9ELNS1_11target_archE1100ELNS1_3gpuE3ELNS1_3repE0EEENS1_30default_config_static_selectorELNS0_4arch9wavefront6targetE0EEEvS11_,@function
_ZN7rocprim17ROCPRIM_400000_NS6detail17trampoline_kernelINS0_14default_configENS1_21merge_config_selectorINS0_5tupleIJiiEEENS0_10empty_typeEEEZNS1_10merge_implIS3_NS0_12zip_iteratorINS5_IJN6thrust23THRUST_200600_302600_NS6detail15normal_iteratorINSC_10device_ptrIKiEEEESI_EEEEESK_NSA_INS5_IJNSC_16discard_iteratorINSC_11use_defaultEEESN_EEEEEPS7_SQ_SQ_NSC_11hip_rocprim7__merge17predicate_wrapperIiiNSC_4lessIiEEEEEE10hipError_tPvRmT0_T1_T2_T3_T4_T5_mmT6_P12ihipStream_tbEUlT_E_NS1_11comp_targetILNS1_3genE9ELNS1_11target_archE1100ELNS1_3gpuE3ELNS1_3repE0EEENS1_30default_config_static_selectorELNS0_4arch9wavefront6targetE0EEEvS11_: ; @_ZN7rocprim17ROCPRIM_400000_NS6detail17trampoline_kernelINS0_14default_configENS1_21merge_config_selectorINS0_5tupleIJiiEEENS0_10empty_typeEEEZNS1_10merge_implIS3_NS0_12zip_iteratorINS5_IJN6thrust23THRUST_200600_302600_NS6detail15normal_iteratorINSC_10device_ptrIKiEEEESI_EEEEESK_NSA_INS5_IJNSC_16discard_iteratorINSC_11use_defaultEEESN_EEEEEPS7_SQ_SQ_NSC_11hip_rocprim7__merge17predicate_wrapperIiiNSC_4lessIiEEEEEE10hipError_tPvRmT0_T1_T2_T3_T4_T5_mmT6_P12ihipStream_tbEUlT_E_NS1_11comp_targetILNS1_3genE9ELNS1_11target_archE1100ELNS1_3gpuE3ELNS1_3repE0EEENS1_30default_config_static_selectorELNS0_4arch9wavefront6targetE0EEEvS11_
; %bb.0:
	.section	.rodata,"a",@progbits
	.p2align	6, 0x0
	.amdhsa_kernel _ZN7rocprim17ROCPRIM_400000_NS6detail17trampoline_kernelINS0_14default_configENS1_21merge_config_selectorINS0_5tupleIJiiEEENS0_10empty_typeEEEZNS1_10merge_implIS3_NS0_12zip_iteratorINS5_IJN6thrust23THRUST_200600_302600_NS6detail15normal_iteratorINSC_10device_ptrIKiEEEESI_EEEEESK_NSA_INS5_IJNSC_16discard_iteratorINSC_11use_defaultEEESN_EEEEEPS7_SQ_SQ_NSC_11hip_rocprim7__merge17predicate_wrapperIiiNSC_4lessIiEEEEEE10hipError_tPvRmT0_T1_T2_T3_T4_T5_mmT6_P12ihipStream_tbEUlT_E_NS1_11comp_targetILNS1_3genE9ELNS1_11target_archE1100ELNS1_3gpuE3ELNS1_3repE0EEENS1_30default_config_static_selectorELNS0_4arch9wavefront6targetE0EEEvS11_
		.amdhsa_group_segment_fixed_size 0
		.amdhsa_private_segment_fixed_size 0
		.amdhsa_kernarg_size 64
		.amdhsa_user_sgpr_count 6
		.amdhsa_user_sgpr_private_segment_buffer 1
		.amdhsa_user_sgpr_dispatch_ptr 0
		.amdhsa_user_sgpr_queue_ptr 0
		.amdhsa_user_sgpr_kernarg_segment_ptr 1
		.amdhsa_user_sgpr_dispatch_id 0
		.amdhsa_user_sgpr_flat_scratch_init 0
		.amdhsa_user_sgpr_private_segment_size 0
		.amdhsa_wavefront_size32 1
		.amdhsa_uses_dynamic_stack 0
		.amdhsa_system_sgpr_private_segment_wavefront_offset 0
		.amdhsa_system_sgpr_workgroup_id_x 1
		.amdhsa_system_sgpr_workgroup_id_y 0
		.amdhsa_system_sgpr_workgroup_id_z 0
		.amdhsa_system_sgpr_workgroup_info 0
		.amdhsa_system_vgpr_workitem_id 0
		.amdhsa_next_free_vgpr 1
		.amdhsa_next_free_sgpr 1
		.amdhsa_reserve_vcc 0
		.amdhsa_reserve_flat_scratch 0
		.amdhsa_float_round_mode_32 0
		.amdhsa_float_round_mode_16_64 0
		.amdhsa_float_denorm_mode_32 3
		.amdhsa_float_denorm_mode_16_64 3
		.amdhsa_dx10_clamp 1
		.amdhsa_ieee_mode 1
		.amdhsa_fp16_overflow 0
		.amdhsa_workgroup_processor_mode 1
		.amdhsa_memory_ordered 1
		.amdhsa_forward_progress 1
		.amdhsa_shared_vgpr_count 0
		.amdhsa_exception_fp_ieee_invalid_op 0
		.amdhsa_exception_fp_denorm_src 0
		.amdhsa_exception_fp_ieee_div_zero 0
		.amdhsa_exception_fp_ieee_overflow 0
		.amdhsa_exception_fp_ieee_underflow 0
		.amdhsa_exception_fp_ieee_inexact 0
		.amdhsa_exception_int_div_zero 0
	.end_amdhsa_kernel
	.section	.text._ZN7rocprim17ROCPRIM_400000_NS6detail17trampoline_kernelINS0_14default_configENS1_21merge_config_selectorINS0_5tupleIJiiEEENS0_10empty_typeEEEZNS1_10merge_implIS3_NS0_12zip_iteratorINS5_IJN6thrust23THRUST_200600_302600_NS6detail15normal_iteratorINSC_10device_ptrIKiEEEESI_EEEEESK_NSA_INS5_IJNSC_16discard_iteratorINSC_11use_defaultEEESN_EEEEEPS7_SQ_SQ_NSC_11hip_rocprim7__merge17predicate_wrapperIiiNSC_4lessIiEEEEEE10hipError_tPvRmT0_T1_T2_T3_T4_T5_mmT6_P12ihipStream_tbEUlT_E_NS1_11comp_targetILNS1_3genE9ELNS1_11target_archE1100ELNS1_3gpuE3ELNS1_3repE0EEENS1_30default_config_static_selectorELNS0_4arch9wavefront6targetE0EEEvS11_,"axG",@progbits,_ZN7rocprim17ROCPRIM_400000_NS6detail17trampoline_kernelINS0_14default_configENS1_21merge_config_selectorINS0_5tupleIJiiEEENS0_10empty_typeEEEZNS1_10merge_implIS3_NS0_12zip_iteratorINS5_IJN6thrust23THRUST_200600_302600_NS6detail15normal_iteratorINSC_10device_ptrIKiEEEESI_EEEEESK_NSA_INS5_IJNSC_16discard_iteratorINSC_11use_defaultEEESN_EEEEEPS7_SQ_SQ_NSC_11hip_rocprim7__merge17predicate_wrapperIiiNSC_4lessIiEEEEEE10hipError_tPvRmT0_T1_T2_T3_T4_T5_mmT6_P12ihipStream_tbEUlT_E_NS1_11comp_targetILNS1_3genE9ELNS1_11target_archE1100ELNS1_3gpuE3ELNS1_3repE0EEENS1_30default_config_static_selectorELNS0_4arch9wavefront6targetE0EEEvS11_,comdat
.Lfunc_end594:
	.size	_ZN7rocprim17ROCPRIM_400000_NS6detail17trampoline_kernelINS0_14default_configENS1_21merge_config_selectorINS0_5tupleIJiiEEENS0_10empty_typeEEEZNS1_10merge_implIS3_NS0_12zip_iteratorINS5_IJN6thrust23THRUST_200600_302600_NS6detail15normal_iteratorINSC_10device_ptrIKiEEEESI_EEEEESK_NSA_INS5_IJNSC_16discard_iteratorINSC_11use_defaultEEESN_EEEEEPS7_SQ_SQ_NSC_11hip_rocprim7__merge17predicate_wrapperIiiNSC_4lessIiEEEEEE10hipError_tPvRmT0_T1_T2_T3_T4_T5_mmT6_P12ihipStream_tbEUlT_E_NS1_11comp_targetILNS1_3genE9ELNS1_11target_archE1100ELNS1_3gpuE3ELNS1_3repE0EEENS1_30default_config_static_selectorELNS0_4arch9wavefront6targetE0EEEvS11_, .Lfunc_end594-_ZN7rocprim17ROCPRIM_400000_NS6detail17trampoline_kernelINS0_14default_configENS1_21merge_config_selectorINS0_5tupleIJiiEEENS0_10empty_typeEEEZNS1_10merge_implIS3_NS0_12zip_iteratorINS5_IJN6thrust23THRUST_200600_302600_NS6detail15normal_iteratorINSC_10device_ptrIKiEEEESI_EEEEESK_NSA_INS5_IJNSC_16discard_iteratorINSC_11use_defaultEEESN_EEEEEPS7_SQ_SQ_NSC_11hip_rocprim7__merge17predicate_wrapperIiiNSC_4lessIiEEEEEE10hipError_tPvRmT0_T1_T2_T3_T4_T5_mmT6_P12ihipStream_tbEUlT_E_NS1_11comp_targetILNS1_3genE9ELNS1_11target_archE1100ELNS1_3gpuE3ELNS1_3repE0EEENS1_30default_config_static_selectorELNS0_4arch9wavefront6targetE0EEEvS11_
                                        ; -- End function
	.set _ZN7rocprim17ROCPRIM_400000_NS6detail17trampoline_kernelINS0_14default_configENS1_21merge_config_selectorINS0_5tupleIJiiEEENS0_10empty_typeEEEZNS1_10merge_implIS3_NS0_12zip_iteratorINS5_IJN6thrust23THRUST_200600_302600_NS6detail15normal_iteratorINSC_10device_ptrIKiEEEESI_EEEEESK_NSA_INS5_IJNSC_16discard_iteratorINSC_11use_defaultEEESN_EEEEEPS7_SQ_SQ_NSC_11hip_rocprim7__merge17predicate_wrapperIiiNSC_4lessIiEEEEEE10hipError_tPvRmT0_T1_T2_T3_T4_T5_mmT6_P12ihipStream_tbEUlT_E_NS1_11comp_targetILNS1_3genE9ELNS1_11target_archE1100ELNS1_3gpuE3ELNS1_3repE0EEENS1_30default_config_static_selectorELNS0_4arch9wavefront6targetE0EEEvS11_.num_vgpr, 0
	.set _ZN7rocprim17ROCPRIM_400000_NS6detail17trampoline_kernelINS0_14default_configENS1_21merge_config_selectorINS0_5tupleIJiiEEENS0_10empty_typeEEEZNS1_10merge_implIS3_NS0_12zip_iteratorINS5_IJN6thrust23THRUST_200600_302600_NS6detail15normal_iteratorINSC_10device_ptrIKiEEEESI_EEEEESK_NSA_INS5_IJNSC_16discard_iteratorINSC_11use_defaultEEESN_EEEEEPS7_SQ_SQ_NSC_11hip_rocprim7__merge17predicate_wrapperIiiNSC_4lessIiEEEEEE10hipError_tPvRmT0_T1_T2_T3_T4_T5_mmT6_P12ihipStream_tbEUlT_E_NS1_11comp_targetILNS1_3genE9ELNS1_11target_archE1100ELNS1_3gpuE3ELNS1_3repE0EEENS1_30default_config_static_selectorELNS0_4arch9wavefront6targetE0EEEvS11_.num_agpr, 0
	.set _ZN7rocprim17ROCPRIM_400000_NS6detail17trampoline_kernelINS0_14default_configENS1_21merge_config_selectorINS0_5tupleIJiiEEENS0_10empty_typeEEEZNS1_10merge_implIS3_NS0_12zip_iteratorINS5_IJN6thrust23THRUST_200600_302600_NS6detail15normal_iteratorINSC_10device_ptrIKiEEEESI_EEEEESK_NSA_INS5_IJNSC_16discard_iteratorINSC_11use_defaultEEESN_EEEEEPS7_SQ_SQ_NSC_11hip_rocprim7__merge17predicate_wrapperIiiNSC_4lessIiEEEEEE10hipError_tPvRmT0_T1_T2_T3_T4_T5_mmT6_P12ihipStream_tbEUlT_E_NS1_11comp_targetILNS1_3genE9ELNS1_11target_archE1100ELNS1_3gpuE3ELNS1_3repE0EEENS1_30default_config_static_selectorELNS0_4arch9wavefront6targetE0EEEvS11_.numbered_sgpr, 0
	.set _ZN7rocprim17ROCPRIM_400000_NS6detail17trampoline_kernelINS0_14default_configENS1_21merge_config_selectorINS0_5tupleIJiiEEENS0_10empty_typeEEEZNS1_10merge_implIS3_NS0_12zip_iteratorINS5_IJN6thrust23THRUST_200600_302600_NS6detail15normal_iteratorINSC_10device_ptrIKiEEEESI_EEEEESK_NSA_INS5_IJNSC_16discard_iteratorINSC_11use_defaultEEESN_EEEEEPS7_SQ_SQ_NSC_11hip_rocprim7__merge17predicate_wrapperIiiNSC_4lessIiEEEEEE10hipError_tPvRmT0_T1_T2_T3_T4_T5_mmT6_P12ihipStream_tbEUlT_E_NS1_11comp_targetILNS1_3genE9ELNS1_11target_archE1100ELNS1_3gpuE3ELNS1_3repE0EEENS1_30default_config_static_selectorELNS0_4arch9wavefront6targetE0EEEvS11_.num_named_barrier, 0
	.set _ZN7rocprim17ROCPRIM_400000_NS6detail17trampoline_kernelINS0_14default_configENS1_21merge_config_selectorINS0_5tupleIJiiEEENS0_10empty_typeEEEZNS1_10merge_implIS3_NS0_12zip_iteratorINS5_IJN6thrust23THRUST_200600_302600_NS6detail15normal_iteratorINSC_10device_ptrIKiEEEESI_EEEEESK_NSA_INS5_IJNSC_16discard_iteratorINSC_11use_defaultEEESN_EEEEEPS7_SQ_SQ_NSC_11hip_rocprim7__merge17predicate_wrapperIiiNSC_4lessIiEEEEEE10hipError_tPvRmT0_T1_T2_T3_T4_T5_mmT6_P12ihipStream_tbEUlT_E_NS1_11comp_targetILNS1_3genE9ELNS1_11target_archE1100ELNS1_3gpuE3ELNS1_3repE0EEENS1_30default_config_static_selectorELNS0_4arch9wavefront6targetE0EEEvS11_.private_seg_size, 0
	.set _ZN7rocprim17ROCPRIM_400000_NS6detail17trampoline_kernelINS0_14default_configENS1_21merge_config_selectorINS0_5tupleIJiiEEENS0_10empty_typeEEEZNS1_10merge_implIS3_NS0_12zip_iteratorINS5_IJN6thrust23THRUST_200600_302600_NS6detail15normal_iteratorINSC_10device_ptrIKiEEEESI_EEEEESK_NSA_INS5_IJNSC_16discard_iteratorINSC_11use_defaultEEESN_EEEEEPS7_SQ_SQ_NSC_11hip_rocprim7__merge17predicate_wrapperIiiNSC_4lessIiEEEEEE10hipError_tPvRmT0_T1_T2_T3_T4_T5_mmT6_P12ihipStream_tbEUlT_E_NS1_11comp_targetILNS1_3genE9ELNS1_11target_archE1100ELNS1_3gpuE3ELNS1_3repE0EEENS1_30default_config_static_selectorELNS0_4arch9wavefront6targetE0EEEvS11_.uses_vcc, 0
	.set _ZN7rocprim17ROCPRIM_400000_NS6detail17trampoline_kernelINS0_14default_configENS1_21merge_config_selectorINS0_5tupleIJiiEEENS0_10empty_typeEEEZNS1_10merge_implIS3_NS0_12zip_iteratorINS5_IJN6thrust23THRUST_200600_302600_NS6detail15normal_iteratorINSC_10device_ptrIKiEEEESI_EEEEESK_NSA_INS5_IJNSC_16discard_iteratorINSC_11use_defaultEEESN_EEEEEPS7_SQ_SQ_NSC_11hip_rocprim7__merge17predicate_wrapperIiiNSC_4lessIiEEEEEE10hipError_tPvRmT0_T1_T2_T3_T4_T5_mmT6_P12ihipStream_tbEUlT_E_NS1_11comp_targetILNS1_3genE9ELNS1_11target_archE1100ELNS1_3gpuE3ELNS1_3repE0EEENS1_30default_config_static_selectorELNS0_4arch9wavefront6targetE0EEEvS11_.uses_flat_scratch, 0
	.set _ZN7rocprim17ROCPRIM_400000_NS6detail17trampoline_kernelINS0_14default_configENS1_21merge_config_selectorINS0_5tupleIJiiEEENS0_10empty_typeEEEZNS1_10merge_implIS3_NS0_12zip_iteratorINS5_IJN6thrust23THRUST_200600_302600_NS6detail15normal_iteratorINSC_10device_ptrIKiEEEESI_EEEEESK_NSA_INS5_IJNSC_16discard_iteratorINSC_11use_defaultEEESN_EEEEEPS7_SQ_SQ_NSC_11hip_rocprim7__merge17predicate_wrapperIiiNSC_4lessIiEEEEEE10hipError_tPvRmT0_T1_T2_T3_T4_T5_mmT6_P12ihipStream_tbEUlT_E_NS1_11comp_targetILNS1_3genE9ELNS1_11target_archE1100ELNS1_3gpuE3ELNS1_3repE0EEENS1_30default_config_static_selectorELNS0_4arch9wavefront6targetE0EEEvS11_.has_dyn_sized_stack, 0
	.set _ZN7rocprim17ROCPRIM_400000_NS6detail17trampoline_kernelINS0_14default_configENS1_21merge_config_selectorINS0_5tupleIJiiEEENS0_10empty_typeEEEZNS1_10merge_implIS3_NS0_12zip_iteratorINS5_IJN6thrust23THRUST_200600_302600_NS6detail15normal_iteratorINSC_10device_ptrIKiEEEESI_EEEEESK_NSA_INS5_IJNSC_16discard_iteratorINSC_11use_defaultEEESN_EEEEEPS7_SQ_SQ_NSC_11hip_rocprim7__merge17predicate_wrapperIiiNSC_4lessIiEEEEEE10hipError_tPvRmT0_T1_T2_T3_T4_T5_mmT6_P12ihipStream_tbEUlT_E_NS1_11comp_targetILNS1_3genE9ELNS1_11target_archE1100ELNS1_3gpuE3ELNS1_3repE0EEENS1_30default_config_static_selectorELNS0_4arch9wavefront6targetE0EEEvS11_.has_recursion, 0
	.set _ZN7rocprim17ROCPRIM_400000_NS6detail17trampoline_kernelINS0_14default_configENS1_21merge_config_selectorINS0_5tupleIJiiEEENS0_10empty_typeEEEZNS1_10merge_implIS3_NS0_12zip_iteratorINS5_IJN6thrust23THRUST_200600_302600_NS6detail15normal_iteratorINSC_10device_ptrIKiEEEESI_EEEEESK_NSA_INS5_IJNSC_16discard_iteratorINSC_11use_defaultEEESN_EEEEEPS7_SQ_SQ_NSC_11hip_rocprim7__merge17predicate_wrapperIiiNSC_4lessIiEEEEEE10hipError_tPvRmT0_T1_T2_T3_T4_T5_mmT6_P12ihipStream_tbEUlT_E_NS1_11comp_targetILNS1_3genE9ELNS1_11target_archE1100ELNS1_3gpuE3ELNS1_3repE0EEENS1_30default_config_static_selectorELNS0_4arch9wavefront6targetE0EEEvS11_.has_indirect_call, 0
	.section	.AMDGPU.csdata,"",@progbits
; Kernel info:
; codeLenInByte = 0
; TotalNumSgprs: 0
; NumVgprs: 0
; ScratchSize: 0
; MemoryBound: 0
; FloatMode: 240
; IeeeMode: 1
; LDSByteSize: 0 bytes/workgroup (compile time only)
; SGPRBlocks: 0
; VGPRBlocks: 0
; NumSGPRsForWavesPerEU: 1
; NumVGPRsForWavesPerEU: 1
; Occupancy: 16
; WaveLimiterHint : 0
; COMPUTE_PGM_RSRC2:SCRATCH_EN: 0
; COMPUTE_PGM_RSRC2:USER_SGPR: 6
; COMPUTE_PGM_RSRC2:TRAP_HANDLER: 0
; COMPUTE_PGM_RSRC2:TGID_X_EN: 1
; COMPUTE_PGM_RSRC2:TGID_Y_EN: 0
; COMPUTE_PGM_RSRC2:TGID_Z_EN: 0
; COMPUTE_PGM_RSRC2:TIDIG_COMP_CNT: 0
	.section	.text._ZN7rocprim17ROCPRIM_400000_NS6detail17trampoline_kernelINS0_14default_configENS1_21merge_config_selectorINS0_5tupleIJiiEEENS0_10empty_typeEEEZNS1_10merge_implIS3_NS0_12zip_iteratorINS5_IJN6thrust23THRUST_200600_302600_NS6detail15normal_iteratorINSC_10device_ptrIKiEEEESI_EEEEESK_NSA_INS5_IJNSC_16discard_iteratorINSC_11use_defaultEEESN_EEEEEPS7_SQ_SQ_NSC_11hip_rocprim7__merge17predicate_wrapperIiiNSC_4lessIiEEEEEE10hipError_tPvRmT0_T1_T2_T3_T4_T5_mmT6_P12ihipStream_tbEUlT_E_NS1_11comp_targetILNS1_3genE8ELNS1_11target_archE1030ELNS1_3gpuE2ELNS1_3repE0EEENS1_30default_config_static_selectorELNS0_4arch9wavefront6targetE0EEEvS11_,"axG",@progbits,_ZN7rocprim17ROCPRIM_400000_NS6detail17trampoline_kernelINS0_14default_configENS1_21merge_config_selectorINS0_5tupleIJiiEEENS0_10empty_typeEEEZNS1_10merge_implIS3_NS0_12zip_iteratorINS5_IJN6thrust23THRUST_200600_302600_NS6detail15normal_iteratorINSC_10device_ptrIKiEEEESI_EEEEESK_NSA_INS5_IJNSC_16discard_iteratorINSC_11use_defaultEEESN_EEEEEPS7_SQ_SQ_NSC_11hip_rocprim7__merge17predicate_wrapperIiiNSC_4lessIiEEEEEE10hipError_tPvRmT0_T1_T2_T3_T4_T5_mmT6_P12ihipStream_tbEUlT_E_NS1_11comp_targetILNS1_3genE8ELNS1_11target_archE1030ELNS1_3gpuE2ELNS1_3repE0EEENS1_30default_config_static_selectorELNS0_4arch9wavefront6targetE0EEEvS11_,comdat
	.protected	_ZN7rocprim17ROCPRIM_400000_NS6detail17trampoline_kernelINS0_14default_configENS1_21merge_config_selectorINS0_5tupleIJiiEEENS0_10empty_typeEEEZNS1_10merge_implIS3_NS0_12zip_iteratorINS5_IJN6thrust23THRUST_200600_302600_NS6detail15normal_iteratorINSC_10device_ptrIKiEEEESI_EEEEESK_NSA_INS5_IJNSC_16discard_iteratorINSC_11use_defaultEEESN_EEEEEPS7_SQ_SQ_NSC_11hip_rocprim7__merge17predicate_wrapperIiiNSC_4lessIiEEEEEE10hipError_tPvRmT0_T1_T2_T3_T4_T5_mmT6_P12ihipStream_tbEUlT_E_NS1_11comp_targetILNS1_3genE8ELNS1_11target_archE1030ELNS1_3gpuE2ELNS1_3repE0EEENS1_30default_config_static_selectorELNS0_4arch9wavefront6targetE0EEEvS11_ ; -- Begin function _ZN7rocprim17ROCPRIM_400000_NS6detail17trampoline_kernelINS0_14default_configENS1_21merge_config_selectorINS0_5tupleIJiiEEENS0_10empty_typeEEEZNS1_10merge_implIS3_NS0_12zip_iteratorINS5_IJN6thrust23THRUST_200600_302600_NS6detail15normal_iteratorINSC_10device_ptrIKiEEEESI_EEEEESK_NSA_INS5_IJNSC_16discard_iteratorINSC_11use_defaultEEESN_EEEEEPS7_SQ_SQ_NSC_11hip_rocprim7__merge17predicate_wrapperIiiNSC_4lessIiEEEEEE10hipError_tPvRmT0_T1_T2_T3_T4_T5_mmT6_P12ihipStream_tbEUlT_E_NS1_11comp_targetILNS1_3genE8ELNS1_11target_archE1030ELNS1_3gpuE2ELNS1_3repE0EEENS1_30default_config_static_selectorELNS0_4arch9wavefront6targetE0EEEvS11_
	.globl	_ZN7rocprim17ROCPRIM_400000_NS6detail17trampoline_kernelINS0_14default_configENS1_21merge_config_selectorINS0_5tupleIJiiEEENS0_10empty_typeEEEZNS1_10merge_implIS3_NS0_12zip_iteratorINS5_IJN6thrust23THRUST_200600_302600_NS6detail15normal_iteratorINSC_10device_ptrIKiEEEESI_EEEEESK_NSA_INS5_IJNSC_16discard_iteratorINSC_11use_defaultEEESN_EEEEEPS7_SQ_SQ_NSC_11hip_rocprim7__merge17predicate_wrapperIiiNSC_4lessIiEEEEEE10hipError_tPvRmT0_T1_T2_T3_T4_T5_mmT6_P12ihipStream_tbEUlT_E_NS1_11comp_targetILNS1_3genE8ELNS1_11target_archE1030ELNS1_3gpuE2ELNS1_3repE0EEENS1_30default_config_static_selectorELNS0_4arch9wavefront6targetE0EEEvS11_
	.p2align	8
	.type	_ZN7rocprim17ROCPRIM_400000_NS6detail17trampoline_kernelINS0_14default_configENS1_21merge_config_selectorINS0_5tupleIJiiEEENS0_10empty_typeEEEZNS1_10merge_implIS3_NS0_12zip_iteratorINS5_IJN6thrust23THRUST_200600_302600_NS6detail15normal_iteratorINSC_10device_ptrIKiEEEESI_EEEEESK_NSA_INS5_IJNSC_16discard_iteratorINSC_11use_defaultEEESN_EEEEEPS7_SQ_SQ_NSC_11hip_rocprim7__merge17predicate_wrapperIiiNSC_4lessIiEEEEEE10hipError_tPvRmT0_T1_T2_T3_T4_T5_mmT6_P12ihipStream_tbEUlT_E_NS1_11comp_targetILNS1_3genE8ELNS1_11target_archE1030ELNS1_3gpuE2ELNS1_3repE0EEENS1_30default_config_static_selectorELNS0_4arch9wavefront6targetE0EEEvS11_,@function
_ZN7rocprim17ROCPRIM_400000_NS6detail17trampoline_kernelINS0_14default_configENS1_21merge_config_selectorINS0_5tupleIJiiEEENS0_10empty_typeEEEZNS1_10merge_implIS3_NS0_12zip_iteratorINS5_IJN6thrust23THRUST_200600_302600_NS6detail15normal_iteratorINSC_10device_ptrIKiEEEESI_EEEEESK_NSA_INS5_IJNSC_16discard_iteratorINSC_11use_defaultEEESN_EEEEEPS7_SQ_SQ_NSC_11hip_rocprim7__merge17predicate_wrapperIiiNSC_4lessIiEEEEEE10hipError_tPvRmT0_T1_T2_T3_T4_T5_mmT6_P12ihipStream_tbEUlT_E_NS1_11comp_targetILNS1_3genE8ELNS1_11target_archE1030ELNS1_3gpuE2ELNS1_3repE0EEENS1_30default_config_static_selectorELNS0_4arch9wavefront6targetE0EEEvS11_: ; @_ZN7rocprim17ROCPRIM_400000_NS6detail17trampoline_kernelINS0_14default_configENS1_21merge_config_selectorINS0_5tupleIJiiEEENS0_10empty_typeEEEZNS1_10merge_implIS3_NS0_12zip_iteratorINS5_IJN6thrust23THRUST_200600_302600_NS6detail15normal_iteratorINSC_10device_ptrIKiEEEESI_EEEEESK_NSA_INS5_IJNSC_16discard_iteratorINSC_11use_defaultEEESN_EEEEEPS7_SQ_SQ_NSC_11hip_rocprim7__merge17predicate_wrapperIiiNSC_4lessIiEEEEEE10hipError_tPvRmT0_T1_T2_T3_T4_T5_mmT6_P12ihipStream_tbEUlT_E_NS1_11comp_targetILNS1_3genE8ELNS1_11target_archE1030ELNS1_3gpuE2ELNS1_3repE0EEENS1_30default_config_static_selectorELNS0_4arch9wavefront6targetE0EEEvS11_
; %bb.0:
	s_clause 0x2
	s_load_dword s2, s[4:5], 0x38
	s_load_dword s0, s[4:5], 0x4c
	s_load_dwordx4 s[12:15], s[4:5], 0x28
	s_waitcnt lgkmcnt(0)
	v_cvt_f32_u32_e32 v1, s2
	s_and_b32 s3, s0, 0xffff
	s_add_u32 s0, s14, s12
	s_addc_u32 s1, s15, s13
	s_sub_i32 s8, 0, s2
	v_rcp_iflag_f32_e32 v1, v1
	s_add_i32 s9, s2, s0
	s_add_i32 s9, s9, -1
	v_mul_f32_e32 v1, 0x4f7ffffe, v1
	v_cvt_u32_f32_e32 v1, v1
	v_readfirstlane_b32 s7, v1
	v_mad_u64_u32 v[0:1], null, s6, s3, v[0:1]
	s_mul_i32 s8, s8, s7
	s_mul_hi_u32 s8, s7, s8
	s_add_i32 s7, s7, s8
	s_mul_hi_u32 s7, s9, s7
	s_mul_i32 s8, s7, s2
	s_sub_i32 s8, s9, s8
	s_add_i32 s9, s7, 1
	s_sub_i32 s10, s8, s2
	s_cmp_ge_u32 s8, s2
	s_cselect_b32 s3, s9, s7
	s_cselect_b32 s6, s10, s8
	s_add_i32 s7, s3, 1
	s_cmp_ge_u32 s6, s2
	s_cselect_b32 s3, s7, s3
	v_cmp_ge_u32_e32 vcc_lo, s3, v0
	s_and_saveexec_b32 s3, vcc_lo
	s_cbranch_execz .LBB595_6
; %bb.1:
	v_mul_lo_u32 v1, v0, s2
	v_mov_b32_e32 v2, 0
	s_load_dwordx4 s[8:11], s[4:5], 0x0
	v_cmp_gt_u64_e32 vcc_lo, s[0:1], v[1:2]
	v_cndmask_b32_e32 v6, s0, v1, vcc_lo
	v_cndmask_b32_e64 v7, s1, 0, vcc_lo
	v_sub_co_u32 v1, vcc_lo, v6, s14
	v_subrev_co_ci_u32_e64 v2, null, s15, v7, vcc_lo
	v_cmp_gt_u64_e64 s0, s[12:13], v[6:7]
	v_cmp_gt_u64_e32 vcc_lo, v[1:2], v[6:7]
	v_cndmask_b32_e64 v5, s13, v7, s0
	v_cndmask_b32_e64 v4, s12, v6, s0
	s_mov_b32 s0, exec_lo
	v_cndmask_b32_e64 v3, v2, 0, vcc_lo
	v_cndmask_b32_e64 v2, v1, 0, vcc_lo
	v_cmpx_lt_u64_e64 v[2:3], v[4:5]
	s_cbranch_execz .LBB595_5
; %bb.2:
	s_load_dwordx2 s[2:3], s[4:5], 0x18
	v_lshlrev_b64 v[6:7], 2, v[6:7]
	s_mov_b32 s1, 0
	s_waitcnt lgkmcnt(0)
	v_add_co_u32 v1, vcc_lo, s2, v6
	v_add_co_ci_u32_e64 v6, null, s3, v7, vcc_lo
	s_inst_prefetch 0x1
	.p2align	6
.LBB595_3:                              ; =>This Inner Loop Header: Depth=1
	v_add_co_u32 v7, vcc_lo, v4, v2
	v_add_co_ci_u32_e64 v8, null, v5, v3, vcc_lo
	v_lshrrev_b64 v[7:8], 1, v[7:8]
	v_lshlrev_b64 v[9:10], 2, v[7:8]
	v_xor_b32_e32 v11, -4, v9
	v_xor_b32_e32 v12, -1, v10
	v_add_co_u32 v9, vcc_lo, s10, v9
	v_add_co_ci_u32_e64 v10, null, s11, v10, vcc_lo
	v_add_co_u32 v11, vcc_lo, v1, v11
	v_add_co_ci_u32_e64 v12, null, v6, v12, vcc_lo
	global_load_dword v9, v[9:10], off
	global_load_dword v10, v[11:12], off
	v_add_co_u32 v11, vcc_lo, v7, 1
	v_add_co_ci_u32_e64 v12, null, 0, v8, vcc_lo
	s_waitcnt vmcnt(0)
	v_cmp_lt_i32_e32 vcc_lo, v10, v9
	v_cndmask_b32_e32 v5, v5, v8, vcc_lo
	v_cndmask_b32_e32 v4, v4, v7, vcc_lo
	;; [unrolled: 1-line block ×4, first 2 shown]
	v_cmp_ge_u64_e32 vcc_lo, v[2:3], v[4:5]
	s_or_b32 s1, vcc_lo, s1
	s_andn2_b32 exec_lo, exec_lo, s1
	s_cbranch_execnz .LBB595_3
; %bb.4:
	s_inst_prefetch 0x2
	s_or_b32 exec_lo, exec_lo, s1
.LBB595_5:
	s_or_b32 exec_lo, exec_lo, s0
	v_mov_b32_e32 v1, 0
	v_lshlrev_b64 v[0:1], 2, v[0:1]
	s_waitcnt lgkmcnt(0)
	v_add_co_u32 v0, vcc_lo, s8, v0
	v_add_co_ci_u32_e64 v1, null, s9, v1, vcc_lo
	global_store_dword v[0:1], v2, off
.LBB595_6:
	s_endpgm
	.section	.rodata,"a",@progbits
	.p2align	6, 0x0
	.amdhsa_kernel _ZN7rocprim17ROCPRIM_400000_NS6detail17trampoline_kernelINS0_14default_configENS1_21merge_config_selectorINS0_5tupleIJiiEEENS0_10empty_typeEEEZNS1_10merge_implIS3_NS0_12zip_iteratorINS5_IJN6thrust23THRUST_200600_302600_NS6detail15normal_iteratorINSC_10device_ptrIKiEEEESI_EEEEESK_NSA_INS5_IJNSC_16discard_iteratorINSC_11use_defaultEEESN_EEEEEPS7_SQ_SQ_NSC_11hip_rocprim7__merge17predicate_wrapperIiiNSC_4lessIiEEEEEE10hipError_tPvRmT0_T1_T2_T3_T4_T5_mmT6_P12ihipStream_tbEUlT_E_NS1_11comp_targetILNS1_3genE8ELNS1_11target_archE1030ELNS1_3gpuE2ELNS1_3repE0EEENS1_30default_config_static_selectorELNS0_4arch9wavefront6targetE0EEEvS11_
		.amdhsa_group_segment_fixed_size 0
		.amdhsa_private_segment_fixed_size 0
		.amdhsa_kernarg_size 320
		.amdhsa_user_sgpr_count 6
		.amdhsa_user_sgpr_private_segment_buffer 1
		.amdhsa_user_sgpr_dispatch_ptr 0
		.amdhsa_user_sgpr_queue_ptr 0
		.amdhsa_user_sgpr_kernarg_segment_ptr 1
		.amdhsa_user_sgpr_dispatch_id 0
		.amdhsa_user_sgpr_flat_scratch_init 0
		.amdhsa_user_sgpr_private_segment_size 0
		.amdhsa_wavefront_size32 1
		.amdhsa_uses_dynamic_stack 0
		.amdhsa_system_sgpr_private_segment_wavefront_offset 0
		.amdhsa_system_sgpr_workgroup_id_x 1
		.amdhsa_system_sgpr_workgroup_id_y 0
		.amdhsa_system_sgpr_workgroup_id_z 0
		.amdhsa_system_sgpr_workgroup_info 0
		.amdhsa_system_vgpr_workitem_id 0
		.amdhsa_next_free_vgpr 13
		.amdhsa_next_free_sgpr 16
		.amdhsa_reserve_vcc 1
		.amdhsa_reserve_flat_scratch 0
		.amdhsa_float_round_mode_32 0
		.amdhsa_float_round_mode_16_64 0
		.amdhsa_float_denorm_mode_32 3
		.amdhsa_float_denorm_mode_16_64 3
		.amdhsa_dx10_clamp 1
		.amdhsa_ieee_mode 1
		.amdhsa_fp16_overflow 0
		.amdhsa_workgroup_processor_mode 1
		.amdhsa_memory_ordered 1
		.amdhsa_forward_progress 1
		.amdhsa_shared_vgpr_count 0
		.amdhsa_exception_fp_ieee_invalid_op 0
		.amdhsa_exception_fp_denorm_src 0
		.amdhsa_exception_fp_ieee_div_zero 0
		.amdhsa_exception_fp_ieee_overflow 0
		.amdhsa_exception_fp_ieee_underflow 0
		.amdhsa_exception_fp_ieee_inexact 0
		.amdhsa_exception_int_div_zero 0
	.end_amdhsa_kernel
	.section	.text._ZN7rocprim17ROCPRIM_400000_NS6detail17trampoline_kernelINS0_14default_configENS1_21merge_config_selectorINS0_5tupleIJiiEEENS0_10empty_typeEEEZNS1_10merge_implIS3_NS0_12zip_iteratorINS5_IJN6thrust23THRUST_200600_302600_NS6detail15normal_iteratorINSC_10device_ptrIKiEEEESI_EEEEESK_NSA_INS5_IJNSC_16discard_iteratorINSC_11use_defaultEEESN_EEEEEPS7_SQ_SQ_NSC_11hip_rocprim7__merge17predicate_wrapperIiiNSC_4lessIiEEEEEE10hipError_tPvRmT0_T1_T2_T3_T4_T5_mmT6_P12ihipStream_tbEUlT_E_NS1_11comp_targetILNS1_3genE8ELNS1_11target_archE1030ELNS1_3gpuE2ELNS1_3repE0EEENS1_30default_config_static_selectorELNS0_4arch9wavefront6targetE0EEEvS11_,"axG",@progbits,_ZN7rocprim17ROCPRIM_400000_NS6detail17trampoline_kernelINS0_14default_configENS1_21merge_config_selectorINS0_5tupleIJiiEEENS0_10empty_typeEEEZNS1_10merge_implIS3_NS0_12zip_iteratorINS5_IJN6thrust23THRUST_200600_302600_NS6detail15normal_iteratorINSC_10device_ptrIKiEEEESI_EEEEESK_NSA_INS5_IJNSC_16discard_iteratorINSC_11use_defaultEEESN_EEEEEPS7_SQ_SQ_NSC_11hip_rocprim7__merge17predicate_wrapperIiiNSC_4lessIiEEEEEE10hipError_tPvRmT0_T1_T2_T3_T4_T5_mmT6_P12ihipStream_tbEUlT_E_NS1_11comp_targetILNS1_3genE8ELNS1_11target_archE1030ELNS1_3gpuE2ELNS1_3repE0EEENS1_30default_config_static_selectorELNS0_4arch9wavefront6targetE0EEEvS11_,comdat
.Lfunc_end595:
	.size	_ZN7rocprim17ROCPRIM_400000_NS6detail17trampoline_kernelINS0_14default_configENS1_21merge_config_selectorINS0_5tupleIJiiEEENS0_10empty_typeEEEZNS1_10merge_implIS3_NS0_12zip_iteratorINS5_IJN6thrust23THRUST_200600_302600_NS6detail15normal_iteratorINSC_10device_ptrIKiEEEESI_EEEEESK_NSA_INS5_IJNSC_16discard_iteratorINSC_11use_defaultEEESN_EEEEEPS7_SQ_SQ_NSC_11hip_rocprim7__merge17predicate_wrapperIiiNSC_4lessIiEEEEEE10hipError_tPvRmT0_T1_T2_T3_T4_T5_mmT6_P12ihipStream_tbEUlT_E_NS1_11comp_targetILNS1_3genE8ELNS1_11target_archE1030ELNS1_3gpuE2ELNS1_3repE0EEENS1_30default_config_static_selectorELNS0_4arch9wavefront6targetE0EEEvS11_, .Lfunc_end595-_ZN7rocprim17ROCPRIM_400000_NS6detail17trampoline_kernelINS0_14default_configENS1_21merge_config_selectorINS0_5tupleIJiiEEENS0_10empty_typeEEEZNS1_10merge_implIS3_NS0_12zip_iteratorINS5_IJN6thrust23THRUST_200600_302600_NS6detail15normal_iteratorINSC_10device_ptrIKiEEEESI_EEEEESK_NSA_INS5_IJNSC_16discard_iteratorINSC_11use_defaultEEESN_EEEEEPS7_SQ_SQ_NSC_11hip_rocprim7__merge17predicate_wrapperIiiNSC_4lessIiEEEEEE10hipError_tPvRmT0_T1_T2_T3_T4_T5_mmT6_P12ihipStream_tbEUlT_E_NS1_11comp_targetILNS1_3genE8ELNS1_11target_archE1030ELNS1_3gpuE2ELNS1_3repE0EEENS1_30default_config_static_selectorELNS0_4arch9wavefront6targetE0EEEvS11_
                                        ; -- End function
	.set _ZN7rocprim17ROCPRIM_400000_NS6detail17trampoline_kernelINS0_14default_configENS1_21merge_config_selectorINS0_5tupleIJiiEEENS0_10empty_typeEEEZNS1_10merge_implIS3_NS0_12zip_iteratorINS5_IJN6thrust23THRUST_200600_302600_NS6detail15normal_iteratorINSC_10device_ptrIKiEEEESI_EEEEESK_NSA_INS5_IJNSC_16discard_iteratorINSC_11use_defaultEEESN_EEEEEPS7_SQ_SQ_NSC_11hip_rocprim7__merge17predicate_wrapperIiiNSC_4lessIiEEEEEE10hipError_tPvRmT0_T1_T2_T3_T4_T5_mmT6_P12ihipStream_tbEUlT_E_NS1_11comp_targetILNS1_3genE8ELNS1_11target_archE1030ELNS1_3gpuE2ELNS1_3repE0EEENS1_30default_config_static_selectorELNS0_4arch9wavefront6targetE0EEEvS11_.num_vgpr, 13
	.set _ZN7rocprim17ROCPRIM_400000_NS6detail17trampoline_kernelINS0_14default_configENS1_21merge_config_selectorINS0_5tupleIJiiEEENS0_10empty_typeEEEZNS1_10merge_implIS3_NS0_12zip_iteratorINS5_IJN6thrust23THRUST_200600_302600_NS6detail15normal_iteratorINSC_10device_ptrIKiEEEESI_EEEEESK_NSA_INS5_IJNSC_16discard_iteratorINSC_11use_defaultEEESN_EEEEEPS7_SQ_SQ_NSC_11hip_rocprim7__merge17predicate_wrapperIiiNSC_4lessIiEEEEEE10hipError_tPvRmT0_T1_T2_T3_T4_T5_mmT6_P12ihipStream_tbEUlT_E_NS1_11comp_targetILNS1_3genE8ELNS1_11target_archE1030ELNS1_3gpuE2ELNS1_3repE0EEENS1_30default_config_static_selectorELNS0_4arch9wavefront6targetE0EEEvS11_.num_agpr, 0
	.set _ZN7rocprim17ROCPRIM_400000_NS6detail17trampoline_kernelINS0_14default_configENS1_21merge_config_selectorINS0_5tupleIJiiEEENS0_10empty_typeEEEZNS1_10merge_implIS3_NS0_12zip_iteratorINS5_IJN6thrust23THRUST_200600_302600_NS6detail15normal_iteratorINSC_10device_ptrIKiEEEESI_EEEEESK_NSA_INS5_IJNSC_16discard_iteratorINSC_11use_defaultEEESN_EEEEEPS7_SQ_SQ_NSC_11hip_rocprim7__merge17predicate_wrapperIiiNSC_4lessIiEEEEEE10hipError_tPvRmT0_T1_T2_T3_T4_T5_mmT6_P12ihipStream_tbEUlT_E_NS1_11comp_targetILNS1_3genE8ELNS1_11target_archE1030ELNS1_3gpuE2ELNS1_3repE0EEENS1_30default_config_static_selectorELNS0_4arch9wavefront6targetE0EEEvS11_.numbered_sgpr, 16
	.set _ZN7rocprim17ROCPRIM_400000_NS6detail17trampoline_kernelINS0_14default_configENS1_21merge_config_selectorINS0_5tupleIJiiEEENS0_10empty_typeEEEZNS1_10merge_implIS3_NS0_12zip_iteratorINS5_IJN6thrust23THRUST_200600_302600_NS6detail15normal_iteratorINSC_10device_ptrIKiEEEESI_EEEEESK_NSA_INS5_IJNSC_16discard_iteratorINSC_11use_defaultEEESN_EEEEEPS7_SQ_SQ_NSC_11hip_rocprim7__merge17predicate_wrapperIiiNSC_4lessIiEEEEEE10hipError_tPvRmT0_T1_T2_T3_T4_T5_mmT6_P12ihipStream_tbEUlT_E_NS1_11comp_targetILNS1_3genE8ELNS1_11target_archE1030ELNS1_3gpuE2ELNS1_3repE0EEENS1_30default_config_static_selectorELNS0_4arch9wavefront6targetE0EEEvS11_.num_named_barrier, 0
	.set _ZN7rocprim17ROCPRIM_400000_NS6detail17trampoline_kernelINS0_14default_configENS1_21merge_config_selectorINS0_5tupleIJiiEEENS0_10empty_typeEEEZNS1_10merge_implIS3_NS0_12zip_iteratorINS5_IJN6thrust23THRUST_200600_302600_NS6detail15normal_iteratorINSC_10device_ptrIKiEEEESI_EEEEESK_NSA_INS5_IJNSC_16discard_iteratorINSC_11use_defaultEEESN_EEEEEPS7_SQ_SQ_NSC_11hip_rocprim7__merge17predicate_wrapperIiiNSC_4lessIiEEEEEE10hipError_tPvRmT0_T1_T2_T3_T4_T5_mmT6_P12ihipStream_tbEUlT_E_NS1_11comp_targetILNS1_3genE8ELNS1_11target_archE1030ELNS1_3gpuE2ELNS1_3repE0EEENS1_30default_config_static_selectorELNS0_4arch9wavefront6targetE0EEEvS11_.private_seg_size, 0
	.set _ZN7rocprim17ROCPRIM_400000_NS6detail17trampoline_kernelINS0_14default_configENS1_21merge_config_selectorINS0_5tupleIJiiEEENS0_10empty_typeEEEZNS1_10merge_implIS3_NS0_12zip_iteratorINS5_IJN6thrust23THRUST_200600_302600_NS6detail15normal_iteratorINSC_10device_ptrIKiEEEESI_EEEEESK_NSA_INS5_IJNSC_16discard_iteratorINSC_11use_defaultEEESN_EEEEEPS7_SQ_SQ_NSC_11hip_rocprim7__merge17predicate_wrapperIiiNSC_4lessIiEEEEEE10hipError_tPvRmT0_T1_T2_T3_T4_T5_mmT6_P12ihipStream_tbEUlT_E_NS1_11comp_targetILNS1_3genE8ELNS1_11target_archE1030ELNS1_3gpuE2ELNS1_3repE0EEENS1_30default_config_static_selectorELNS0_4arch9wavefront6targetE0EEEvS11_.uses_vcc, 1
	.set _ZN7rocprim17ROCPRIM_400000_NS6detail17trampoline_kernelINS0_14default_configENS1_21merge_config_selectorINS0_5tupleIJiiEEENS0_10empty_typeEEEZNS1_10merge_implIS3_NS0_12zip_iteratorINS5_IJN6thrust23THRUST_200600_302600_NS6detail15normal_iteratorINSC_10device_ptrIKiEEEESI_EEEEESK_NSA_INS5_IJNSC_16discard_iteratorINSC_11use_defaultEEESN_EEEEEPS7_SQ_SQ_NSC_11hip_rocprim7__merge17predicate_wrapperIiiNSC_4lessIiEEEEEE10hipError_tPvRmT0_T1_T2_T3_T4_T5_mmT6_P12ihipStream_tbEUlT_E_NS1_11comp_targetILNS1_3genE8ELNS1_11target_archE1030ELNS1_3gpuE2ELNS1_3repE0EEENS1_30default_config_static_selectorELNS0_4arch9wavefront6targetE0EEEvS11_.uses_flat_scratch, 0
	.set _ZN7rocprim17ROCPRIM_400000_NS6detail17trampoline_kernelINS0_14default_configENS1_21merge_config_selectorINS0_5tupleIJiiEEENS0_10empty_typeEEEZNS1_10merge_implIS3_NS0_12zip_iteratorINS5_IJN6thrust23THRUST_200600_302600_NS6detail15normal_iteratorINSC_10device_ptrIKiEEEESI_EEEEESK_NSA_INS5_IJNSC_16discard_iteratorINSC_11use_defaultEEESN_EEEEEPS7_SQ_SQ_NSC_11hip_rocprim7__merge17predicate_wrapperIiiNSC_4lessIiEEEEEE10hipError_tPvRmT0_T1_T2_T3_T4_T5_mmT6_P12ihipStream_tbEUlT_E_NS1_11comp_targetILNS1_3genE8ELNS1_11target_archE1030ELNS1_3gpuE2ELNS1_3repE0EEENS1_30default_config_static_selectorELNS0_4arch9wavefront6targetE0EEEvS11_.has_dyn_sized_stack, 0
	.set _ZN7rocprim17ROCPRIM_400000_NS6detail17trampoline_kernelINS0_14default_configENS1_21merge_config_selectorINS0_5tupleIJiiEEENS0_10empty_typeEEEZNS1_10merge_implIS3_NS0_12zip_iteratorINS5_IJN6thrust23THRUST_200600_302600_NS6detail15normal_iteratorINSC_10device_ptrIKiEEEESI_EEEEESK_NSA_INS5_IJNSC_16discard_iteratorINSC_11use_defaultEEESN_EEEEEPS7_SQ_SQ_NSC_11hip_rocprim7__merge17predicate_wrapperIiiNSC_4lessIiEEEEEE10hipError_tPvRmT0_T1_T2_T3_T4_T5_mmT6_P12ihipStream_tbEUlT_E_NS1_11comp_targetILNS1_3genE8ELNS1_11target_archE1030ELNS1_3gpuE2ELNS1_3repE0EEENS1_30default_config_static_selectorELNS0_4arch9wavefront6targetE0EEEvS11_.has_recursion, 0
	.set _ZN7rocprim17ROCPRIM_400000_NS6detail17trampoline_kernelINS0_14default_configENS1_21merge_config_selectorINS0_5tupleIJiiEEENS0_10empty_typeEEEZNS1_10merge_implIS3_NS0_12zip_iteratorINS5_IJN6thrust23THRUST_200600_302600_NS6detail15normal_iteratorINSC_10device_ptrIKiEEEESI_EEEEESK_NSA_INS5_IJNSC_16discard_iteratorINSC_11use_defaultEEESN_EEEEEPS7_SQ_SQ_NSC_11hip_rocprim7__merge17predicate_wrapperIiiNSC_4lessIiEEEEEE10hipError_tPvRmT0_T1_T2_T3_T4_T5_mmT6_P12ihipStream_tbEUlT_E_NS1_11comp_targetILNS1_3genE8ELNS1_11target_archE1030ELNS1_3gpuE2ELNS1_3repE0EEENS1_30default_config_static_selectorELNS0_4arch9wavefront6targetE0EEEvS11_.has_indirect_call, 0
	.section	.AMDGPU.csdata,"",@progbits
; Kernel info:
; codeLenInByte = 520
; TotalNumSgprs: 18
; NumVgprs: 13
; ScratchSize: 0
; MemoryBound: 0
; FloatMode: 240
; IeeeMode: 1
; LDSByteSize: 0 bytes/workgroup (compile time only)
; SGPRBlocks: 0
; VGPRBlocks: 1
; NumSGPRsForWavesPerEU: 18
; NumVGPRsForWavesPerEU: 13
; Occupancy: 16
; WaveLimiterHint : 0
; COMPUTE_PGM_RSRC2:SCRATCH_EN: 0
; COMPUTE_PGM_RSRC2:USER_SGPR: 6
; COMPUTE_PGM_RSRC2:TRAP_HANDLER: 0
; COMPUTE_PGM_RSRC2:TGID_X_EN: 1
; COMPUTE_PGM_RSRC2:TGID_Y_EN: 0
; COMPUTE_PGM_RSRC2:TGID_Z_EN: 0
; COMPUTE_PGM_RSRC2:TIDIG_COMP_CNT: 0
	.section	.text._ZN7rocprim17ROCPRIM_400000_NS6detail17trampoline_kernelINS0_14default_configENS1_21merge_config_selectorINS0_5tupleIJiiEEENS0_10empty_typeEEEZNS1_10merge_implIS3_NS0_12zip_iteratorINS5_IJN6thrust23THRUST_200600_302600_NS6detail15normal_iteratorINSC_10device_ptrIKiEEEESI_EEEEESK_NSA_INS5_IJNSC_16discard_iteratorINSC_11use_defaultEEESN_EEEEEPS7_SQ_SQ_NSC_11hip_rocprim7__merge17predicate_wrapperIiiNSC_4lessIiEEEEEE10hipError_tPvRmT0_T1_T2_T3_T4_T5_mmT6_P12ihipStream_tbEUlT_E0_NS1_11comp_targetILNS1_3genE0ELNS1_11target_archE4294967295ELNS1_3gpuE0ELNS1_3repE0EEENS1_30default_config_static_selectorELNS0_4arch9wavefront6targetE0EEEvS11_,"axG",@progbits,_ZN7rocprim17ROCPRIM_400000_NS6detail17trampoline_kernelINS0_14default_configENS1_21merge_config_selectorINS0_5tupleIJiiEEENS0_10empty_typeEEEZNS1_10merge_implIS3_NS0_12zip_iteratorINS5_IJN6thrust23THRUST_200600_302600_NS6detail15normal_iteratorINSC_10device_ptrIKiEEEESI_EEEEESK_NSA_INS5_IJNSC_16discard_iteratorINSC_11use_defaultEEESN_EEEEEPS7_SQ_SQ_NSC_11hip_rocprim7__merge17predicate_wrapperIiiNSC_4lessIiEEEEEE10hipError_tPvRmT0_T1_T2_T3_T4_T5_mmT6_P12ihipStream_tbEUlT_E0_NS1_11comp_targetILNS1_3genE0ELNS1_11target_archE4294967295ELNS1_3gpuE0ELNS1_3repE0EEENS1_30default_config_static_selectorELNS0_4arch9wavefront6targetE0EEEvS11_,comdat
	.protected	_ZN7rocprim17ROCPRIM_400000_NS6detail17trampoline_kernelINS0_14default_configENS1_21merge_config_selectorINS0_5tupleIJiiEEENS0_10empty_typeEEEZNS1_10merge_implIS3_NS0_12zip_iteratorINS5_IJN6thrust23THRUST_200600_302600_NS6detail15normal_iteratorINSC_10device_ptrIKiEEEESI_EEEEESK_NSA_INS5_IJNSC_16discard_iteratorINSC_11use_defaultEEESN_EEEEEPS7_SQ_SQ_NSC_11hip_rocprim7__merge17predicate_wrapperIiiNSC_4lessIiEEEEEE10hipError_tPvRmT0_T1_T2_T3_T4_T5_mmT6_P12ihipStream_tbEUlT_E0_NS1_11comp_targetILNS1_3genE0ELNS1_11target_archE4294967295ELNS1_3gpuE0ELNS1_3repE0EEENS1_30default_config_static_selectorELNS0_4arch9wavefront6targetE0EEEvS11_ ; -- Begin function _ZN7rocprim17ROCPRIM_400000_NS6detail17trampoline_kernelINS0_14default_configENS1_21merge_config_selectorINS0_5tupleIJiiEEENS0_10empty_typeEEEZNS1_10merge_implIS3_NS0_12zip_iteratorINS5_IJN6thrust23THRUST_200600_302600_NS6detail15normal_iteratorINSC_10device_ptrIKiEEEESI_EEEEESK_NSA_INS5_IJNSC_16discard_iteratorINSC_11use_defaultEEESN_EEEEEPS7_SQ_SQ_NSC_11hip_rocprim7__merge17predicate_wrapperIiiNSC_4lessIiEEEEEE10hipError_tPvRmT0_T1_T2_T3_T4_T5_mmT6_P12ihipStream_tbEUlT_E0_NS1_11comp_targetILNS1_3genE0ELNS1_11target_archE4294967295ELNS1_3gpuE0ELNS1_3repE0EEENS1_30default_config_static_selectorELNS0_4arch9wavefront6targetE0EEEvS11_
	.globl	_ZN7rocprim17ROCPRIM_400000_NS6detail17trampoline_kernelINS0_14default_configENS1_21merge_config_selectorINS0_5tupleIJiiEEENS0_10empty_typeEEEZNS1_10merge_implIS3_NS0_12zip_iteratorINS5_IJN6thrust23THRUST_200600_302600_NS6detail15normal_iteratorINSC_10device_ptrIKiEEEESI_EEEEESK_NSA_INS5_IJNSC_16discard_iteratorINSC_11use_defaultEEESN_EEEEEPS7_SQ_SQ_NSC_11hip_rocprim7__merge17predicate_wrapperIiiNSC_4lessIiEEEEEE10hipError_tPvRmT0_T1_T2_T3_T4_T5_mmT6_P12ihipStream_tbEUlT_E0_NS1_11comp_targetILNS1_3genE0ELNS1_11target_archE4294967295ELNS1_3gpuE0ELNS1_3repE0EEENS1_30default_config_static_selectorELNS0_4arch9wavefront6targetE0EEEvS11_
	.p2align	8
	.type	_ZN7rocprim17ROCPRIM_400000_NS6detail17trampoline_kernelINS0_14default_configENS1_21merge_config_selectorINS0_5tupleIJiiEEENS0_10empty_typeEEEZNS1_10merge_implIS3_NS0_12zip_iteratorINS5_IJN6thrust23THRUST_200600_302600_NS6detail15normal_iteratorINSC_10device_ptrIKiEEEESI_EEEEESK_NSA_INS5_IJNSC_16discard_iteratorINSC_11use_defaultEEESN_EEEEEPS7_SQ_SQ_NSC_11hip_rocprim7__merge17predicate_wrapperIiiNSC_4lessIiEEEEEE10hipError_tPvRmT0_T1_T2_T3_T4_T5_mmT6_P12ihipStream_tbEUlT_E0_NS1_11comp_targetILNS1_3genE0ELNS1_11target_archE4294967295ELNS1_3gpuE0ELNS1_3repE0EEENS1_30default_config_static_selectorELNS0_4arch9wavefront6targetE0EEEvS11_,@function
_ZN7rocprim17ROCPRIM_400000_NS6detail17trampoline_kernelINS0_14default_configENS1_21merge_config_selectorINS0_5tupleIJiiEEENS0_10empty_typeEEEZNS1_10merge_implIS3_NS0_12zip_iteratorINS5_IJN6thrust23THRUST_200600_302600_NS6detail15normal_iteratorINSC_10device_ptrIKiEEEESI_EEEEESK_NSA_INS5_IJNSC_16discard_iteratorINSC_11use_defaultEEESN_EEEEEPS7_SQ_SQ_NSC_11hip_rocprim7__merge17predicate_wrapperIiiNSC_4lessIiEEEEEE10hipError_tPvRmT0_T1_T2_T3_T4_T5_mmT6_P12ihipStream_tbEUlT_E0_NS1_11comp_targetILNS1_3genE0ELNS1_11target_archE4294967295ELNS1_3gpuE0ELNS1_3repE0EEENS1_30default_config_static_selectorELNS0_4arch9wavefront6targetE0EEEvS11_: ; @_ZN7rocprim17ROCPRIM_400000_NS6detail17trampoline_kernelINS0_14default_configENS1_21merge_config_selectorINS0_5tupleIJiiEEENS0_10empty_typeEEEZNS1_10merge_implIS3_NS0_12zip_iteratorINS5_IJN6thrust23THRUST_200600_302600_NS6detail15normal_iteratorINSC_10device_ptrIKiEEEESI_EEEEESK_NSA_INS5_IJNSC_16discard_iteratorINSC_11use_defaultEEESN_EEEEEPS7_SQ_SQ_NSC_11hip_rocprim7__merge17predicate_wrapperIiiNSC_4lessIiEEEEEE10hipError_tPvRmT0_T1_T2_T3_T4_T5_mmT6_P12ihipStream_tbEUlT_E0_NS1_11comp_targetILNS1_3genE0ELNS1_11target_archE4294967295ELNS1_3gpuE0ELNS1_3repE0EEENS1_30default_config_static_selectorELNS0_4arch9wavefront6targetE0EEEvS11_
; %bb.0:
	.section	.rodata,"a",@progbits
	.p2align	6, 0x0
	.amdhsa_kernel _ZN7rocprim17ROCPRIM_400000_NS6detail17trampoline_kernelINS0_14default_configENS1_21merge_config_selectorINS0_5tupleIJiiEEENS0_10empty_typeEEEZNS1_10merge_implIS3_NS0_12zip_iteratorINS5_IJN6thrust23THRUST_200600_302600_NS6detail15normal_iteratorINSC_10device_ptrIKiEEEESI_EEEEESK_NSA_INS5_IJNSC_16discard_iteratorINSC_11use_defaultEEESN_EEEEEPS7_SQ_SQ_NSC_11hip_rocprim7__merge17predicate_wrapperIiiNSC_4lessIiEEEEEE10hipError_tPvRmT0_T1_T2_T3_T4_T5_mmT6_P12ihipStream_tbEUlT_E0_NS1_11comp_targetILNS1_3genE0ELNS1_11target_archE4294967295ELNS1_3gpuE0ELNS1_3repE0EEENS1_30default_config_static_selectorELNS0_4arch9wavefront6targetE0EEEvS11_
		.amdhsa_group_segment_fixed_size 0
		.amdhsa_private_segment_fixed_size 0
		.amdhsa_kernarg_size 128
		.amdhsa_user_sgpr_count 6
		.amdhsa_user_sgpr_private_segment_buffer 1
		.amdhsa_user_sgpr_dispatch_ptr 0
		.amdhsa_user_sgpr_queue_ptr 0
		.amdhsa_user_sgpr_kernarg_segment_ptr 1
		.amdhsa_user_sgpr_dispatch_id 0
		.amdhsa_user_sgpr_flat_scratch_init 0
		.amdhsa_user_sgpr_private_segment_size 0
		.amdhsa_wavefront_size32 1
		.amdhsa_uses_dynamic_stack 0
		.amdhsa_system_sgpr_private_segment_wavefront_offset 0
		.amdhsa_system_sgpr_workgroup_id_x 1
		.amdhsa_system_sgpr_workgroup_id_y 0
		.amdhsa_system_sgpr_workgroup_id_z 0
		.amdhsa_system_sgpr_workgroup_info 0
		.amdhsa_system_vgpr_workitem_id 0
		.amdhsa_next_free_vgpr 1
		.amdhsa_next_free_sgpr 1
		.amdhsa_reserve_vcc 0
		.amdhsa_reserve_flat_scratch 0
		.amdhsa_float_round_mode_32 0
		.amdhsa_float_round_mode_16_64 0
		.amdhsa_float_denorm_mode_32 3
		.amdhsa_float_denorm_mode_16_64 3
		.amdhsa_dx10_clamp 1
		.amdhsa_ieee_mode 1
		.amdhsa_fp16_overflow 0
		.amdhsa_workgroup_processor_mode 1
		.amdhsa_memory_ordered 1
		.amdhsa_forward_progress 1
		.amdhsa_shared_vgpr_count 0
		.amdhsa_exception_fp_ieee_invalid_op 0
		.amdhsa_exception_fp_denorm_src 0
		.amdhsa_exception_fp_ieee_div_zero 0
		.amdhsa_exception_fp_ieee_overflow 0
		.amdhsa_exception_fp_ieee_underflow 0
		.amdhsa_exception_fp_ieee_inexact 0
		.amdhsa_exception_int_div_zero 0
	.end_amdhsa_kernel
	.section	.text._ZN7rocprim17ROCPRIM_400000_NS6detail17trampoline_kernelINS0_14default_configENS1_21merge_config_selectorINS0_5tupleIJiiEEENS0_10empty_typeEEEZNS1_10merge_implIS3_NS0_12zip_iteratorINS5_IJN6thrust23THRUST_200600_302600_NS6detail15normal_iteratorINSC_10device_ptrIKiEEEESI_EEEEESK_NSA_INS5_IJNSC_16discard_iteratorINSC_11use_defaultEEESN_EEEEEPS7_SQ_SQ_NSC_11hip_rocprim7__merge17predicate_wrapperIiiNSC_4lessIiEEEEEE10hipError_tPvRmT0_T1_T2_T3_T4_T5_mmT6_P12ihipStream_tbEUlT_E0_NS1_11comp_targetILNS1_3genE0ELNS1_11target_archE4294967295ELNS1_3gpuE0ELNS1_3repE0EEENS1_30default_config_static_selectorELNS0_4arch9wavefront6targetE0EEEvS11_,"axG",@progbits,_ZN7rocprim17ROCPRIM_400000_NS6detail17trampoline_kernelINS0_14default_configENS1_21merge_config_selectorINS0_5tupleIJiiEEENS0_10empty_typeEEEZNS1_10merge_implIS3_NS0_12zip_iteratorINS5_IJN6thrust23THRUST_200600_302600_NS6detail15normal_iteratorINSC_10device_ptrIKiEEEESI_EEEEESK_NSA_INS5_IJNSC_16discard_iteratorINSC_11use_defaultEEESN_EEEEEPS7_SQ_SQ_NSC_11hip_rocprim7__merge17predicate_wrapperIiiNSC_4lessIiEEEEEE10hipError_tPvRmT0_T1_T2_T3_T4_T5_mmT6_P12ihipStream_tbEUlT_E0_NS1_11comp_targetILNS1_3genE0ELNS1_11target_archE4294967295ELNS1_3gpuE0ELNS1_3repE0EEENS1_30default_config_static_selectorELNS0_4arch9wavefront6targetE0EEEvS11_,comdat
.Lfunc_end596:
	.size	_ZN7rocprim17ROCPRIM_400000_NS6detail17trampoline_kernelINS0_14default_configENS1_21merge_config_selectorINS0_5tupleIJiiEEENS0_10empty_typeEEEZNS1_10merge_implIS3_NS0_12zip_iteratorINS5_IJN6thrust23THRUST_200600_302600_NS6detail15normal_iteratorINSC_10device_ptrIKiEEEESI_EEEEESK_NSA_INS5_IJNSC_16discard_iteratorINSC_11use_defaultEEESN_EEEEEPS7_SQ_SQ_NSC_11hip_rocprim7__merge17predicate_wrapperIiiNSC_4lessIiEEEEEE10hipError_tPvRmT0_T1_T2_T3_T4_T5_mmT6_P12ihipStream_tbEUlT_E0_NS1_11comp_targetILNS1_3genE0ELNS1_11target_archE4294967295ELNS1_3gpuE0ELNS1_3repE0EEENS1_30default_config_static_selectorELNS0_4arch9wavefront6targetE0EEEvS11_, .Lfunc_end596-_ZN7rocprim17ROCPRIM_400000_NS6detail17trampoline_kernelINS0_14default_configENS1_21merge_config_selectorINS0_5tupleIJiiEEENS0_10empty_typeEEEZNS1_10merge_implIS3_NS0_12zip_iteratorINS5_IJN6thrust23THRUST_200600_302600_NS6detail15normal_iteratorINSC_10device_ptrIKiEEEESI_EEEEESK_NSA_INS5_IJNSC_16discard_iteratorINSC_11use_defaultEEESN_EEEEEPS7_SQ_SQ_NSC_11hip_rocprim7__merge17predicate_wrapperIiiNSC_4lessIiEEEEEE10hipError_tPvRmT0_T1_T2_T3_T4_T5_mmT6_P12ihipStream_tbEUlT_E0_NS1_11comp_targetILNS1_3genE0ELNS1_11target_archE4294967295ELNS1_3gpuE0ELNS1_3repE0EEENS1_30default_config_static_selectorELNS0_4arch9wavefront6targetE0EEEvS11_
                                        ; -- End function
	.set _ZN7rocprim17ROCPRIM_400000_NS6detail17trampoline_kernelINS0_14default_configENS1_21merge_config_selectorINS0_5tupleIJiiEEENS0_10empty_typeEEEZNS1_10merge_implIS3_NS0_12zip_iteratorINS5_IJN6thrust23THRUST_200600_302600_NS6detail15normal_iteratorINSC_10device_ptrIKiEEEESI_EEEEESK_NSA_INS5_IJNSC_16discard_iteratorINSC_11use_defaultEEESN_EEEEEPS7_SQ_SQ_NSC_11hip_rocprim7__merge17predicate_wrapperIiiNSC_4lessIiEEEEEE10hipError_tPvRmT0_T1_T2_T3_T4_T5_mmT6_P12ihipStream_tbEUlT_E0_NS1_11comp_targetILNS1_3genE0ELNS1_11target_archE4294967295ELNS1_3gpuE0ELNS1_3repE0EEENS1_30default_config_static_selectorELNS0_4arch9wavefront6targetE0EEEvS11_.num_vgpr, 0
	.set _ZN7rocprim17ROCPRIM_400000_NS6detail17trampoline_kernelINS0_14default_configENS1_21merge_config_selectorINS0_5tupleIJiiEEENS0_10empty_typeEEEZNS1_10merge_implIS3_NS0_12zip_iteratorINS5_IJN6thrust23THRUST_200600_302600_NS6detail15normal_iteratorINSC_10device_ptrIKiEEEESI_EEEEESK_NSA_INS5_IJNSC_16discard_iteratorINSC_11use_defaultEEESN_EEEEEPS7_SQ_SQ_NSC_11hip_rocprim7__merge17predicate_wrapperIiiNSC_4lessIiEEEEEE10hipError_tPvRmT0_T1_T2_T3_T4_T5_mmT6_P12ihipStream_tbEUlT_E0_NS1_11comp_targetILNS1_3genE0ELNS1_11target_archE4294967295ELNS1_3gpuE0ELNS1_3repE0EEENS1_30default_config_static_selectorELNS0_4arch9wavefront6targetE0EEEvS11_.num_agpr, 0
	.set _ZN7rocprim17ROCPRIM_400000_NS6detail17trampoline_kernelINS0_14default_configENS1_21merge_config_selectorINS0_5tupleIJiiEEENS0_10empty_typeEEEZNS1_10merge_implIS3_NS0_12zip_iteratorINS5_IJN6thrust23THRUST_200600_302600_NS6detail15normal_iteratorINSC_10device_ptrIKiEEEESI_EEEEESK_NSA_INS5_IJNSC_16discard_iteratorINSC_11use_defaultEEESN_EEEEEPS7_SQ_SQ_NSC_11hip_rocprim7__merge17predicate_wrapperIiiNSC_4lessIiEEEEEE10hipError_tPvRmT0_T1_T2_T3_T4_T5_mmT6_P12ihipStream_tbEUlT_E0_NS1_11comp_targetILNS1_3genE0ELNS1_11target_archE4294967295ELNS1_3gpuE0ELNS1_3repE0EEENS1_30default_config_static_selectorELNS0_4arch9wavefront6targetE0EEEvS11_.numbered_sgpr, 0
	.set _ZN7rocprim17ROCPRIM_400000_NS6detail17trampoline_kernelINS0_14default_configENS1_21merge_config_selectorINS0_5tupleIJiiEEENS0_10empty_typeEEEZNS1_10merge_implIS3_NS0_12zip_iteratorINS5_IJN6thrust23THRUST_200600_302600_NS6detail15normal_iteratorINSC_10device_ptrIKiEEEESI_EEEEESK_NSA_INS5_IJNSC_16discard_iteratorINSC_11use_defaultEEESN_EEEEEPS7_SQ_SQ_NSC_11hip_rocprim7__merge17predicate_wrapperIiiNSC_4lessIiEEEEEE10hipError_tPvRmT0_T1_T2_T3_T4_T5_mmT6_P12ihipStream_tbEUlT_E0_NS1_11comp_targetILNS1_3genE0ELNS1_11target_archE4294967295ELNS1_3gpuE0ELNS1_3repE0EEENS1_30default_config_static_selectorELNS0_4arch9wavefront6targetE0EEEvS11_.num_named_barrier, 0
	.set _ZN7rocprim17ROCPRIM_400000_NS6detail17trampoline_kernelINS0_14default_configENS1_21merge_config_selectorINS0_5tupleIJiiEEENS0_10empty_typeEEEZNS1_10merge_implIS3_NS0_12zip_iteratorINS5_IJN6thrust23THRUST_200600_302600_NS6detail15normal_iteratorINSC_10device_ptrIKiEEEESI_EEEEESK_NSA_INS5_IJNSC_16discard_iteratorINSC_11use_defaultEEESN_EEEEEPS7_SQ_SQ_NSC_11hip_rocprim7__merge17predicate_wrapperIiiNSC_4lessIiEEEEEE10hipError_tPvRmT0_T1_T2_T3_T4_T5_mmT6_P12ihipStream_tbEUlT_E0_NS1_11comp_targetILNS1_3genE0ELNS1_11target_archE4294967295ELNS1_3gpuE0ELNS1_3repE0EEENS1_30default_config_static_selectorELNS0_4arch9wavefront6targetE0EEEvS11_.private_seg_size, 0
	.set _ZN7rocprim17ROCPRIM_400000_NS6detail17trampoline_kernelINS0_14default_configENS1_21merge_config_selectorINS0_5tupleIJiiEEENS0_10empty_typeEEEZNS1_10merge_implIS3_NS0_12zip_iteratorINS5_IJN6thrust23THRUST_200600_302600_NS6detail15normal_iteratorINSC_10device_ptrIKiEEEESI_EEEEESK_NSA_INS5_IJNSC_16discard_iteratorINSC_11use_defaultEEESN_EEEEEPS7_SQ_SQ_NSC_11hip_rocprim7__merge17predicate_wrapperIiiNSC_4lessIiEEEEEE10hipError_tPvRmT0_T1_T2_T3_T4_T5_mmT6_P12ihipStream_tbEUlT_E0_NS1_11comp_targetILNS1_3genE0ELNS1_11target_archE4294967295ELNS1_3gpuE0ELNS1_3repE0EEENS1_30default_config_static_selectorELNS0_4arch9wavefront6targetE0EEEvS11_.uses_vcc, 0
	.set _ZN7rocprim17ROCPRIM_400000_NS6detail17trampoline_kernelINS0_14default_configENS1_21merge_config_selectorINS0_5tupleIJiiEEENS0_10empty_typeEEEZNS1_10merge_implIS3_NS0_12zip_iteratorINS5_IJN6thrust23THRUST_200600_302600_NS6detail15normal_iteratorINSC_10device_ptrIKiEEEESI_EEEEESK_NSA_INS5_IJNSC_16discard_iteratorINSC_11use_defaultEEESN_EEEEEPS7_SQ_SQ_NSC_11hip_rocprim7__merge17predicate_wrapperIiiNSC_4lessIiEEEEEE10hipError_tPvRmT0_T1_T2_T3_T4_T5_mmT6_P12ihipStream_tbEUlT_E0_NS1_11comp_targetILNS1_3genE0ELNS1_11target_archE4294967295ELNS1_3gpuE0ELNS1_3repE0EEENS1_30default_config_static_selectorELNS0_4arch9wavefront6targetE0EEEvS11_.uses_flat_scratch, 0
	.set _ZN7rocprim17ROCPRIM_400000_NS6detail17trampoline_kernelINS0_14default_configENS1_21merge_config_selectorINS0_5tupleIJiiEEENS0_10empty_typeEEEZNS1_10merge_implIS3_NS0_12zip_iteratorINS5_IJN6thrust23THRUST_200600_302600_NS6detail15normal_iteratorINSC_10device_ptrIKiEEEESI_EEEEESK_NSA_INS5_IJNSC_16discard_iteratorINSC_11use_defaultEEESN_EEEEEPS7_SQ_SQ_NSC_11hip_rocprim7__merge17predicate_wrapperIiiNSC_4lessIiEEEEEE10hipError_tPvRmT0_T1_T2_T3_T4_T5_mmT6_P12ihipStream_tbEUlT_E0_NS1_11comp_targetILNS1_3genE0ELNS1_11target_archE4294967295ELNS1_3gpuE0ELNS1_3repE0EEENS1_30default_config_static_selectorELNS0_4arch9wavefront6targetE0EEEvS11_.has_dyn_sized_stack, 0
	.set _ZN7rocprim17ROCPRIM_400000_NS6detail17trampoline_kernelINS0_14default_configENS1_21merge_config_selectorINS0_5tupleIJiiEEENS0_10empty_typeEEEZNS1_10merge_implIS3_NS0_12zip_iteratorINS5_IJN6thrust23THRUST_200600_302600_NS6detail15normal_iteratorINSC_10device_ptrIKiEEEESI_EEEEESK_NSA_INS5_IJNSC_16discard_iteratorINSC_11use_defaultEEESN_EEEEEPS7_SQ_SQ_NSC_11hip_rocprim7__merge17predicate_wrapperIiiNSC_4lessIiEEEEEE10hipError_tPvRmT0_T1_T2_T3_T4_T5_mmT6_P12ihipStream_tbEUlT_E0_NS1_11comp_targetILNS1_3genE0ELNS1_11target_archE4294967295ELNS1_3gpuE0ELNS1_3repE0EEENS1_30default_config_static_selectorELNS0_4arch9wavefront6targetE0EEEvS11_.has_recursion, 0
	.set _ZN7rocprim17ROCPRIM_400000_NS6detail17trampoline_kernelINS0_14default_configENS1_21merge_config_selectorINS0_5tupleIJiiEEENS0_10empty_typeEEEZNS1_10merge_implIS3_NS0_12zip_iteratorINS5_IJN6thrust23THRUST_200600_302600_NS6detail15normal_iteratorINSC_10device_ptrIKiEEEESI_EEEEESK_NSA_INS5_IJNSC_16discard_iteratorINSC_11use_defaultEEESN_EEEEEPS7_SQ_SQ_NSC_11hip_rocprim7__merge17predicate_wrapperIiiNSC_4lessIiEEEEEE10hipError_tPvRmT0_T1_T2_T3_T4_T5_mmT6_P12ihipStream_tbEUlT_E0_NS1_11comp_targetILNS1_3genE0ELNS1_11target_archE4294967295ELNS1_3gpuE0ELNS1_3repE0EEENS1_30default_config_static_selectorELNS0_4arch9wavefront6targetE0EEEvS11_.has_indirect_call, 0
	.section	.AMDGPU.csdata,"",@progbits
; Kernel info:
; codeLenInByte = 0
; TotalNumSgprs: 0
; NumVgprs: 0
; ScratchSize: 0
; MemoryBound: 0
; FloatMode: 240
; IeeeMode: 1
; LDSByteSize: 0 bytes/workgroup (compile time only)
; SGPRBlocks: 0
; VGPRBlocks: 0
; NumSGPRsForWavesPerEU: 1
; NumVGPRsForWavesPerEU: 1
; Occupancy: 16
; WaveLimiterHint : 0
; COMPUTE_PGM_RSRC2:SCRATCH_EN: 0
; COMPUTE_PGM_RSRC2:USER_SGPR: 6
; COMPUTE_PGM_RSRC2:TRAP_HANDLER: 0
; COMPUTE_PGM_RSRC2:TGID_X_EN: 1
; COMPUTE_PGM_RSRC2:TGID_Y_EN: 0
; COMPUTE_PGM_RSRC2:TGID_Z_EN: 0
; COMPUTE_PGM_RSRC2:TIDIG_COMP_CNT: 0
	.section	.text._ZN7rocprim17ROCPRIM_400000_NS6detail17trampoline_kernelINS0_14default_configENS1_21merge_config_selectorINS0_5tupleIJiiEEENS0_10empty_typeEEEZNS1_10merge_implIS3_NS0_12zip_iteratorINS5_IJN6thrust23THRUST_200600_302600_NS6detail15normal_iteratorINSC_10device_ptrIKiEEEESI_EEEEESK_NSA_INS5_IJNSC_16discard_iteratorINSC_11use_defaultEEESN_EEEEEPS7_SQ_SQ_NSC_11hip_rocprim7__merge17predicate_wrapperIiiNSC_4lessIiEEEEEE10hipError_tPvRmT0_T1_T2_T3_T4_T5_mmT6_P12ihipStream_tbEUlT_E0_NS1_11comp_targetILNS1_3genE5ELNS1_11target_archE942ELNS1_3gpuE9ELNS1_3repE0EEENS1_30default_config_static_selectorELNS0_4arch9wavefront6targetE0EEEvS11_,"axG",@progbits,_ZN7rocprim17ROCPRIM_400000_NS6detail17trampoline_kernelINS0_14default_configENS1_21merge_config_selectorINS0_5tupleIJiiEEENS0_10empty_typeEEEZNS1_10merge_implIS3_NS0_12zip_iteratorINS5_IJN6thrust23THRUST_200600_302600_NS6detail15normal_iteratorINSC_10device_ptrIKiEEEESI_EEEEESK_NSA_INS5_IJNSC_16discard_iteratorINSC_11use_defaultEEESN_EEEEEPS7_SQ_SQ_NSC_11hip_rocprim7__merge17predicate_wrapperIiiNSC_4lessIiEEEEEE10hipError_tPvRmT0_T1_T2_T3_T4_T5_mmT6_P12ihipStream_tbEUlT_E0_NS1_11comp_targetILNS1_3genE5ELNS1_11target_archE942ELNS1_3gpuE9ELNS1_3repE0EEENS1_30default_config_static_selectorELNS0_4arch9wavefront6targetE0EEEvS11_,comdat
	.protected	_ZN7rocprim17ROCPRIM_400000_NS6detail17trampoline_kernelINS0_14default_configENS1_21merge_config_selectorINS0_5tupleIJiiEEENS0_10empty_typeEEEZNS1_10merge_implIS3_NS0_12zip_iteratorINS5_IJN6thrust23THRUST_200600_302600_NS6detail15normal_iteratorINSC_10device_ptrIKiEEEESI_EEEEESK_NSA_INS5_IJNSC_16discard_iteratorINSC_11use_defaultEEESN_EEEEEPS7_SQ_SQ_NSC_11hip_rocprim7__merge17predicate_wrapperIiiNSC_4lessIiEEEEEE10hipError_tPvRmT0_T1_T2_T3_T4_T5_mmT6_P12ihipStream_tbEUlT_E0_NS1_11comp_targetILNS1_3genE5ELNS1_11target_archE942ELNS1_3gpuE9ELNS1_3repE0EEENS1_30default_config_static_selectorELNS0_4arch9wavefront6targetE0EEEvS11_ ; -- Begin function _ZN7rocprim17ROCPRIM_400000_NS6detail17trampoline_kernelINS0_14default_configENS1_21merge_config_selectorINS0_5tupleIJiiEEENS0_10empty_typeEEEZNS1_10merge_implIS3_NS0_12zip_iteratorINS5_IJN6thrust23THRUST_200600_302600_NS6detail15normal_iteratorINSC_10device_ptrIKiEEEESI_EEEEESK_NSA_INS5_IJNSC_16discard_iteratorINSC_11use_defaultEEESN_EEEEEPS7_SQ_SQ_NSC_11hip_rocprim7__merge17predicate_wrapperIiiNSC_4lessIiEEEEEE10hipError_tPvRmT0_T1_T2_T3_T4_T5_mmT6_P12ihipStream_tbEUlT_E0_NS1_11comp_targetILNS1_3genE5ELNS1_11target_archE942ELNS1_3gpuE9ELNS1_3repE0EEENS1_30default_config_static_selectorELNS0_4arch9wavefront6targetE0EEEvS11_
	.globl	_ZN7rocprim17ROCPRIM_400000_NS6detail17trampoline_kernelINS0_14default_configENS1_21merge_config_selectorINS0_5tupleIJiiEEENS0_10empty_typeEEEZNS1_10merge_implIS3_NS0_12zip_iteratorINS5_IJN6thrust23THRUST_200600_302600_NS6detail15normal_iteratorINSC_10device_ptrIKiEEEESI_EEEEESK_NSA_INS5_IJNSC_16discard_iteratorINSC_11use_defaultEEESN_EEEEEPS7_SQ_SQ_NSC_11hip_rocprim7__merge17predicate_wrapperIiiNSC_4lessIiEEEEEE10hipError_tPvRmT0_T1_T2_T3_T4_T5_mmT6_P12ihipStream_tbEUlT_E0_NS1_11comp_targetILNS1_3genE5ELNS1_11target_archE942ELNS1_3gpuE9ELNS1_3repE0EEENS1_30default_config_static_selectorELNS0_4arch9wavefront6targetE0EEEvS11_
	.p2align	8
	.type	_ZN7rocprim17ROCPRIM_400000_NS6detail17trampoline_kernelINS0_14default_configENS1_21merge_config_selectorINS0_5tupleIJiiEEENS0_10empty_typeEEEZNS1_10merge_implIS3_NS0_12zip_iteratorINS5_IJN6thrust23THRUST_200600_302600_NS6detail15normal_iteratorINSC_10device_ptrIKiEEEESI_EEEEESK_NSA_INS5_IJNSC_16discard_iteratorINSC_11use_defaultEEESN_EEEEEPS7_SQ_SQ_NSC_11hip_rocprim7__merge17predicate_wrapperIiiNSC_4lessIiEEEEEE10hipError_tPvRmT0_T1_T2_T3_T4_T5_mmT6_P12ihipStream_tbEUlT_E0_NS1_11comp_targetILNS1_3genE5ELNS1_11target_archE942ELNS1_3gpuE9ELNS1_3repE0EEENS1_30default_config_static_selectorELNS0_4arch9wavefront6targetE0EEEvS11_,@function
_ZN7rocprim17ROCPRIM_400000_NS6detail17trampoline_kernelINS0_14default_configENS1_21merge_config_selectorINS0_5tupleIJiiEEENS0_10empty_typeEEEZNS1_10merge_implIS3_NS0_12zip_iteratorINS5_IJN6thrust23THRUST_200600_302600_NS6detail15normal_iteratorINSC_10device_ptrIKiEEEESI_EEEEESK_NSA_INS5_IJNSC_16discard_iteratorINSC_11use_defaultEEESN_EEEEEPS7_SQ_SQ_NSC_11hip_rocprim7__merge17predicate_wrapperIiiNSC_4lessIiEEEEEE10hipError_tPvRmT0_T1_T2_T3_T4_T5_mmT6_P12ihipStream_tbEUlT_E0_NS1_11comp_targetILNS1_3genE5ELNS1_11target_archE942ELNS1_3gpuE9ELNS1_3repE0EEENS1_30default_config_static_selectorELNS0_4arch9wavefront6targetE0EEEvS11_: ; @_ZN7rocprim17ROCPRIM_400000_NS6detail17trampoline_kernelINS0_14default_configENS1_21merge_config_selectorINS0_5tupleIJiiEEENS0_10empty_typeEEEZNS1_10merge_implIS3_NS0_12zip_iteratorINS5_IJN6thrust23THRUST_200600_302600_NS6detail15normal_iteratorINSC_10device_ptrIKiEEEESI_EEEEESK_NSA_INS5_IJNSC_16discard_iteratorINSC_11use_defaultEEESN_EEEEEPS7_SQ_SQ_NSC_11hip_rocprim7__merge17predicate_wrapperIiiNSC_4lessIiEEEEEE10hipError_tPvRmT0_T1_T2_T3_T4_T5_mmT6_P12ihipStream_tbEUlT_E0_NS1_11comp_targetILNS1_3genE5ELNS1_11target_archE942ELNS1_3gpuE9ELNS1_3repE0EEENS1_30default_config_static_selectorELNS0_4arch9wavefront6targetE0EEEvS11_
; %bb.0:
	.section	.rodata,"a",@progbits
	.p2align	6, 0x0
	.amdhsa_kernel _ZN7rocprim17ROCPRIM_400000_NS6detail17trampoline_kernelINS0_14default_configENS1_21merge_config_selectorINS0_5tupleIJiiEEENS0_10empty_typeEEEZNS1_10merge_implIS3_NS0_12zip_iteratorINS5_IJN6thrust23THRUST_200600_302600_NS6detail15normal_iteratorINSC_10device_ptrIKiEEEESI_EEEEESK_NSA_INS5_IJNSC_16discard_iteratorINSC_11use_defaultEEESN_EEEEEPS7_SQ_SQ_NSC_11hip_rocprim7__merge17predicate_wrapperIiiNSC_4lessIiEEEEEE10hipError_tPvRmT0_T1_T2_T3_T4_T5_mmT6_P12ihipStream_tbEUlT_E0_NS1_11comp_targetILNS1_3genE5ELNS1_11target_archE942ELNS1_3gpuE9ELNS1_3repE0EEENS1_30default_config_static_selectorELNS0_4arch9wavefront6targetE0EEEvS11_
		.amdhsa_group_segment_fixed_size 0
		.amdhsa_private_segment_fixed_size 0
		.amdhsa_kernarg_size 128
		.amdhsa_user_sgpr_count 6
		.amdhsa_user_sgpr_private_segment_buffer 1
		.amdhsa_user_sgpr_dispatch_ptr 0
		.amdhsa_user_sgpr_queue_ptr 0
		.amdhsa_user_sgpr_kernarg_segment_ptr 1
		.amdhsa_user_sgpr_dispatch_id 0
		.amdhsa_user_sgpr_flat_scratch_init 0
		.amdhsa_user_sgpr_private_segment_size 0
		.amdhsa_wavefront_size32 1
		.amdhsa_uses_dynamic_stack 0
		.amdhsa_system_sgpr_private_segment_wavefront_offset 0
		.amdhsa_system_sgpr_workgroup_id_x 1
		.amdhsa_system_sgpr_workgroup_id_y 0
		.amdhsa_system_sgpr_workgroup_id_z 0
		.amdhsa_system_sgpr_workgroup_info 0
		.amdhsa_system_vgpr_workitem_id 0
		.amdhsa_next_free_vgpr 1
		.amdhsa_next_free_sgpr 1
		.amdhsa_reserve_vcc 0
		.amdhsa_reserve_flat_scratch 0
		.amdhsa_float_round_mode_32 0
		.amdhsa_float_round_mode_16_64 0
		.amdhsa_float_denorm_mode_32 3
		.amdhsa_float_denorm_mode_16_64 3
		.amdhsa_dx10_clamp 1
		.amdhsa_ieee_mode 1
		.amdhsa_fp16_overflow 0
		.amdhsa_workgroup_processor_mode 1
		.amdhsa_memory_ordered 1
		.amdhsa_forward_progress 1
		.amdhsa_shared_vgpr_count 0
		.amdhsa_exception_fp_ieee_invalid_op 0
		.amdhsa_exception_fp_denorm_src 0
		.amdhsa_exception_fp_ieee_div_zero 0
		.amdhsa_exception_fp_ieee_overflow 0
		.amdhsa_exception_fp_ieee_underflow 0
		.amdhsa_exception_fp_ieee_inexact 0
		.amdhsa_exception_int_div_zero 0
	.end_amdhsa_kernel
	.section	.text._ZN7rocprim17ROCPRIM_400000_NS6detail17trampoline_kernelINS0_14default_configENS1_21merge_config_selectorINS0_5tupleIJiiEEENS0_10empty_typeEEEZNS1_10merge_implIS3_NS0_12zip_iteratorINS5_IJN6thrust23THRUST_200600_302600_NS6detail15normal_iteratorINSC_10device_ptrIKiEEEESI_EEEEESK_NSA_INS5_IJNSC_16discard_iteratorINSC_11use_defaultEEESN_EEEEEPS7_SQ_SQ_NSC_11hip_rocprim7__merge17predicate_wrapperIiiNSC_4lessIiEEEEEE10hipError_tPvRmT0_T1_T2_T3_T4_T5_mmT6_P12ihipStream_tbEUlT_E0_NS1_11comp_targetILNS1_3genE5ELNS1_11target_archE942ELNS1_3gpuE9ELNS1_3repE0EEENS1_30default_config_static_selectorELNS0_4arch9wavefront6targetE0EEEvS11_,"axG",@progbits,_ZN7rocprim17ROCPRIM_400000_NS6detail17trampoline_kernelINS0_14default_configENS1_21merge_config_selectorINS0_5tupleIJiiEEENS0_10empty_typeEEEZNS1_10merge_implIS3_NS0_12zip_iteratorINS5_IJN6thrust23THRUST_200600_302600_NS6detail15normal_iteratorINSC_10device_ptrIKiEEEESI_EEEEESK_NSA_INS5_IJNSC_16discard_iteratorINSC_11use_defaultEEESN_EEEEEPS7_SQ_SQ_NSC_11hip_rocprim7__merge17predicate_wrapperIiiNSC_4lessIiEEEEEE10hipError_tPvRmT0_T1_T2_T3_T4_T5_mmT6_P12ihipStream_tbEUlT_E0_NS1_11comp_targetILNS1_3genE5ELNS1_11target_archE942ELNS1_3gpuE9ELNS1_3repE0EEENS1_30default_config_static_selectorELNS0_4arch9wavefront6targetE0EEEvS11_,comdat
.Lfunc_end597:
	.size	_ZN7rocprim17ROCPRIM_400000_NS6detail17trampoline_kernelINS0_14default_configENS1_21merge_config_selectorINS0_5tupleIJiiEEENS0_10empty_typeEEEZNS1_10merge_implIS3_NS0_12zip_iteratorINS5_IJN6thrust23THRUST_200600_302600_NS6detail15normal_iteratorINSC_10device_ptrIKiEEEESI_EEEEESK_NSA_INS5_IJNSC_16discard_iteratorINSC_11use_defaultEEESN_EEEEEPS7_SQ_SQ_NSC_11hip_rocprim7__merge17predicate_wrapperIiiNSC_4lessIiEEEEEE10hipError_tPvRmT0_T1_T2_T3_T4_T5_mmT6_P12ihipStream_tbEUlT_E0_NS1_11comp_targetILNS1_3genE5ELNS1_11target_archE942ELNS1_3gpuE9ELNS1_3repE0EEENS1_30default_config_static_selectorELNS0_4arch9wavefront6targetE0EEEvS11_, .Lfunc_end597-_ZN7rocprim17ROCPRIM_400000_NS6detail17trampoline_kernelINS0_14default_configENS1_21merge_config_selectorINS0_5tupleIJiiEEENS0_10empty_typeEEEZNS1_10merge_implIS3_NS0_12zip_iteratorINS5_IJN6thrust23THRUST_200600_302600_NS6detail15normal_iteratorINSC_10device_ptrIKiEEEESI_EEEEESK_NSA_INS5_IJNSC_16discard_iteratorINSC_11use_defaultEEESN_EEEEEPS7_SQ_SQ_NSC_11hip_rocprim7__merge17predicate_wrapperIiiNSC_4lessIiEEEEEE10hipError_tPvRmT0_T1_T2_T3_T4_T5_mmT6_P12ihipStream_tbEUlT_E0_NS1_11comp_targetILNS1_3genE5ELNS1_11target_archE942ELNS1_3gpuE9ELNS1_3repE0EEENS1_30default_config_static_selectorELNS0_4arch9wavefront6targetE0EEEvS11_
                                        ; -- End function
	.set _ZN7rocprim17ROCPRIM_400000_NS6detail17trampoline_kernelINS0_14default_configENS1_21merge_config_selectorINS0_5tupleIJiiEEENS0_10empty_typeEEEZNS1_10merge_implIS3_NS0_12zip_iteratorINS5_IJN6thrust23THRUST_200600_302600_NS6detail15normal_iteratorINSC_10device_ptrIKiEEEESI_EEEEESK_NSA_INS5_IJNSC_16discard_iteratorINSC_11use_defaultEEESN_EEEEEPS7_SQ_SQ_NSC_11hip_rocprim7__merge17predicate_wrapperIiiNSC_4lessIiEEEEEE10hipError_tPvRmT0_T1_T2_T3_T4_T5_mmT6_P12ihipStream_tbEUlT_E0_NS1_11comp_targetILNS1_3genE5ELNS1_11target_archE942ELNS1_3gpuE9ELNS1_3repE0EEENS1_30default_config_static_selectorELNS0_4arch9wavefront6targetE0EEEvS11_.num_vgpr, 0
	.set _ZN7rocprim17ROCPRIM_400000_NS6detail17trampoline_kernelINS0_14default_configENS1_21merge_config_selectorINS0_5tupleIJiiEEENS0_10empty_typeEEEZNS1_10merge_implIS3_NS0_12zip_iteratorINS5_IJN6thrust23THRUST_200600_302600_NS6detail15normal_iteratorINSC_10device_ptrIKiEEEESI_EEEEESK_NSA_INS5_IJNSC_16discard_iteratorINSC_11use_defaultEEESN_EEEEEPS7_SQ_SQ_NSC_11hip_rocprim7__merge17predicate_wrapperIiiNSC_4lessIiEEEEEE10hipError_tPvRmT0_T1_T2_T3_T4_T5_mmT6_P12ihipStream_tbEUlT_E0_NS1_11comp_targetILNS1_3genE5ELNS1_11target_archE942ELNS1_3gpuE9ELNS1_3repE0EEENS1_30default_config_static_selectorELNS0_4arch9wavefront6targetE0EEEvS11_.num_agpr, 0
	.set _ZN7rocprim17ROCPRIM_400000_NS6detail17trampoline_kernelINS0_14default_configENS1_21merge_config_selectorINS0_5tupleIJiiEEENS0_10empty_typeEEEZNS1_10merge_implIS3_NS0_12zip_iteratorINS5_IJN6thrust23THRUST_200600_302600_NS6detail15normal_iteratorINSC_10device_ptrIKiEEEESI_EEEEESK_NSA_INS5_IJNSC_16discard_iteratorINSC_11use_defaultEEESN_EEEEEPS7_SQ_SQ_NSC_11hip_rocprim7__merge17predicate_wrapperIiiNSC_4lessIiEEEEEE10hipError_tPvRmT0_T1_T2_T3_T4_T5_mmT6_P12ihipStream_tbEUlT_E0_NS1_11comp_targetILNS1_3genE5ELNS1_11target_archE942ELNS1_3gpuE9ELNS1_3repE0EEENS1_30default_config_static_selectorELNS0_4arch9wavefront6targetE0EEEvS11_.numbered_sgpr, 0
	.set _ZN7rocprim17ROCPRIM_400000_NS6detail17trampoline_kernelINS0_14default_configENS1_21merge_config_selectorINS0_5tupleIJiiEEENS0_10empty_typeEEEZNS1_10merge_implIS3_NS0_12zip_iteratorINS5_IJN6thrust23THRUST_200600_302600_NS6detail15normal_iteratorINSC_10device_ptrIKiEEEESI_EEEEESK_NSA_INS5_IJNSC_16discard_iteratorINSC_11use_defaultEEESN_EEEEEPS7_SQ_SQ_NSC_11hip_rocprim7__merge17predicate_wrapperIiiNSC_4lessIiEEEEEE10hipError_tPvRmT0_T1_T2_T3_T4_T5_mmT6_P12ihipStream_tbEUlT_E0_NS1_11comp_targetILNS1_3genE5ELNS1_11target_archE942ELNS1_3gpuE9ELNS1_3repE0EEENS1_30default_config_static_selectorELNS0_4arch9wavefront6targetE0EEEvS11_.num_named_barrier, 0
	.set _ZN7rocprim17ROCPRIM_400000_NS6detail17trampoline_kernelINS0_14default_configENS1_21merge_config_selectorINS0_5tupleIJiiEEENS0_10empty_typeEEEZNS1_10merge_implIS3_NS0_12zip_iteratorINS5_IJN6thrust23THRUST_200600_302600_NS6detail15normal_iteratorINSC_10device_ptrIKiEEEESI_EEEEESK_NSA_INS5_IJNSC_16discard_iteratorINSC_11use_defaultEEESN_EEEEEPS7_SQ_SQ_NSC_11hip_rocprim7__merge17predicate_wrapperIiiNSC_4lessIiEEEEEE10hipError_tPvRmT0_T1_T2_T3_T4_T5_mmT6_P12ihipStream_tbEUlT_E0_NS1_11comp_targetILNS1_3genE5ELNS1_11target_archE942ELNS1_3gpuE9ELNS1_3repE0EEENS1_30default_config_static_selectorELNS0_4arch9wavefront6targetE0EEEvS11_.private_seg_size, 0
	.set _ZN7rocprim17ROCPRIM_400000_NS6detail17trampoline_kernelINS0_14default_configENS1_21merge_config_selectorINS0_5tupleIJiiEEENS0_10empty_typeEEEZNS1_10merge_implIS3_NS0_12zip_iteratorINS5_IJN6thrust23THRUST_200600_302600_NS6detail15normal_iteratorINSC_10device_ptrIKiEEEESI_EEEEESK_NSA_INS5_IJNSC_16discard_iteratorINSC_11use_defaultEEESN_EEEEEPS7_SQ_SQ_NSC_11hip_rocprim7__merge17predicate_wrapperIiiNSC_4lessIiEEEEEE10hipError_tPvRmT0_T1_T2_T3_T4_T5_mmT6_P12ihipStream_tbEUlT_E0_NS1_11comp_targetILNS1_3genE5ELNS1_11target_archE942ELNS1_3gpuE9ELNS1_3repE0EEENS1_30default_config_static_selectorELNS0_4arch9wavefront6targetE0EEEvS11_.uses_vcc, 0
	.set _ZN7rocprim17ROCPRIM_400000_NS6detail17trampoline_kernelINS0_14default_configENS1_21merge_config_selectorINS0_5tupleIJiiEEENS0_10empty_typeEEEZNS1_10merge_implIS3_NS0_12zip_iteratorINS5_IJN6thrust23THRUST_200600_302600_NS6detail15normal_iteratorINSC_10device_ptrIKiEEEESI_EEEEESK_NSA_INS5_IJNSC_16discard_iteratorINSC_11use_defaultEEESN_EEEEEPS7_SQ_SQ_NSC_11hip_rocprim7__merge17predicate_wrapperIiiNSC_4lessIiEEEEEE10hipError_tPvRmT0_T1_T2_T3_T4_T5_mmT6_P12ihipStream_tbEUlT_E0_NS1_11comp_targetILNS1_3genE5ELNS1_11target_archE942ELNS1_3gpuE9ELNS1_3repE0EEENS1_30default_config_static_selectorELNS0_4arch9wavefront6targetE0EEEvS11_.uses_flat_scratch, 0
	.set _ZN7rocprim17ROCPRIM_400000_NS6detail17trampoline_kernelINS0_14default_configENS1_21merge_config_selectorINS0_5tupleIJiiEEENS0_10empty_typeEEEZNS1_10merge_implIS3_NS0_12zip_iteratorINS5_IJN6thrust23THRUST_200600_302600_NS6detail15normal_iteratorINSC_10device_ptrIKiEEEESI_EEEEESK_NSA_INS5_IJNSC_16discard_iteratorINSC_11use_defaultEEESN_EEEEEPS7_SQ_SQ_NSC_11hip_rocprim7__merge17predicate_wrapperIiiNSC_4lessIiEEEEEE10hipError_tPvRmT0_T1_T2_T3_T4_T5_mmT6_P12ihipStream_tbEUlT_E0_NS1_11comp_targetILNS1_3genE5ELNS1_11target_archE942ELNS1_3gpuE9ELNS1_3repE0EEENS1_30default_config_static_selectorELNS0_4arch9wavefront6targetE0EEEvS11_.has_dyn_sized_stack, 0
	.set _ZN7rocprim17ROCPRIM_400000_NS6detail17trampoline_kernelINS0_14default_configENS1_21merge_config_selectorINS0_5tupleIJiiEEENS0_10empty_typeEEEZNS1_10merge_implIS3_NS0_12zip_iteratorINS5_IJN6thrust23THRUST_200600_302600_NS6detail15normal_iteratorINSC_10device_ptrIKiEEEESI_EEEEESK_NSA_INS5_IJNSC_16discard_iteratorINSC_11use_defaultEEESN_EEEEEPS7_SQ_SQ_NSC_11hip_rocprim7__merge17predicate_wrapperIiiNSC_4lessIiEEEEEE10hipError_tPvRmT0_T1_T2_T3_T4_T5_mmT6_P12ihipStream_tbEUlT_E0_NS1_11comp_targetILNS1_3genE5ELNS1_11target_archE942ELNS1_3gpuE9ELNS1_3repE0EEENS1_30default_config_static_selectorELNS0_4arch9wavefront6targetE0EEEvS11_.has_recursion, 0
	.set _ZN7rocprim17ROCPRIM_400000_NS6detail17trampoline_kernelINS0_14default_configENS1_21merge_config_selectorINS0_5tupleIJiiEEENS0_10empty_typeEEEZNS1_10merge_implIS3_NS0_12zip_iteratorINS5_IJN6thrust23THRUST_200600_302600_NS6detail15normal_iteratorINSC_10device_ptrIKiEEEESI_EEEEESK_NSA_INS5_IJNSC_16discard_iteratorINSC_11use_defaultEEESN_EEEEEPS7_SQ_SQ_NSC_11hip_rocprim7__merge17predicate_wrapperIiiNSC_4lessIiEEEEEE10hipError_tPvRmT0_T1_T2_T3_T4_T5_mmT6_P12ihipStream_tbEUlT_E0_NS1_11comp_targetILNS1_3genE5ELNS1_11target_archE942ELNS1_3gpuE9ELNS1_3repE0EEENS1_30default_config_static_selectorELNS0_4arch9wavefront6targetE0EEEvS11_.has_indirect_call, 0
	.section	.AMDGPU.csdata,"",@progbits
; Kernel info:
; codeLenInByte = 0
; TotalNumSgprs: 0
; NumVgprs: 0
; ScratchSize: 0
; MemoryBound: 0
; FloatMode: 240
; IeeeMode: 1
; LDSByteSize: 0 bytes/workgroup (compile time only)
; SGPRBlocks: 0
; VGPRBlocks: 0
; NumSGPRsForWavesPerEU: 1
; NumVGPRsForWavesPerEU: 1
; Occupancy: 16
; WaveLimiterHint : 0
; COMPUTE_PGM_RSRC2:SCRATCH_EN: 0
; COMPUTE_PGM_RSRC2:USER_SGPR: 6
; COMPUTE_PGM_RSRC2:TRAP_HANDLER: 0
; COMPUTE_PGM_RSRC2:TGID_X_EN: 1
; COMPUTE_PGM_RSRC2:TGID_Y_EN: 0
; COMPUTE_PGM_RSRC2:TGID_Z_EN: 0
; COMPUTE_PGM_RSRC2:TIDIG_COMP_CNT: 0
	.section	.text._ZN7rocprim17ROCPRIM_400000_NS6detail17trampoline_kernelINS0_14default_configENS1_21merge_config_selectorINS0_5tupleIJiiEEENS0_10empty_typeEEEZNS1_10merge_implIS3_NS0_12zip_iteratorINS5_IJN6thrust23THRUST_200600_302600_NS6detail15normal_iteratorINSC_10device_ptrIKiEEEESI_EEEEESK_NSA_INS5_IJNSC_16discard_iteratorINSC_11use_defaultEEESN_EEEEEPS7_SQ_SQ_NSC_11hip_rocprim7__merge17predicate_wrapperIiiNSC_4lessIiEEEEEE10hipError_tPvRmT0_T1_T2_T3_T4_T5_mmT6_P12ihipStream_tbEUlT_E0_NS1_11comp_targetILNS1_3genE4ELNS1_11target_archE910ELNS1_3gpuE8ELNS1_3repE0EEENS1_30default_config_static_selectorELNS0_4arch9wavefront6targetE0EEEvS11_,"axG",@progbits,_ZN7rocprim17ROCPRIM_400000_NS6detail17trampoline_kernelINS0_14default_configENS1_21merge_config_selectorINS0_5tupleIJiiEEENS0_10empty_typeEEEZNS1_10merge_implIS3_NS0_12zip_iteratorINS5_IJN6thrust23THRUST_200600_302600_NS6detail15normal_iteratorINSC_10device_ptrIKiEEEESI_EEEEESK_NSA_INS5_IJNSC_16discard_iteratorINSC_11use_defaultEEESN_EEEEEPS7_SQ_SQ_NSC_11hip_rocprim7__merge17predicate_wrapperIiiNSC_4lessIiEEEEEE10hipError_tPvRmT0_T1_T2_T3_T4_T5_mmT6_P12ihipStream_tbEUlT_E0_NS1_11comp_targetILNS1_3genE4ELNS1_11target_archE910ELNS1_3gpuE8ELNS1_3repE0EEENS1_30default_config_static_selectorELNS0_4arch9wavefront6targetE0EEEvS11_,comdat
	.protected	_ZN7rocprim17ROCPRIM_400000_NS6detail17trampoline_kernelINS0_14default_configENS1_21merge_config_selectorINS0_5tupleIJiiEEENS0_10empty_typeEEEZNS1_10merge_implIS3_NS0_12zip_iteratorINS5_IJN6thrust23THRUST_200600_302600_NS6detail15normal_iteratorINSC_10device_ptrIKiEEEESI_EEEEESK_NSA_INS5_IJNSC_16discard_iteratorINSC_11use_defaultEEESN_EEEEEPS7_SQ_SQ_NSC_11hip_rocprim7__merge17predicate_wrapperIiiNSC_4lessIiEEEEEE10hipError_tPvRmT0_T1_T2_T3_T4_T5_mmT6_P12ihipStream_tbEUlT_E0_NS1_11comp_targetILNS1_3genE4ELNS1_11target_archE910ELNS1_3gpuE8ELNS1_3repE0EEENS1_30default_config_static_selectorELNS0_4arch9wavefront6targetE0EEEvS11_ ; -- Begin function _ZN7rocprim17ROCPRIM_400000_NS6detail17trampoline_kernelINS0_14default_configENS1_21merge_config_selectorINS0_5tupleIJiiEEENS0_10empty_typeEEEZNS1_10merge_implIS3_NS0_12zip_iteratorINS5_IJN6thrust23THRUST_200600_302600_NS6detail15normal_iteratorINSC_10device_ptrIKiEEEESI_EEEEESK_NSA_INS5_IJNSC_16discard_iteratorINSC_11use_defaultEEESN_EEEEEPS7_SQ_SQ_NSC_11hip_rocprim7__merge17predicate_wrapperIiiNSC_4lessIiEEEEEE10hipError_tPvRmT0_T1_T2_T3_T4_T5_mmT6_P12ihipStream_tbEUlT_E0_NS1_11comp_targetILNS1_3genE4ELNS1_11target_archE910ELNS1_3gpuE8ELNS1_3repE0EEENS1_30default_config_static_selectorELNS0_4arch9wavefront6targetE0EEEvS11_
	.globl	_ZN7rocprim17ROCPRIM_400000_NS6detail17trampoline_kernelINS0_14default_configENS1_21merge_config_selectorINS0_5tupleIJiiEEENS0_10empty_typeEEEZNS1_10merge_implIS3_NS0_12zip_iteratorINS5_IJN6thrust23THRUST_200600_302600_NS6detail15normal_iteratorINSC_10device_ptrIKiEEEESI_EEEEESK_NSA_INS5_IJNSC_16discard_iteratorINSC_11use_defaultEEESN_EEEEEPS7_SQ_SQ_NSC_11hip_rocprim7__merge17predicate_wrapperIiiNSC_4lessIiEEEEEE10hipError_tPvRmT0_T1_T2_T3_T4_T5_mmT6_P12ihipStream_tbEUlT_E0_NS1_11comp_targetILNS1_3genE4ELNS1_11target_archE910ELNS1_3gpuE8ELNS1_3repE0EEENS1_30default_config_static_selectorELNS0_4arch9wavefront6targetE0EEEvS11_
	.p2align	8
	.type	_ZN7rocprim17ROCPRIM_400000_NS6detail17trampoline_kernelINS0_14default_configENS1_21merge_config_selectorINS0_5tupleIJiiEEENS0_10empty_typeEEEZNS1_10merge_implIS3_NS0_12zip_iteratorINS5_IJN6thrust23THRUST_200600_302600_NS6detail15normal_iteratorINSC_10device_ptrIKiEEEESI_EEEEESK_NSA_INS5_IJNSC_16discard_iteratorINSC_11use_defaultEEESN_EEEEEPS7_SQ_SQ_NSC_11hip_rocprim7__merge17predicate_wrapperIiiNSC_4lessIiEEEEEE10hipError_tPvRmT0_T1_T2_T3_T4_T5_mmT6_P12ihipStream_tbEUlT_E0_NS1_11comp_targetILNS1_3genE4ELNS1_11target_archE910ELNS1_3gpuE8ELNS1_3repE0EEENS1_30default_config_static_selectorELNS0_4arch9wavefront6targetE0EEEvS11_,@function
_ZN7rocprim17ROCPRIM_400000_NS6detail17trampoline_kernelINS0_14default_configENS1_21merge_config_selectorINS0_5tupleIJiiEEENS0_10empty_typeEEEZNS1_10merge_implIS3_NS0_12zip_iteratorINS5_IJN6thrust23THRUST_200600_302600_NS6detail15normal_iteratorINSC_10device_ptrIKiEEEESI_EEEEESK_NSA_INS5_IJNSC_16discard_iteratorINSC_11use_defaultEEESN_EEEEEPS7_SQ_SQ_NSC_11hip_rocprim7__merge17predicate_wrapperIiiNSC_4lessIiEEEEEE10hipError_tPvRmT0_T1_T2_T3_T4_T5_mmT6_P12ihipStream_tbEUlT_E0_NS1_11comp_targetILNS1_3genE4ELNS1_11target_archE910ELNS1_3gpuE8ELNS1_3repE0EEENS1_30default_config_static_selectorELNS0_4arch9wavefront6targetE0EEEvS11_: ; @_ZN7rocprim17ROCPRIM_400000_NS6detail17trampoline_kernelINS0_14default_configENS1_21merge_config_selectorINS0_5tupleIJiiEEENS0_10empty_typeEEEZNS1_10merge_implIS3_NS0_12zip_iteratorINS5_IJN6thrust23THRUST_200600_302600_NS6detail15normal_iteratorINSC_10device_ptrIKiEEEESI_EEEEESK_NSA_INS5_IJNSC_16discard_iteratorINSC_11use_defaultEEESN_EEEEEPS7_SQ_SQ_NSC_11hip_rocprim7__merge17predicate_wrapperIiiNSC_4lessIiEEEEEE10hipError_tPvRmT0_T1_T2_T3_T4_T5_mmT6_P12ihipStream_tbEUlT_E0_NS1_11comp_targetILNS1_3genE4ELNS1_11target_archE910ELNS1_3gpuE8ELNS1_3repE0EEENS1_30default_config_static_selectorELNS0_4arch9wavefront6targetE0EEEvS11_
; %bb.0:
	.section	.rodata,"a",@progbits
	.p2align	6, 0x0
	.amdhsa_kernel _ZN7rocprim17ROCPRIM_400000_NS6detail17trampoline_kernelINS0_14default_configENS1_21merge_config_selectorINS0_5tupleIJiiEEENS0_10empty_typeEEEZNS1_10merge_implIS3_NS0_12zip_iteratorINS5_IJN6thrust23THRUST_200600_302600_NS6detail15normal_iteratorINSC_10device_ptrIKiEEEESI_EEEEESK_NSA_INS5_IJNSC_16discard_iteratorINSC_11use_defaultEEESN_EEEEEPS7_SQ_SQ_NSC_11hip_rocprim7__merge17predicate_wrapperIiiNSC_4lessIiEEEEEE10hipError_tPvRmT0_T1_T2_T3_T4_T5_mmT6_P12ihipStream_tbEUlT_E0_NS1_11comp_targetILNS1_3genE4ELNS1_11target_archE910ELNS1_3gpuE8ELNS1_3repE0EEENS1_30default_config_static_selectorELNS0_4arch9wavefront6targetE0EEEvS11_
		.amdhsa_group_segment_fixed_size 0
		.amdhsa_private_segment_fixed_size 0
		.amdhsa_kernarg_size 128
		.amdhsa_user_sgpr_count 6
		.amdhsa_user_sgpr_private_segment_buffer 1
		.amdhsa_user_sgpr_dispatch_ptr 0
		.amdhsa_user_sgpr_queue_ptr 0
		.amdhsa_user_sgpr_kernarg_segment_ptr 1
		.amdhsa_user_sgpr_dispatch_id 0
		.amdhsa_user_sgpr_flat_scratch_init 0
		.amdhsa_user_sgpr_private_segment_size 0
		.amdhsa_wavefront_size32 1
		.amdhsa_uses_dynamic_stack 0
		.amdhsa_system_sgpr_private_segment_wavefront_offset 0
		.amdhsa_system_sgpr_workgroup_id_x 1
		.amdhsa_system_sgpr_workgroup_id_y 0
		.amdhsa_system_sgpr_workgroup_id_z 0
		.amdhsa_system_sgpr_workgroup_info 0
		.amdhsa_system_vgpr_workitem_id 0
		.amdhsa_next_free_vgpr 1
		.amdhsa_next_free_sgpr 1
		.amdhsa_reserve_vcc 0
		.amdhsa_reserve_flat_scratch 0
		.amdhsa_float_round_mode_32 0
		.amdhsa_float_round_mode_16_64 0
		.amdhsa_float_denorm_mode_32 3
		.amdhsa_float_denorm_mode_16_64 3
		.amdhsa_dx10_clamp 1
		.amdhsa_ieee_mode 1
		.amdhsa_fp16_overflow 0
		.amdhsa_workgroup_processor_mode 1
		.amdhsa_memory_ordered 1
		.amdhsa_forward_progress 1
		.amdhsa_shared_vgpr_count 0
		.amdhsa_exception_fp_ieee_invalid_op 0
		.amdhsa_exception_fp_denorm_src 0
		.amdhsa_exception_fp_ieee_div_zero 0
		.amdhsa_exception_fp_ieee_overflow 0
		.amdhsa_exception_fp_ieee_underflow 0
		.amdhsa_exception_fp_ieee_inexact 0
		.amdhsa_exception_int_div_zero 0
	.end_amdhsa_kernel
	.section	.text._ZN7rocprim17ROCPRIM_400000_NS6detail17trampoline_kernelINS0_14default_configENS1_21merge_config_selectorINS0_5tupleIJiiEEENS0_10empty_typeEEEZNS1_10merge_implIS3_NS0_12zip_iteratorINS5_IJN6thrust23THRUST_200600_302600_NS6detail15normal_iteratorINSC_10device_ptrIKiEEEESI_EEEEESK_NSA_INS5_IJNSC_16discard_iteratorINSC_11use_defaultEEESN_EEEEEPS7_SQ_SQ_NSC_11hip_rocprim7__merge17predicate_wrapperIiiNSC_4lessIiEEEEEE10hipError_tPvRmT0_T1_T2_T3_T4_T5_mmT6_P12ihipStream_tbEUlT_E0_NS1_11comp_targetILNS1_3genE4ELNS1_11target_archE910ELNS1_3gpuE8ELNS1_3repE0EEENS1_30default_config_static_selectorELNS0_4arch9wavefront6targetE0EEEvS11_,"axG",@progbits,_ZN7rocprim17ROCPRIM_400000_NS6detail17trampoline_kernelINS0_14default_configENS1_21merge_config_selectorINS0_5tupleIJiiEEENS0_10empty_typeEEEZNS1_10merge_implIS3_NS0_12zip_iteratorINS5_IJN6thrust23THRUST_200600_302600_NS6detail15normal_iteratorINSC_10device_ptrIKiEEEESI_EEEEESK_NSA_INS5_IJNSC_16discard_iteratorINSC_11use_defaultEEESN_EEEEEPS7_SQ_SQ_NSC_11hip_rocprim7__merge17predicate_wrapperIiiNSC_4lessIiEEEEEE10hipError_tPvRmT0_T1_T2_T3_T4_T5_mmT6_P12ihipStream_tbEUlT_E0_NS1_11comp_targetILNS1_3genE4ELNS1_11target_archE910ELNS1_3gpuE8ELNS1_3repE0EEENS1_30default_config_static_selectorELNS0_4arch9wavefront6targetE0EEEvS11_,comdat
.Lfunc_end598:
	.size	_ZN7rocprim17ROCPRIM_400000_NS6detail17trampoline_kernelINS0_14default_configENS1_21merge_config_selectorINS0_5tupleIJiiEEENS0_10empty_typeEEEZNS1_10merge_implIS3_NS0_12zip_iteratorINS5_IJN6thrust23THRUST_200600_302600_NS6detail15normal_iteratorINSC_10device_ptrIKiEEEESI_EEEEESK_NSA_INS5_IJNSC_16discard_iteratorINSC_11use_defaultEEESN_EEEEEPS7_SQ_SQ_NSC_11hip_rocprim7__merge17predicate_wrapperIiiNSC_4lessIiEEEEEE10hipError_tPvRmT0_T1_T2_T3_T4_T5_mmT6_P12ihipStream_tbEUlT_E0_NS1_11comp_targetILNS1_3genE4ELNS1_11target_archE910ELNS1_3gpuE8ELNS1_3repE0EEENS1_30default_config_static_selectorELNS0_4arch9wavefront6targetE0EEEvS11_, .Lfunc_end598-_ZN7rocprim17ROCPRIM_400000_NS6detail17trampoline_kernelINS0_14default_configENS1_21merge_config_selectorINS0_5tupleIJiiEEENS0_10empty_typeEEEZNS1_10merge_implIS3_NS0_12zip_iteratorINS5_IJN6thrust23THRUST_200600_302600_NS6detail15normal_iteratorINSC_10device_ptrIKiEEEESI_EEEEESK_NSA_INS5_IJNSC_16discard_iteratorINSC_11use_defaultEEESN_EEEEEPS7_SQ_SQ_NSC_11hip_rocprim7__merge17predicate_wrapperIiiNSC_4lessIiEEEEEE10hipError_tPvRmT0_T1_T2_T3_T4_T5_mmT6_P12ihipStream_tbEUlT_E0_NS1_11comp_targetILNS1_3genE4ELNS1_11target_archE910ELNS1_3gpuE8ELNS1_3repE0EEENS1_30default_config_static_selectorELNS0_4arch9wavefront6targetE0EEEvS11_
                                        ; -- End function
	.set _ZN7rocprim17ROCPRIM_400000_NS6detail17trampoline_kernelINS0_14default_configENS1_21merge_config_selectorINS0_5tupleIJiiEEENS0_10empty_typeEEEZNS1_10merge_implIS3_NS0_12zip_iteratorINS5_IJN6thrust23THRUST_200600_302600_NS6detail15normal_iteratorINSC_10device_ptrIKiEEEESI_EEEEESK_NSA_INS5_IJNSC_16discard_iteratorINSC_11use_defaultEEESN_EEEEEPS7_SQ_SQ_NSC_11hip_rocprim7__merge17predicate_wrapperIiiNSC_4lessIiEEEEEE10hipError_tPvRmT0_T1_T2_T3_T4_T5_mmT6_P12ihipStream_tbEUlT_E0_NS1_11comp_targetILNS1_3genE4ELNS1_11target_archE910ELNS1_3gpuE8ELNS1_3repE0EEENS1_30default_config_static_selectorELNS0_4arch9wavefront6targetE0EEEvS11_.num_vgpr, 0
	.set _ZN7rocprim17ROCPRIM_400000_NS6detail17trampoline_kernelINS0_14default_configENS1_21merge_config_selectorINS0_5tupleIJiiEEENS0_10empty_typeEEEZNS1_10merge_implIS3_NS0_12zip_iteratorINS5_IJN6thrust23THRUST_200600_302600_NS6detail15normal_iteratorINSC_10device_ptrIKiEEEESI_EEEEESK_NSA_INS5_IJNSC_16discard_iteratorINSC_11use_defaultEEESN_EEEEEPS7_SQ_SQ_NSC_11hip_rocprim7__merge17predicate_wrapperIiiNSC_4lessIiEEEEEE10hipError_tPvRmT0_T1_T2_T3_T4_T5_mmT6_P12ihipStream_tbEUlT_E0_NS1_11comp_targetILNS1_3genE4ELNS1_11target_archE910ELNS1_3gpuE8ELNS1_3repE0EEENS1_30default_config_static_selectorELNS0_4arch9wavefront6targetE0EEEvS11_.num_agpr, 0
	.set _ZN7rocprim17ROCPRIM_400000_NS6detail17trampoline_kernelINS0_14default_configENS1_21merge_config_selectorINS0_5tupleIJiiEEENS0_10empty_typeEEEZNS1_10merge_implIS3_NS0_12zip_iteratorINS5_IJN6thrust23THRUST_200600_302600_NS6detail15normal_iteratorINSC_10device_ptrIKiEEEESI_EEEEESK_NSA_INS5_IJNSC_16discard_iteratorINSC_11use_defaultEEESN_EEEEEPS7_SQ_SQ_NSC_11hip_rocprim7__merge17predicate_wrapperIiiNSC_4lessIiEEEEEE10hipError_tPvRmT0_T1_T2_T3_T4_T5_mmT6_P12ihipStream_tbEUlT_E0_NS1_11comp_targetILNS1_3genE4ELNS1_11target_archE910ELNS1_3gpuE8ELNS1_3repE0EEENS1_30default_config_static_selectorELNS0_4arch9wavefront6targetE0EEEvS11_.numbered_sgpr, 0
	.set _ZN7rocprim17ROCPRIM_400000_NS6detail17trampoline_kernelINS0_14default_configENS1_21merge_config_selectorINS0_5tupleIJiiEEENS0_10empty_typeEEEZNS1_10merge_implIS3_NS0_12zip_iteratorINS5_IJN6thrust23THRUST_200600_302600_NS6detail15normal_iteratorINSC_10device_ptrIKiEEEESI_EEEEESK_NSA_INS5_IJNSC_16discard_iteratorINSC_11use_defaultEEESN_EEEEEPS7_SQ_SQ_NSC_11hip_rocprim7__merge17predicate_wrapperIiiNSC_4lessIiEEEEEE10hipError_tPvRmT0_T1_T2_T3_T4_T5_mmT6_P12ihipStream_tbEUlT_E0_NS1_11comp_targetILNS1_3genE4ELNS1_11target_archE910ELNS1_3gpuE8ELNS1_3repE0EEENS1_30default_config_static_selectorELNS0_4arch9wavefront6targetE0EEEvS11_.num_named_barrier, 0
	.set _ZN7rocprim17ROCPRIM_400000_NS6detail17trampoline_kernelINS0_14default_configENS1_21merge_config_selectorINS0_5tupleIJiiEEENS0_10empty_typeEEEZNS1_10merge_implIS3_NS0_12zip_iteratorINS5_IJN6thrust23THRUST_200600_302600_NS6detail15normal_iteratorINSC_10device_ptrIKiEEEESI_EEEEESK_NSA_INS5_IJNSC_16discard_iteratorINSC_11use_defaultEEESN_EEEEEPS7_SQ_SQ_NSC_11hip_rocprim7__merge17predicate_wrapperIiiNSC_4lessIiEEEEEE10hipError_tPvRmT0_T1_T2_T3_T4_T5_mmT6_P12ihipStream_tbEUlT_E0_NS1_11comp_targetILNS1_3genE4ELNS1_11target_archE910ELNS1_3gpuE8ELNS1_3repE0EEENS1_30default_config_static_selectorELNS0_4arch9wavefront6targetE0EEEvS11_.private_seg_size, 0
	.set _ZN7rocprim17ROCPRIM_400000_NS6detail17trampoline_kernelINS0_14default_configENS1_21merge_config_selectorINS0_5tupleIJiiEEENS0_10empty_typeEEEZNS1_10merge_implIS3_NS0_12zip_iteratorINS5_IJN6thrust23THRUST_200600_302600_NS6detail15normal_iteratorINSC_10device_ptrIKiEEEESI_EEEEESK_NSA_INS5_IJNSC_16discard_iteratorINSC_11use_defaultEEESN_EEEEEPS7_SQ_SQ_NSC_11hip_rocprim7__merge17predicate_wrapperIiiNSC_4lessIiEEEEEE10hipError_tPvRmT0_T1_T2_T3_T4_T5_mmT6_P12ihipStream_tbEUlT_E0_NS1_11comp_targetILNS1_3genE4ELNS1_11target_archE910ELNS1_3gpuE8ELNS1_3repE0EEENS1_30default_config_static_selectorELNS0_4arch9wavefront6targetE0EEEvS11_.uses_vcc, 0
	.set _ZN7rocprim17ROCPRIM_400000_NS6detail17trampoline_kernelINS0_14default_configENS1_21merge_config_selectorINS0_5tupleIJiiEEENS0_10empty_typeEEEZNS1_10merge_implIS3_NS0_12zip_iteratorINS5_IJN6thrust23THRUST_200600_302600_NS6detail15normal_iteratorINSC_10device_ptrIKiEEEESI_EEEEESK_NSA_INS5_IJNSC_16discard_iteratorINSC_11use_defaultEEESN_EEEEEPS7_SQ_SQ_NSC_11hip_rocprim7__merge17predicate_wrapperIiiNSC_4lessIiEEEEEE10hipError_tPvRmT0_T1_T2_T3_T4_T5_mmT6_P12ihipStream_tbEUlT_E0_NS1_11comp_targetILNS1_3genE4ELNS1_11target_archE910ELNS1_3gpuE8ELNS1_3repE0EEENS1_30default_config_static_selectorELNS0_4arch9wavefront6targetE0EEEvS11_.uses_flat_scratch, 0
	.set _ZN7rocprim17ROCPRIM_400000_NS6detail17trampoline_kernelINS0_14default_configENS1_21merge_config_selectorINS0_5tupleIJiiEEENS0_10empty_typeEEEZNS1_10merge_implIS3_NS0_12zip_iteratorINS5_IJN6thrust23THRUST_200600_302600_NS6detail15normal_iteratorINSC_10device_ptrIKiEEEESI_EEEEESK_NSA_INS5_IJNSC_16discard_iteratorINSC_11use_defaultEEESN_EEEEEPS7_SQ_SQ_NSC_11hip_rocprim7__merge17predicate_wrapperIiiNSC_4lessIiEEEEEE10hipError_tPvRmT0_T1_T2_T3_T4_T5_mmT6_P12ihipStream_tbEUlT_E0_NS1_11comp_targetILNS1_3genE4ELNS1_11target_archE910ELNS1_3gpuE8ELNS1_3repE0EEENS1_30default_config_static_selectorELNS0_4arch9wavefront6targetE0EEEvS11_.has_dyn_sized_stack, 0
	.set _ZN7rocprim17ROCPRIM_400000_NS6detail17trampoline_kernelINS0_14default_configENS1_21merge_config_selectorINS0_5tupleIJiiEEENS0_10empty_typeEEEZNS1_10merge_implIS3_NS0_12zip_iteratorINS5_IJN6thrust23THRUST_200600_302600_NS6detail15normal_iteratorINSC_10device_ptrIKiEEEESI_EEEEESK_NSA_INS5_IJNSC_16discard_iteratorINSC_11use_defaultEEESN_EEEEEPS7_SQ_SQ_NSC_11hip_rocprim7__merge17predicate_wrapperIiiNSC_4lessIiEEEEEE10hipError_tPvRmT0_T1_T2_T3_T4_T5_mmT6_P12ihipStream_tbEUlT_E0_NS1_11comp_targetILNS1_3genE4ELNS1_11target_archE910ELNS1_3gpuE8ELNS1_3repE0EEENS1_30default_config_static_selectorELNS0_4arch9wavefront6targetE0EEEvS11_.has_recursion, 0
	.set _ZN7rocprim17ROCPRIM_400000_NS6detail17trampoline_kernelINS0_14default_configENS1_21merge_config_selectorINS0_5tupleIJiiEEENS0_10empty_typeEEEZNS1_10merge_implIS3_NS0_12zip_iteratorINS5_IJN6thrust23THRUST_200600_302600_NS6detail15normal_iteratorINSC_10device_ptrIKiEEEESI_EEEEESK_NSA_INS5_IJNSC_16discard_iteratorINSC_11use_defaultEEESN_EEEEEPS7_SQ_SQ_NSC_11hip_rocprim7__merge17predicate_wrapperIiiNSC_4lessIiEEEEEE10hipError_tPvRmT0_T1_T2_T3_T4_T5_mmT6_P12ihipStream_tbEUlT_E0_NS1_11comp_targetILNS1_3genE4ELNS1_11target_archE910ELNS1_3gpuE8ELNS1_3repE0EEENS1_30default_config_static_selectorELNS0_4arch9wavefront6targetE0EEEvS11_.has_indirect_call, 0
	.section	.AMDGPU.csdata,"",@progbits
; Kernel info:
; codeLenInByte = 0
; TotalNumSgprs: 0
; NumVgprs: 0
; ScratchSize: 0
; MemoryBound: 0
; FloatMode: 240
; IeeeMode: 1
; LDSByteSize: 0 bytes/workgroup (compile time only)
; SGPRBlocks: 0
; VGPRBlocks: 0
; NumSGPRsForWavesPerEU: 1
; NumVGPRsForWavesPerEU: 1
; Occupancy: 16
; WaveLimiterHint : 0
; COMPUTE_PGM_RSRC2:SCRATCH_EN: 0
; COMPUTE_PGM_RSRC2:USER_SGPR: 6
; COMPUTE_PGM_RSRC2:TRAP_HANDLER: 0
; COMPUTE_PGM_RSRC2:TGID_X_EN: 1
; COMPUTE_PGM_RSRC2:TGID_Y_EN: 0
; COMPUTE_PGM_RSRC2:TGID_Z_EN: 0
; COMPUTE_PGM_RSRC2:TIDIG_COMP_CNT: 0
	.section	.text._ZN7rocprim17ROCPRIM_400000_NS6detail17trampoline_kernelINS0_14default_configENS1_21merge_config_selectorINS0_5tupleIJiiEEENS0_10empty_typeEEEZNS1_10merge_implIS3_NS0_12zip_iteratorINS5_IJN6thrust23THRUST_200600_302600_NS6detail15normal_iteratorINSC_10device_ptrIKiEEEESI_EEEEESK_NSA_INS5_IJNSC_16discard_iteratorINSC_11use_defaultEEESN_EEEEEPS7_SQ_SQ_NSC_11hip_rocprim7__merge17predicate_wrapperIiiNSC_4lessIiEEEEEE10hipError_tPvRmT0_T1_T2_T3_T4_T5_mmT6_P12ihipStream_tbEUlT_E0_NS1_11comp_targetILNS1_3genE3ELNS1_11target_archE908ELNS1_3gpuE7ELNS1_3repE0EEENS1_30default_config_static_selectorELNS0_4arch9wavefront6targetE0EEEvS11_,"axG",@progbits,_ZN7rocprim17ROCPRIM_400000_NS6detail17trampoline_kernelINS0_14default_configENS1_21merge_config_selectorINS0_5tupleIJiiEEENS0_10empty_typeEEEZNS1_10merge_implIS3_NS0_12zip_iteratorINS5_IJN6thrust23THRUST_200600_302600_NS6detail15normal_iteratorINSC_10device_ptrIKiEEEESI_EEEEESK_NSA_INS5_IJNSC_16discard_iteratorINSC_11use_defaultEEESN_EEEEEPS7_SQ_SQ_NSC_11hip_rocprim7__merge17predicate_wrapperIiiNSC_4lessIiEEEEEE10hipError_tPvRmT0_T1_T2_T3_T4_T5_mmT6_P12ihipStream_tbEUlT_E0_NS1_11comp_targetILNS1_3genE3ELNS1_11target_archE908ELNS1_3gpuE7ELNS1_3repE0EEENS1_30default_config_static_selectorELNS0_4arch9wavefront6targetE0EEEvS11_,comdat
	.protected	_ZN7rocprim17ROCPRIM_400000_NS6detail17trampoline_kernelINS0_14default_configENS1_21merge_config_selectorINS0_5tupleIJiiEEENS0_10empty_typeEEEZNS1_10merge_implIS3_NS0_12zip_iteratorINS5_IJN6thrust23THRUST_200600_302600_NS6detail15normal_iteratorINSC_10device_ptrIKiEEEESI_EEEEESK_NSA_INS5_IJNSC_16discard_iteratorINSC_11use_defaultEEESN_EEEEEPS7_SQ_SQ_NSC_11hip_rocprim7__merge17predicate_wrapperIiiNSC_4lessIiEEEEEE10hipError_tPvRmT0_T1_T2_T3_T4_T5_mmT6_P12ihipStream_tbEUlT_E0_NS1_11comp_targetILNS1_3genE3ELNS1_11target_archE908ELNS1_3gpuE7ELNS1_3repE0EEENS1_30default_config_static_selectorELNS0_4arch9wavefront6targetE0EEEvS11_ ; -- Begin function _ZN7rocprim17ROCPRIM_400000_NS6detail17trampoline_kernelINS0_14default_configENS1_21merge_config_selectorINS0_5tupleIJiiEEENS0_10empty_typeEEEZNS1_10merge_implIS3_NS0_12zip_iteratorINS5_IJN6thrust23THRUST_200600_302600_NS6detail15normal_iteratorINSC_10device_ptrIKiEEEESI_EEEEESK_NSA_INS5_IJNSC_16discard_iteratorINSC_11use_defaultEEESN_EEEEEPS7_SQ_SQ_NSC_11hip_rocprim7__merge17predicate_wrapperIiiNSC_4lessIiEEEEEE10hipError_tPvRmT0_T1_T2_T3_T4_T5_mmT6_P12ihipStream_tbEUlT_E0_NS1_11comp_targetILNS1_3genE3ELNS1_11target_archE908ELNS1_3gpuE7ELNS1_3repE0EEENS1_30default_config_static_selectorELNS0_4arch9wavefront6targetE0EEEvS11_
	.globl	_ZN7rocprim17ROCPRIM_400000_NS6detail17trampoline_kernelINS0_14default_configENS1_21merge_config_selectorINS0_5tupleIJiiEEENS0_10empty_typeEEEZNS1_10merge_implIS3_NS0_12zip_iteratorINS5_IJN6thrust23THRUST_200600_302600_NS6detail15normal_iteratorINSC_10device_ptrIKiEEEESI_EEEEESK_NSA_INS5_IJNSC_16discard_iteratorINSC_11use_defaultEEESN_EEEEEPS7_SQ_SQ_NSC_11hip_rocprim7__merge17predicate_wrapperIiiNSC_4lessIiEEEEEE10hipError_tPvRmT0_T1_T2_T3_T4_T5_mmT6_P12ihipStream_tbEUlT_E0_NS1_11comp_targetILNS1_3genE3ELNS1_11target_archE908ELNS1_3gpuE7ELNS1_3repE0EEENS1_30default_config_static_selectorELNS0_4arch9wavefront6targetE0EEEvS11_
	.p2align	8
	.type	_ZN7rocprim17ROCPRIM_400000_NS6detail17trampoline_kernelINS0_14default_configENS1_21merge_config_selectorINS0_5tupleIJiiEEENS0_10empty_typeEEEZNS1_10merge_implIS3_NS0_12zip_iteratorINS5_IJN6thrust23THRUST_200600_302600_NS6detail15normal_iteratorINSC_10device_ptrIKiEEEESI_EEEEESK_NSA_INS5_IJNSC_16discard_iteratorINSC_11use_defaultEEESN_EEEEEPS7_SQ_SQ_NSC_11hip_rocprim7__merge17predicate_wrapperIiiNSC_4lessIiEEEEEE10hipError_tPvRmT0_T1_T2_T3_T4_T5_mmT6_P12ihipStream_tbEUlT_E0_NS1_11comp_targetILNS1_3genE3ELNS1_11target_archE908ELNS1_3gpuE7ELNS1_3repE0EEENS1_30default_config_static_selectorELNS0_4arch9wavefront6targetE0EEEvS11_,@function
_ZN7rocprim17ROCPRIM_400000_NS6detail17trampoline_kernelINS0_14default_configENS1_21merge_config_selectorINS0_5tupleIJiiEEENS0_10empty_typeEEEZNS1_10merge_implIS3_NS0_12zip_iteratorINS5_IJN6thrust23THRUST_200600_302600_NS6detail15normal_iteratorINSC_10device_ptrIKiEEEESI_EEEEESK_NSA_INS5_IJNSC_16discard_iteratorINSC_11use_defaultEEESN_EEEEEPS7_SQ_SQ_NSC_11hip_rocprim7__merge17predicate_wrapperIiiNSC_4lessIiEEEEEE10hipError_tPvRmT0_T1_T2_T3_T4_T5_mmT6_P12ihipStream_tbEUlT_E0_NS1_11comp_targetILNS1_3genE3ELNS1_11target_archE908ELNS1_3gpuE7ELNS1_3repE0EEENS1_30default_config_static_selectorELNS0_4arch9wavefront6targetE0EEEvS11_: ; @_ZN7rocprim17ROCPRIM_400000_NS6detail17trampoline_kernelINS0_14default_configENS1_21merge_config_selectorINS0_5tupleIJiiEEENS0_10empty_typeEEEZNS1_10merge_implIS3_NS0_12zip_iteratorINS5_IJN6thrust23THRUST_200600_302600_NS6detail15normal_iteratorINSC_10device_ptrIKiEEEESI_EEEEESK_NSA_INS5_IJNSC_16discard_iteratorINSC_11use_defaultEEESN_EEEEEPS7_SQ_SQ_NSC_11hip_rocprim7__merge17predicate_wrapperIiiNSC_4lessIiEEEEEE10hipError_tPvRmT0_T1_T2_T3_T4_T5_mmT6_P12ihipStream_tbEUlT_E0_NS1_11comp_targetILNS1_3genE3ELNS1_11target_archE908ELNS1_3gpuE7ELNS1_3repE0EEENS1_30default_config_static_selectorELNS0_4arch9wavefront6targetE0EEEvS11_
; %bb.0:
	.section	.rodata,"a",@progbits
	.p2align	6, 0x0
	.amdhsa_kernel _ZN7rocprim17ROCPRIM_400000_NS6detail17trampoline_kernelINS0_14default_configENS1_21merge_config_selectorINS0_5tupleIJiiEEENS0_10empty_typeEEEZNS1_10merge_implIS3_NS0_12zip_iteratorINS5_IJN6thrust23THRUST_200600_302600_NS6detail15normal_iteratorINSC_10device_ptrIKiEEEESI_EEEEESK_NSA_INS5_IJNSC_16discard_iteratorINSC_11use_defaultEEESN_EEEEEPS7_SQ_SQ_NSC_11hip_rocprim7__merge17predicate_wrapperIiiNSC_4lessIiEEEEEE10hipError_tPvRmT0_T1_T2_T3_T4_T5_mmT6_P12ihipStream_tbEUlT_E0_NS1_11comp_targetILNS1_3genE3ELNS1_11target_archE908ELNS1_3gpuE7ELNS1_3repE0EEENS1_30default_config_static_selectorELNS0_4arch9wavefront6targetE0EEEvS11_
		.amdhsa_group_segment_fixed_size 0
		.amdhsa_private_segment_fixed_size 0
		.amdhsa_kernarg_size 128
		.amdhsa_user_sgpr_count 6
		.amdhsa_user_sgpr_private_segment_buffer 1
		.amdhsa_user_sgpr_dispatch_ptr 0
		.amdhsa_user_sgpr_queue_ptr 0
		.amdhsa_user_sgpr_kernarg_segment_ptr 1
		.amdhsa_user_sgpr_dispatch_id 0
		.amdhsa_user_sgpr_flat_scratch_init 0
		.amdhsa_user_sgpr_private_segment_size 0
		.amdhsa_wavefront_size32 1
		.amdhsa_uses_dynamic_stack 0
		.amdhsa_system_sgpr_private_segment_wavefront_offset 0
		.amdhsa_system_sgpr_workgroup_id_x 1
		.amdhsa_system_sgpr_workgroup_id_y 0
		.amdhsa_system_sgpr_workgroup_id_z 0
		.amdhsa_system_sgpr_workgroup_info 0
		.amdhsa_system_vgpr_workitem_id 0
		.amdhsa_next_free_vgpr 1
		.amdhsa_next_free_sgpr 1
		.amdhsa_reserve_vcc 0
		.amdhsa_reserve_flat_scratch 0
		.amdhsa_float_round_mode_32 0
		.amdhsa_float_round_mode_16_64 0
		.amdhsa_float_denorm_mode_32 3
		.amdhsa_float_denorm_mode_16_64 3
		.amdhsa_dx10_clamp 1
		.amdhsa_ieee_mode 1
		.amdhsa_fp16_overflow 0
		.amdhsa_workgroup_processor_mode 1
		.amdhsa_memory_ordered 1
		.amdhsa_forward_progress 1
		.amdhsa_shared_vgpr_count 0
		.amdhsa_exception_fp_ieee_invalid_op 0
		.amdhsa_exception_fp_denorm_src 0
		.amdhsa_exception_fp_ieee_div_zero 0
		.amdhsa_exception_fp_ieee_overflow 0
		.amdhsa_exception_fp_ieee_underflow 0
		.amdhsa_exception_fp_ieee_inexact 0
		.amdhsa_exception_int_div_zero 0
	.end_amdhsa_kernel
	.section	.text._ZN7rocprim17ROCPRIM_400000_NS6detail17trampoline_kernelINS0_14default_configENS1_21merge_config_selectorINS0_5tupleIJiiEEENS0_10empty_typeEEEZNS1_10merge_implIS3_NS0_12zip_iteratorINS5_IJN6thrust23THRUST_200600_302600_NS6detail15normal_iteratorINSC_10device_ptrIKiEEEESI_EEEEESK_NSA_INS5_IJNSC_16discard_iteratorINSC_11use_defaultEEESN_EEEEEPS7_SQ_SQ_NSC_11hip_rocprim7__merge17predicate_wrapperIiiNSC_4lessIiEEEEEE10hipError_tPvRmT0_T1_T2_T3_T4_T5_mmT6_P12ihipStream_tbEUlT_E0_NS1_11comp_targetILNS1_3genE3ELNS1_11target_archE908ELNS1_3gpuE7ELNS1_3repE0EEENS1_30default_config_static_selectorELNS0_4arch9wavefront6targetE0EEEvS11_,"axG",@progbits,_ZN7rocprim17ROCPRIM_400000_NS6detail17trampoline_kernelINS0_14default_configENS1_21merge_config_selectorINS0_5tupleIJiiEEENS0_10empty_typeEEEZNS1_10merge_implIS3_NS0_12zip_iteratorINS5_IJN6thrust23THRUST_200600_302600_NS6detail15normal_iteratorINSC_10device_ptrIKiEEEESI_EEEEESK_NSA_INS5_IJNSC_16discard_iteratorINSC_11use_defaultEEESN_EEEEEPS7_SQ_SQ_NSC_11hip_rocprim7__merge17predicate_wrapperIiiNSC_4lessIiEEEEEE10hipError_tPvRmT0_T1_T2_T3_T4_T5_mmT6_P12ihipStream_tbEUlT_E0_NS1_11comp_targetILNS1_3genE3ELNS1_11target_archE908ELNS1_3gpuE7ELNS1_3repE0EEENS1_30default_config_static_selectorELNS0_4arch9wavefront6targetE0EEEvS11_,comdat
.Lfunc_end599:
	.size	_ZN7rocprim17ROCPRIM_400000_NS6detail17trampoline_kernelINS0_14default_configENS1_21merge_config_selectorINS0_5tupleIJiiEEENS0_10empty_typeEEEZNS1_10merge_implIS3_NS0_12zip_iteratorINS5_IJN6thrust23THRUST_200600_302600_NS6detail15normal_iteratorINSC_10device_ptrIKiEEEESI_EEEEESK_NSA_INS5_IJNSC_16discard_iteratorINSC_11use_defaultEEESN_EEEEEPS7_SQ_SQ_NSC_11hip_rocprim7__merge17predicate_wrapperIiiNSC_4lessIiEEEEEE10hipError_tPvRmT0_T1_T2_T3_T4_T5_mmT6_P12ihipStream_tbEUlT_E0_NS1_11comp_targetILNS1_3genE3ELNS1_11target_archE908ELNS1_3gpuE7ELNS1_3repE0EEENS1_30default_config_static_selectorELNS0_4arch9wavefront6targetE0EEEvS11_, .Lfunc_end599-_ZN7rocprim17ROCPRIM_400000_NS6detail17trampoline_kernelINS0_14default_configENS1_21merge_config_selectorINS0_5tupleIJiiEEENS0_10empty_typeEEEZNS1_10merge_implIS3_NS0_12zip_iteratorINS5_IJN6thrust23THRUST_200600_302600_NS6detail15normal_iteratorINSC_10device_ptrIKiEEEESI_EEEEESK_NSA_INS5_IJNSC_16discard_iteratorINSC_11use_defaultEEESN_EEEEEPS7_SQ_SQ_NSC_11hip_rocprim7__merge17predicate_wrapperIiiNSC_4lessIiEEEEEE10hipError_tPvRmT0_T1_T2_T3_T4_T5_mmT6_P12ihipStream_tbEUlT_E0_NS1_11comp_targetILNS1_3genE3ELNS1_11target_archE908ELNS1_3gpuE7ELNS1_3repE0EEENS1_30default_config_static_selectorELNS0_4arch9wavefront6targetE0EEEvS11_
                                        ; -- End function
	.set _ZN7rocprim17ROCPRIM_400000_NS6detail17trampoline_kernelINS0_14default_configENS1_21merge_config_selectorINS0_5tupleIJiiEEENS0_10empty_typeEEEZNS1_10merge_implIS3_NS0_12zip_iteratorINS5_IJN6thrust23THRUST_200600_302600_NS6detail15normal_iteratorINSC_10device_ptrIKiEEEESI_EEEEESK_NSA_INS5_IJNSC_16discard_iteratorINSC_11use_defaultEEESN_EEEEEPS7_SQ_SQ_NSC_11hip_rocprim7__merge17predicate_wrapperIiiNSC_4lessIiEEEEEE10hipError_tPvRmT0_T1_T2_T3_T4_T5_mmT6_P12ihipStream_tbEUlT_E0_NS1_11comp_targetILNS1_3genE3ELNS1_11target_archE908ELNS1_3gpuE7ELNS1_3repE0EEENS1_30default_config_static_selectorELNS0_4arch9wavefront6targetE0EEEvS11_.num_vgpr, 0
	.set _ZN7rocprim17ROCPRIM_400000_NS6detail17trampoline_kernelINS0_14default_configENS1_21merge_config_selectorINS0_5tupleIJiiEEENS0_10empty_typeEEEZNS1_10merge_implIS3_NS0_12zip_iteratorINS5_IJN6thrust23THRUST_200600_302600_NS6detail15normal_iteratorINSC_10device_ptrIKiEEEESI_EEEEESK_NSA_INS5_IJNSC_16discard_iteratorINSC_11use_defaultEEESN_EEEEEPS7_SQ_SQ_NSC_11hip_rocprim7__merge17predicate_wrapperIiiNSC_4lessIiEEEEEE10hipError_tPvRmT0_T1_T2_T3_T4_T5_mmT6_P12ihipStream_tbEUlT_E0_NS1_11comp_targetILNS1_3genE3ELNS1_11target_archE908ELNS1_3gpuE7ELNS1_3repE0EEENS1_30default_config_static_selectorELNS0_4arch9wavefront6targetE0EEEvS11_.num_agpr, 0
	.set _ZN7rocprim17ROCPRIM_400000_NS6detail17trampoline_kernelINS0_14default_configENS1_21merge_config_selectorINS0_5tupleIJiiEEENS0_10empty_typeEEEZNS1_10merge_implIS3_NS0_12zip_iteratorINS5_IJN6thrust23THRUST_200600_302600_NS6detail15normal_iteratorINSC_10device_ptrIKiEEEESI_EEEEESK_NSA_INS5_IJNSC_16discard_iteratorINSC_11use_defaultEEESN_EEEEEPS7_SQ_SQ_NSC_11hip_rocprim7__merge17predicate_wrapperIiiNSC_4lessIiEEEEEE10hipError_tPvRmT0_T1_T2_T3_T4_T5_mmT6_P12ihipStream_tbEUlT_E0_NS1_11comp_targetILNS1_3genE3ELNS1_11target_archE908ELNS1_3gpuE7ELNS1_3repE0EEENS1_30default_config_static_selectorELNS0_4arch9wavefront6targetE0EEEvS11_.numbered_sgpr, 0
	.set _ZN7rocprim17ROCPRIM_400000_NS6detail17trampoline_kernelINS0_14default_configENS1_21merge_config_selectorINS0_5tupleIJiiEEENS0_10empty_typeEEEZNS1_10merge_implIS3_NS0_12zip_iteratorINS5_IJN6thrust23THRUST_200600_302600_NS6detail15normal_iteratorINSC_10device_ptrIKiEEEESI_EEEEESK_NSA_INS5_IJNSC_16discard_iteratorINSC_11use_defaultEEESN_EEEEEPS7_SQ_SQ_NSC_11hip_rocprim7__merge17predicate_wrapperIiiNSC_4lessIiEEEEEE10hipError_tPvRmT0_T1_T2_T3_T4_T5_mmT6_P12ihipStream_tbEUlT_E0_NS1_11comp_targetILNS1_3genE3ELNS1_11target_archE908ELNS1_3gpuE7ELNS1_3repE0EEENS1_30default_config_static_selectorELNS0_4arch9wavefront6targetE0EEEvS11_.num_named_barrier, 0
	.set _ZN7rocprim17ROCPRIM_400000_NS6detail17trampoline_kernelINS0_14default_configENS1_21merge_config_selectorINS0_5tupleIJiiEEENS0_10empty_typeEEEZNS1_10merge_implIS3_NS0_12zip_iteratorINS5_IJN6thrust23THRUST_200600_302600_NS6detail15normal_iteratorINSC_10device_ptrIKiEEEESI_EEEEESK_NSA_INS5_IJNSC_16discard_iteratorINSC_11use_defaultEEESN_EEEEEPS7_SQ_SQ_NSC_11hip_rocprim7__merge17predicate_wrapperIiiNSC_4lessIiEEEEEE10hipError_tPvRmT0_T1_T2_T3_T4_T5_mmT6_P12ihipStream_tbEUlT_E0_NS1_11comp_targetILNS1_3genE3ELNS1_11target_archE908ELNS1_3gpuE7ELNS1_3repE0EEENS1_30default_config_static_selectorELNS0_4arch9wavefront6targetE0EEEvS11_.private_seg_size, 0
	.set _ZN7rocprim17ROCPRIM_400000_NS6detail17trampoline_kernelINS0_14default_configENS1_21merge_config_selectorINS0_5tupleIJiiEEENS0_10empty_typeEEEZNS1_10merge_implIS3_NS0_12zip_iteratorINS5_IJN6thrust23THRUST_200600_302600_NS6detail15normal_iteratorINSC_10device_ptrIKiEEEESI_EEEEESK_NSA_INS5_IJNSC_16discard_iteratorINSC_11use_defaultEEESN_EEEEEPS7_SQ_SQ_NSC_11hip_rocprim7__merge17predicate_wrapperIiiNSC_4lessIiEEEEEE10hipError_tPvRmT0_T1_T2_T3_T4_T5_mmT6_P12ihipStream_tbEUlT_E0_NS1_11comp_targetILNS1_3genE3ELNS1_11target_archE908ELNS1_3gpuE7ELNS1_3repE0EEENS1_30default_config_static_selectorELNS0_4arch9wavefront6targetE0EEEvS11_.uses_vcc, 0
	.set _ZN7rocprim17ROCPRIM_400000_NS6detail17trampoline_kernelINS0_14default_configENS1_21merge_config_selectorINS0_5tupleIJiiEEENS0_10empty_typeEEEZNS1_10merge_implIS3_NS0_12zip_iteratorINS5_IJN6thrust23THRUST_200600_302600_NS6detail15normal_iteratorINSC_10device_ptrIKiEEEESI_EEEEESK_NSA_INS5_IJNSC_16discard_iteratorINSC_11use_defaultEEESN_EEEEEPS7_SQ_SQ_NSC_11hip_rocprim7__merge17predicate_wrapperIiiNSC_4lessIiEEEEEE10hipError_tPvRmT0_T1_T2_T3_T4_T5_mmT6_P12ihipStream_tbEUlT_E0_NS1_11comp_targetILNS1_3genE3ELNS1_11target_archE908ELNS1_3gpuE7ELNS1_3repE0EEENS1_30default_config_static_selectorELNS0_4arch9wavefront6targetE0EEEvS11_.uses_flat_scratch, 0
	.set _ZN7rocprim17ROCPRIM_400000_NS6detail17trampoline_kernelINS0_14default_configENS1_21merge_config_selectorINS0_5tupleIJiiEEENS0_10empty_typeEEEZNS1_10merge_implIS3_NS0_12zip_iteratorINS5_IJN6thrust23THRUST_200600_302600_NS6detail15normal_iteratorINSC_10device_ptrIKiEEEESI_EEEEESK_NSA_INS5_IJNSC_16discard_iteratorINSC_11use_defaultEEESN_EEEEEPS7_SQ_SQ_NSC_11hip_rocprim7__merge17predicate_wrapperIiiNSC_4lessIiEEEEEE10hipError_tPvRmT0_T1_T2_T3_T4_T5_mmT6_P12ihipStream_tbEUlT_E0_NS1_11comp_targetILNS1_3genE3ELNS1_11target_archE908ELNS1_3gpuE7ELNS1_3repE0EEENS1_30default_config_static_selectorELNS0_4arch9wavefront6targetE0EEEvS11_.has_dyn_sized_stack, 0
	.set _ZN7rocprim17ROCPRIM_400000_NS6detail17trampoline_kernelINS0_14default_configENS1_21merge_config_selectorINS0_5tupleIJiiEEENS0_10empty_typeEEEZNS1_10merge_implIS3_NS0_12zip_iteratorINS5_IJN6thrust23THRUST_200600_302600_NS6detail15normal_iteratorINSC_10device_ptrIKiEEEESI_EEEEESK_NSA_INS5_IJNSC_16discard_iteratorINSC_11use_defaultEEESN_EEEEEPS7_SQ_SQ_NSC_11hip_rocprim7__merge17predicate_wrapperIiiNSC_4lessIiEEEEEE10hipError_tPvRmT0_T1_T2_T3_T4_T5_mmT6_P12ihipStream_tbEUlT_E0_NS1_11comp_targetILNS1_3genE3ELNS1_11target_archE908ELNS1_3gpuE7ELNS1_3repE0EEENS1_30default_config_static_selectorELNS0_4arch9wavefront6targetE0EEEvS11_.has_recursion, 0
	.set _ZN7rocprim17ROCPRIM_400000_NS6detail17trampoline_kernelINS0_14default_configENS1_21merge_config_selectorINS0_5tupleIJiiEEENS0_10empty_typeEEEZNS1_10merge_implIS3_NS0_12zip_iteratorINS5_IJN6thrust23THRUST_200600_302600_NS6detail15normal_iteratorINSC_10device_ptrIKiEEEESI_EEEEESK_NSA_INS5_IJNSC_16discard_iteratorINSC_11use_defaultEEESN_EEEEEPS7_SQ_SQ_NSC_11hip_rocprim7__merge17predicate_wrapperIiiNSC_4lessIiEEEEEE10hipError_tPvRmT0_T1_T2_T3_T4_T5_mmT6_P12ihipStream_tbEUlT_E0_NS1_11comp_targetILNS1_3genE3ELNS1_11target_archE908ELNS1_3gpuE7ELNS1_3repE0EEENS1_30default_config_static_selectorELNS0_4arch9wavefront6targetE0EEEvS11_.has_indirect_call, 0
	.section	.AMDGPU.csdata,"",@progbits
; Kernel info:
; codeLenInByte = 0
; TotalNumSgprs: 0
; NumVgprs: 0
; ScratchSize: 0
; MemoryBound: 0
; FloatMode: 240
; IeeeMode: 1
; LDSByteSize: 0 bytes/workgroup (compile time only)
; SGPRBlocks: 0
; VGPRBlocks: 0
; NumSGPRsForWavesPerEU: 1
; NumVGPRsForWavesPerEU: 1
; Occupancy: 16
; WaveLimiterHint : 0
; COMPUTE_PGM_RSRC2:SCRATCH_EN: 0
; COMPUTE_PGM_RSRC2:USER_SGPR: 6
; COMPUTE_PGM_RSRC2:TRAP_HANDLER: 0
; COMPUTE_PGM_RSRC2:TGID_X_EN: 1
; COMPUTE_PGM_RSRC2:TGID_Y_EN: 0
; COMPUTE_PGM_RSRC2:TGID_Z_EN: 0
; COMPUTE_PGM_RSRC2:TIDIG_COMP_CNT: 0
	.section	.text._ZN7rocprim17ROCPRIM_400000_NS6detail17trampoline_kernelINS0_14default_configENS1_21merge_config_selectorINS0_5tupleIJiiEEENS0_10empty_typeEEEZNS1_10merge_implIS3_NS0_12zip_iteratorINS5_IJN6thrust23THRUST_200600_302600_NS6detail15normal_iteratorINSC_10device_ptrIKiEEEESI_EEEEESK_NSA_INS5_IJNSC_16discard_iteratorINSC_11use_defaultEEESN_EEEEEPS7_SQ_SQ_NSC_11hip_rocprim7__merge17predicate_wrapperIiiNSC_4lessIiEEEEEE10hipError_tPvRmT0_T1_T2_T3_T4_T5_mmT6_P12ihipStream_tbEUlT_E0_NS1_11comp_targetILNS1_3genE2ELNS1_11target_archE906ELNS1_3gpuE6ELNS1_3repE0EEENS1_30default_config_static_selectorELNS0_4arch9wavefront6targetE0EEEvS11_,"axG",@progbits,_ZN7rocprim17ROCPRIM_400000_NS6detail17trampoline_kernelINS0_14default_configENS1_21merge_config_selectorINS0_5tupleIJiiEEENS0_10empty_typeEEEZNS1_10merge_implIS3_NS0_12zip_iteratorINS5_IJN6thrust23THRUST_200600_302600_NS6detail15normal_iteratorINSC_10device_ptrIKiEEEESI_EEEEESK_NSA_INS5_IJNSC_16discard_iteratorINSC_11use_defaultEEESN_EEEEEPS7_SQ_SQ_NSC_11hip_rocprim7__merge17predicate_wrapperIiiNSC_4lessIiEEEEEE10hipError_tPvRmT0_T1_T2_T3_T4_T5_mmT6_P12ihipStream_tbEUlT_E0_NS1_11comp_targetILNS1_3genE2ELNS1_11target_archE906ELNS1_3gpuE6ELNS1_3repE0EEENS1_30default_config_static_selectorELNS0_4arch9wavefront6targetE0EEEvS11_,comdat
	.protected	_ZN7rocprim17ROCPRIM_400000_NS6detail17trampoline_kernelINS0_14default_configENS1_21merge_config_selectorINS0_5tupleIJiiEEENS0_10empty_typeEEEZNS1_10merge_implIS3_NS0_12zip_iteratorINS5_IJN6thrust23THRUST_200600_302600_NS6detail15normal_iteratorINSC_10device_ptrIKiEEEESI_EEEEESK_NSA_INS5_IJNSC_16discard_iteratorINSC_11use_defaultEEESN_EEEEEPS7_SQ_SQ_NSC_11hip_rocprim7__merge17predicate_wrapperIiiNSC_4lessIiEEEEEE10hipError_tPvRmT0_T1_T2_T3_T4_T5_mmT6_P12ihipStream_tbEUlT_E0_NS1_11comp_targetILNS1_3genE2ELNS1_11target_archE906ELNS1_3gpuE6ELNS1_3repE0EEENS1_30default_config_static_selectorELNS0_4arch9wavefront6targetE0EEEvS11_ ; -- Begin function _ZN7rocprim17ROCPRIM_400000_NS6detail17trampoline_kernelINS0_14default_configENS1_21merge_config_selectorINS0_5tupleIJiiEEENS0_10empty_typeEEEZNS1_10merge_implIS3_NS0_12zip_iteratorINS5_IJN6thrust23THRUST_200600_302600_NS6detail15normal_iteratorINSC_10device_ptrIKiEEEESI_EEEEESK_NSA_INS5_IJNSC_16discard_iteratorINSC_11use_defaultEEESN_EEEEEPS7_SQ_SQ_NSC_11hip_rocprim7__merge17predicate_wrapperIiiNSC_4lessIiEEEEEE10hipError_tPvRmT0_T1_T2_T3_T4_T5_mmT6_P12ihipStream_tbEUlT_E0_NS1_11comp_targetILNS1_3genE2ELNS1_11target_archE906ELNS1_3gpuE6ELNS1_3repE0EEENS1_30default_config_static_selectorELNS0_4arch9wavefront6targetE0EEEvS11_
	.globl	_ZN7rocprim17ROCPRIM_400000_NS6detail17trampoline_kernelINS0_14default_configENS1_21merge_config_selectorINS0_5tupleIJiiEEENS0_10empty_typeEEEZNS1_10merge_implIS3_NS0_12zip_iteratorINS5_IJN6thrust23THRUST_200600_302600_NS6detail15normal_iteratorINSC_10device_ptrIKiEEEESI_EEEEESK_NSA_INS5_IJNSC_16discard_iteratorINSC_11use_defaultEEESN_EEEEEPS7_SQ_SQ_NSC_11hip_rocprim7__merge17predicate_wrapperIiiNSC_4lessIiEEEEEE10hipError_tPvRmT0_T1_T2_T3_T4_T5_mmT6_P12ihipStream_tbEUlT_E0_NS1_11comp_targetILNS1_3genE2ELNS1_11target_archE906ELNS1_3gpuE6ELNS1_3repE0EEENS1_30default_config_static_selectorELNS0_4arch9wavefront6targetE0EEEvS11_
	.p2align	8
	.type	_ZN7rocprim17ROCPRIM_400000_NS6detail17trampoline_kernelINS0_14default_configENS1_21merge_config_selectorINS0_5tupleIJiiEEENS0_10empty_typeEEEZNS1_10merge_implIS3_NS0_12zip_iteratorINS5_IJN6thrust23THRUST_200600_302600_NS6detail15normal_iteratorINSC_10device_ptrIKiEEEESI_EEEEESK_NSA_INS5_IJNSC_16discard_iteratorINSC_11use_defaultEEESN_EEEEEPS7_SQ_SQ_NSC_11hip_rocprim7__merge17predicate_wrapperIiiNSC_4lessIiEEEEEE10hipError_tPvRmT0_T1_T2_T3_T4_T5_mmT6_P12ihipStream_tbEUlT_E0_NS1_11comp_targetILNS1_3genE2ELNS1_11target_archE906ELNS1_3gpuE6ELNS1_3repE0EEENS1_30default_config_static_selectorELNS0_4arch9wavefront6targetE0EEEvS11_,@function
_ZN7rocprim17ROCPRIM_400000_NS6detail17trampoline_kernelINS0_14default_configENS1_21merge_config_selectorINS0_5tupleIJiiEEENS0_10empty_typeEEEZNS1_10merge_implIS3_NS0_12zip_iteratorINS5_IJN6thrust23THRUST_200600_302600_NS6detail15normal_iteratorINSC_10device_ptrIKiEEEESI_EEEEESK_NSA_INS5_IJNSC_16discard_iteratorINSC_11use_defaultEEESN_EEEEEPS7_SQ_SQ_NSC_11hip_rocprim7__merge17predicate_wrapperIiiNSC_4lessIiEEEEEE10hipError_tPvRmT0_T1_T2_T3_T4_T5_mmT6_P12ihipStream_tbEUlT_E0_NS1_11comp_targetILNS1_3genE2ELNS1_11target_archE906ELNS1_3gpuE6ELNS1_3repE0EEENS1_30default_config_static_selectorELNS0_4arch9wavefront6targetE0EEEvS11_: ; @_ZN7rocprim17ROCPRIM_400000_NS6detail17trampoline_kernelINS0_14default_configENS1_21merge_config_selectorINS0_5tupleIJiiEEENS0_10empty_typeEEEZNS1_10merge_implIS3_NS0_12zip_iteratorINS5_IJN6thrust23THRUST_200600_302600_NS6detail15normal_iteratorINSC_10device_ptrIKiEEEESI_EEEEESK_NSA_INS5_IJNSC_16discard_iteratorINSC_11use_defaultEEESN_EEEEEPS7_SQ_SQ_NSC_11hip_rocprim7__merge17predicate_wrapperIiiNSC_4lessIiEEEEEE10hipError_tPvRmT0_T1_T2_T3_T4_T5_mmT6_P12ihipStream_tbEUlT_E0_NS1_11comp_targetILNS1_3genE2ELNS1_11target_archE906ELNS1_3gpuE6ELNS1_3repE0EEENS1_30default_config_static_selectorELNS0_4arch9wavefront6targetE0EEEvS11_
; %bb.0:
	.section	.rodata,"a",@progbits
	.p2align	6, 0x0
	.amdhsa_kernel _ZN7rocprim17ROCPRIM_400000_NS6detail17trampoline_kernelINS0_14default_configENS1_21merge_config_selectorINS0_5tupleIJiiEEENS0_10empty_typeEEEZNS1_10merge_implIS3_NS0_12zip_iteratorINS5_IJN6thrust23THRUST_200600_302600_NS6detail15normal_iteratorINSC_10device_ptrIKiEEEESI_EEEEESK_NSA_INS5_IJNSC_16discard_iteratorINSC_11use_defaultEEESN_EEEEEPS7_SQ_SQ_NSC_11hip_rocprim7__merge17predicate_wrapperIiiNSC_4lessIiEEEEEE10hipError_tPvRmT0_T1_T2_T3_T4_T5_mmT6_P12ihipStream_tbEUlT_E0_NS1_11comp_targetILNS1_3genE2ELNS1_11target_archE906ELNS1_3gpuE6ELNS1_3repE0EEENS1_30default_config_static_selectorELNS0_4arch9wavefront6targetE0EEEvS11_
		.amdhsa_group_segment_fixed_size 0
		.amdhsa_private_segment_fixed_size 0
		.amdhsa_kernarg_size 128
		.amdhsa_user_sgpr_count 6
		.amdhsa_user_sgpr_private_segment_buffer 1
		.amdhsa_user_sgpr_dispatch_ptr 0
		.amdhsa_user_sgpr_queue_ptr 0
		.amdhsa_user_sgpr_kernarg_segment_ptr 1
		.amdhsa_user_sgpr_dispatch_id 0
		.amdhsa_user_sgpr_flat_scratch_init 0
		.amdhsa_user_sgpr_private_segment_size 0
		.amdhsa_wavefront_size32 1
		.amdhsa_uses_dynamic_stack 0
		.amdhsa_system_sgpr_private_segment_wavefront_offset 0
		.amdhsa_system_sgpr_workgroup_id_x 1
		.amdhsa_system_sgpr_workgroup_id_y 0
		.amdhsa_system_sgpr_workgroup_id_z 0
		.amdhsa_system_sgpr_workgroup_info 0
		.amdhsa_system_vgpr_workitem_id 0
		.amdhsa_next_free_vgpr 1
		.amdhsa_next_free_sgpr 1
		.amdhsa_reserve_vcc 0
		.amdhsa_reserve_flat_scratch 0
		.amdhsa_float_round_mode_32 0
		.amdhsa_float_round_mode_16_64 0
		.amdhsa_float_denorm_mode_32 3
		.amdhsa_float_denorm_mode_16_64 3
		.amdhsa_dx10_clamp 1
		.amdhsa_ieee_mode 1
		.amdhsa_fp16_overflow 0
		.amdhsa_workgroup_processor_mode 1
		.amdhsa_memory_ordered 1
		.amdhsa_forward_progress 1
		.amdhsa_shared_vgpr_count 0
		.amdhsa_exception_fp_ieee_invalid_op 0
		.amdhsa_exception_fp_denorm_src 0
		.amdhsa_exception_fp_ieee_div_zero 0
		.amdhsa_exception_fp_ieee_overflow 0
		.amdhsa_exception_fp_ieee_underflow 0
		.amdhsa_exception_fp_ieee_inexact 0
		.amdhsa_exception_int_div_zero 0
	.end_amdhsa_kernel
	.section	.text._ZN7rocprim17ROCPRIM_400000_NS6detail17trampoline_kernelINS0_14default_configENS1_21merge_config_selectorINS0_5tupleIJiiEEENS0_10empty_typeEEEZNS1_10merge_implIS3_NS0_12zip_iteratorINS5_IJN6thrust23THRUST_200600_302600_NS6detail15normal_iteratorINSC_10device_ptrIKiEEEESI_EEEEESK_NSA_INS5_IJNSC_16discard_iteratorINSC_11use_defaultEEESN_EEEEEPS7_SQ_SQ_NSC_11hip_rocprim7__merge17predicate_wrapperIiiNSC_4lessIiEEEEEE10hipError_tPvRmT0_T1_T2_T3_T4_T5_mmT6_P12ihipStream_tbEUlT_E0_NS1_11comp_targetILNS1_3genE2ELNS1_11target_archE906ELNS1_3gpuE6ELNS1_3repE0EEENS1_30default_config_static_selectorELNS0_4arch9wavefront6targetE0EEEvS11_,"axG",@progbits,_ZN7rocprim17ROCPRIM_400000_NS6detail17trampoline_kernelINS0_14default_configENS1_21merge_config_selectorINS0_5tupleIJiiEEENS0_10empty_typeEEEZNS1_10merge_implIS3_NS0_12zip_iteratorINS5_IJN6thrust23THRUST_200600_302600_NS6detail15normal_iteratorINSC_10device_ptrIKiEEEESI_EEEEESK_NSA_INS5_IJNSC_16discard_iteratorINSC_11use_defaultEEESN_EEEEEPS7_SQ_SQ_NSC_11hip_rocprim7__merge17predicate_wrapperIiiNSC_4lessIiEEEEEE10hipError_tPvRmT0_T1_T2_T3_T4_T5_mmT6_P12ihipStream_tbEUlT_E0_NS1_11comp_targetILNS1_3genE2ELNS1_11target_archE906ELNS1_3gpuE6ELNS1_3repE0EEENS1_30default_config_static_selectorELNS0_4arch9wavefront6targetE0EEEvS11_,comdat
.Lfunc_end600:
	.size	_ZN7rocprim17ROCPRIM_400000_NS6detail17trampoline_kernelINS0_14default_configENS1_21merge_config_selectorINS0_5tupleIJiiEEENS0_10empty_typeEEEZNS1_10merge_implIS3_NS0_12zip_iteratorINS5_IJN6thrust23THRUST_200600_302600_NS6detail15normal_iteratorINSC_10device_ptrIKiEEEESI_EEEEESK_NSA_INS5_IJNSC_16discard_iteratorINSC_11use_defaultEEESN_EEEEEPS7_SQ_SQ_NSC_11hip_rocprim7__merge17predicate_wrapperIiiNSC_4lessIiEEEEEE10hipError_tPvRmT0_T1_T2_T3_T4_T5_mmT6_P12ihipStream_tbEUlT_E0_NS1_11comp_targetILNS1_3genE2ELNS1_11target_archE906ELNS1_3gpuE6ELNS1_3repE0EEENS1_30default_config_static_selectorELNS0_4arch9wavefront6targetE0EEEvS11_, .Lfunc_end600-_ZN7rocprim17ROCPRIM_400000_NS6detail17trampoline_kernelINS0_14default_configENS1_21merge_config_selectorINS0_5tupleIJiiEEENS0_10empty_typeEEEZNS1_10merge_implIS3_NS0_12zip_iteratorINS5_IJN6thrust23THRUST_200600_302600_NS6detail15normal_iteratorINSC_10device_ptrIKiEEEESI_EEEEESK_NSA_INS5_IJNSC_16discard_iteratorINSC_11use_defaultEEESN_EEEEEPS7_SQ_SQ_NSC_11hip_rocprim7__merge17predicate_wrapperIiiNSC_4lessIiEEEEEE10hipError_tPvRmT0_T1_T2_T3_T4_T5_mmT6_P12ihipStream_tbEUlT_E0_NS1_11comp_targetILNS1_3genE2ELNS1_11target_archE906ELNS1_3gpuE6ELNS1_3repE0EEENS1_30default_config_static_selectorELNS0_4arch9wavefront6targetE0EEEvS11_
                                        ; -- End function
	.set _ZN7rocprim17ROCPRIM_400000_NS6detail17trampoline_kernelINS0_14default_configENS1_21merge_config_selectorINS0_5tupleIJiiEEENS0_10empty_typeEEEZNS1_10merge_implIS3_NS0_12zip_iteratorINS5_IJN6thrust23THRUST_200600_302600_NS6detail15normal_iteratorINSC_10device_ptrIKiEEEESI_EEEEESK_NSA_INS5_IJNSC_16discard_iteratorINSC_11use_defaultEEESN_EEEEEPS7_SQ_SQ_NSC_11hip_rocprim7__merge17predicate_wrapperIiiNSC_4lessIiEEEEEE10hipError_tPvRmT0_T1_T2_T3_T4_T5_mmT6_P12ihipStream_tbEUlT_E0_NS1_11comp_targetILNS1_3genE2ELNS1_11target_archE906ELNS1_3gpuE6ELNS1_3repE0EEENS1_30default_config_static_selectorELNS0_4arch9wavefront6targetE0EEEvS11_.num_vgpr, 0
	.set _ZN7rocprim17ROCPRIM_400000_NS6detail17trampoline_kernelINS0_14default_configENS1_21merge_config_selectorINS0_5tupleIJiiEEENS0_10empty_typeEEEZNS1_10merge_implIS3_NS0_12zip_iteratorINS5_IJN6thrust23THRUST_200600_302600_NS6detail15normal_iteratorINSC_10device_ptrIKiEEEESI_EEEEESK_NSA_INS5_IJNSC_16discard_iteratorINSC_11use_defaultEEESN_EEEEEPS7_SQ_SQ_NSC_11hip_rocprim7__merge17predicate_wrapperIiiNSC_4lessIiEEEEEE10hipError_tPvRmT0_T1_T2_T3_T4_T5_mmT6_P12ihipStream_tbEUlT_E0_NS1_11comp_targetILNS1_3genE2ELNS1_11target_archE906ELNS1_3gpuE6ELNS1_3repE0EEENS1_30default_config_static_selectorELNS0_4arch9wavefront6targetE0EEEvS11_.num_agpr, 0
	.set _ZN7rocprim17ROCPRIM_400000_NS6detail17trampoline_kernelINS0_14default_configENS1_21merge_config_selectorINS0_5tupleIJiiEEENS0_10empty_typeEEEZNS1_10merge_implIS3_NS0_12zip_iteratorINS5_IJN6thrust23THRUST_200600_302600_NS6detail15normal_iteratorINSC_10device_ptrIKiEEEESI_EEEEESK_NSA_INS5_IJNSC_16discard_iteratorINSC_11use_defaultEEESN_EEEEEPS7_SQ_SQ_NSC_11hip_rocprim7__merge17predicate_wrapperIiiNSC_4lessIiEEEEEE10hipError_tPvRmT0_T1_T2_T3_T4_T5_mmT6_P12ihipStream_tbEUlT_E0_NS1_11comp_targetILNS1_3genE2ELNS1_11target_archE906ELNS1_3gpuE6ELNS1_3repE0EEENS1_30default_config_static_selectorELNS0_4arch9wavefront6targetE0EEEvS11_.numbered_sgpr, 0
	.set _ZN7rocprim17ROCPRIM_400000_NS6detail17trampoline_kernelINS0_14default_configENS1_21merge_config_selectorINS0_5tupleIJiiEEENS0_10empty_typeEEEZNS1_10merge_implIS3_NS0_12zip_iteratorINS5_IJN6thrust23THRUST_200600_302600_NS6detail15normal_iteratorINSC_10device_ptrIKiEEEESI_EEEEESK_NSA_INS5_IJNSC_16discard_iteratorINSC_11use_defaultEEESN_EEEEEPS7_SQ_SQ_NSC_11hip_rocprim7__merge17predicate_wrapperIiiNSC_4lessIiEEEEEE10hipError_tPvRmT0_T1_T2_T3_T4_T5_mmT6_P12ihipStream_tbEUlT_E0_NS1_11comp_targetILNS1_3genE2ELNS1_11target_archE906ELNS1_3gpuE6ELNS1_3repE0EEENS1_30default_config_static_selectorELNS0_4arch9wavefront6targetE0EEEvS11_.num_named_barrier, 0
	.set _ZN7rocprim17ROCPRIM_400000_NS6detail17trampoline_kernelINS0_14default_configENS1_21merge_config_selectorINS0_5tupleIJiiEEENS0_10empty_typeEEEZNS1_10merge_implIS3_NS0_12zip_iteratorINS5_IJN6thrust23THRUST_200600_302600_NS6detail15normal_iteratorINSC_10device_ptrIKiEEEESI_EEEEESK_NSA_INS5_IJNSC_16discard_iteratorINSC_11use_defaultEEESN_EEEEEPS7_SQ_SQ_NSC_11hip_rocprim7__merge17predicate_wrapperIiiNSC_4lessIiEEEEEE10hipError_tPvRmT0_T1_T2_T3_T4_T5_mmT6_P12ihipStream_tbEUlT_E0_NS1_11comp_targetILNS1_3genE2ELNS1_11target_archE906ELNS1_3gpuE6ELNS1_3repE0EEENS1_30default_config_static_selectorELNS0_4arch9wavefront6targetE0EEEvS11_.private_seg_size, 0
	.set _ZN7rocprim17ROCPRIM_400000_NS6detail17trampoline_kernelINS0_14default_configENS1_21merge_config_selectorINS0_5tupleIJiiEEENS0_10empty_typeEEEZNS1_10merge_implIS3_NS0_12zip_iteratorINS5_IJN6thrust23THRUST_200600_302600_NS6detail15normal_iteratorINSC_10device_ptrIKiEEEESI_EEEEESK_NSA_INS5_IJNSC_16discard_iteratorINSC_11use_defaultEEESN_EEEEEPS7_SQ_SQ_NSC_11hip_rocprim7__merge17predicate_wrapperIiiNSC_4lessIiEEEEEE10hipError_tPvRmT0_T1_T2_T3_T4_T5_mmT6_P12ihipStream_tbEUlT_E0_NS1_11comp_targetILNS1_3genE2ELNS1_11target_archE906ELNS1_3gpuE6ELNS1_3repE0EEENS1_30default_config_static_selectorELNS0_4arch9wavefront6targetE0EEEvS11_.uses_vcc, 0
	.set _ZN7rocprim17ROCPRIM_400000_NS6detail17trampoline_kernelINS0_14default_configENS1_21merge_config_selectorINS0_5tupleIJiiEEENS0_10empty_typeEEEZNS1_10merge_implIS3_NS0_12zip_iteratorINS5_IJN6thrust23THRUST_200600_302600_NS6detail15normal_iteratorINSC_10device_ptrIKiEEEESI_EEEEESK_NSA_INS5_IJNSC_16discard_iteratorINSC_11use_defaultEEESN_EEEEEPS7_SQ_SQ_NSC_11hip_rocprim7__merge17predicate_wrapperIiiNSC_4lessIiEEEEEE10hipError_tPvRmT0_T1_T2_T3_T4_T5_mmT6_P12ihipStream_tbEUlT_E0_NS1_11comp_targetILNS1_3genE2ELNS1_11target_archE906ELNS1_3gpuE6ELNS1_3repE0EEENS1_30default_config_static_selectorELNS0_4arch9wavefront6targetE0EEEvS11_.uses_flat_scratch, 0
	.set _ZN7rocprim17ROCPRIM_400000_NS6detail17trampoline_kernelINS0_14default_configENS1_21merge_config_selectorINS0_5tupleIJiiEEENS0_10empty_typeEEEZNS1_10merge_implIS3_NS0_12zip_iteratorINS5_IJN6thrust23THRUST_200600_302600_NS6detail15normal_iteratorINSC_10device_ptrIKiEEEESI_EEEEESK_NSA_INS5_IJNSC_16discard_iteratorINSC_11use_defaultEEESN_EEEEEPS7_SQ_SQ_NSC_11hip_rocprim7__merge17predicate_wrapperIiiNSC_4lessIiEEEEEE10hipError_tPvRmT0_T1_T2_T3_T4_T5_mmT6_P12ihipStream_tbEUlT_E0_NS1_11comp_targetILNS1_3genE2ELNS1_11target_archE906ELNS1_3gpuE6ELNS1_3repE0EEENS1_30default_config_static_selectorELNS0_4arch9wavefront6targetE0EEEvS11_.has_dyn_sized_stack, 0
	.set _ZN7rocprim17ROCPRIM_400000_NS6detail17trampoline_kernelINS0_14default_configENS1_21merge_config_selectorINS0_5tupleIJiiEEENS0_10empty_typeEEEZNS1_10merge_implIS3_NS0_12zip_iteratorINS5_IJN6thrust23THRUST_200600_302600_NS6detail15normal_iteratorINSC_10device_ptrIKiEEEESI_EEEEESK_NSA_INS5_IJNSC_16discard_iteratorINSC_11use_defaultEEESN_EEEEEPS7_SQ_SQ_NSC_11hip_rocprim7__merge17predicate_wrapperIiiNSC_4lessIiEEEEEE10hipError_tPvRmT0_T1_T2_T3_T4_T5_mmT6_P12ihipStream_tbEUlT_E0_NS1_11comp_targetILNS1_3genE2ELNS1_11target_archE906ELNS1_3gpuE6ELNS1_3repE0EEENS1_30default_config_static_selectorELNS0_4arch9wavefront6targetE0EEEvS11_.has_recursion, 0
	.set _ZN7rocprim17ROCPRIM_400000_NS6detail17trampoline_kernelINS0_14default_configENS1_21merge_config_selectorINS0_5tupleIJiiEEENS0_10empty_typeEEEZNS1_10merge_implIS3_NS0_12zip_iteratorINS5_IJN6thrust23THRUST_200600_302600_NS6detail15normal_iteratorINSC_10device_ptrIKiEEEESI_EEEEESK_NSA_INS5_IJNSC_16discard_iteratorINSC_11use_defaultEEESN_EEEEEPS7_SQ_SQ_NSC_11hip_rocprim7__merge17predicate_wrapperIiiNSC_4lessIiEEEEEE10hipError_tPvRmT0_T1_T2_T3_T4_T5_mmT6_P12ihipStream_tbEUlT_E0_NS1_11comp_targetILNS1_3genE2ELNS1_11target_archE906ELNS1_3gpuE6ELNS1_3repE0EEENS1_30default_config_static_selectorELNS0_4arch9wavefront6targetE0EEEvS11_.has_indirect_call, 0
	.section	.AMDGPU.csdata,"",@progbits
; Kernel info:
; codeLenInByte = 0
; TotalNumSgprs: 0
; NumVgprs: 0
; ScratchSize: 0
; MemoryBound: 0
; FloatMode: 240
; IeeeMode: 1
; LDSByteSize: 0 bytes/workgroup (compile time only)
; SGPRBlocks: 0
; VGPRBlocks: 0
; NumSGPRsForWavesPerEU: 1
; NumVGPRsForWavesPerEU: 1
; Occupancy: 16
; WaveLimiterHint : 0
; COMPUTE_PGM_RSRC2:SCRATCH_EN: 0
; COMPUTE_PGM_RSRC2:USER_SGPR: 6
; COMPUTE_PGM_RSRC2:TRAP_HANDLER: 0
; COMPUTE_PGM_RSRC2:TGID_X_EN: 1
; COMPUTE_PGM_RSRC2:TGID_Y_EN: 0
; COMPUTE_PGM_RSRC2:TGID_Z_EN: 0
; COMPUTE_PGM_RSRC2:TIDIG_COMP_CNT: 0
	.section	.text._ZN7rocprim17ROCPRIM_400000_NS6detail17trampoline_kernelINS0_14default_configENS1_21merge_config_selectorINS0_5tupleIJiiEEENS0_10empty_typeEEEZNS1_10merge_implIS3_NS0_12zip_iteratorINS5_IJN6thrust23THRUST_200600_302600_NS6detail15normal_iteratorINSC_10device_ptrIKiEEEESI_EEEEESK_NSA_INS5_IJNSC_16discard_iteratorINSC_11use_defaultEEESN_EEEEEPS7_SQ_SQ_NSC_11hip_rocprim7__merge17predicate_wrapperIiiNSC_4lessIiEEEEEE10hipError_tPvRmT0_T1_T2_T3_T4_T5_mmT6_P12ihipStream_tbEUlT_E0_NS1_11comp_targetILNS1_3genE10ELNS1_11target_archE1201ELNS1_3gpuE5ELNS1_3repE0EEENS1_30default_config_static_selectorELNS0_4arch9wavefront6targetE0EEEvS11_,"axG",@progbits,_ZN7rocprim17ROCPRIM_400000_NS6detail17trampoline_kernelINS0_14default_configENS1_21merge_config_selectorINS0_5tupleIJiiEEENS0_10empty_typeEEEZNS1_10merge_implIS3_NS0_12zip_iteratorINS5_IJN6thrust23THRUST_200600_302600_NS6detail15normal_iteratorINSC_10device_ptrIKiEEEESI_EEEEESK_NSA_INS5_IJNSC_16discard_iteratorINSC_11use_defaultEEESN_EEEEEPS7_SQ_SQ_NSC_11hip_rocprim7__merge17predicate_wrapperIiiNSC_4lessIiEEEEEE10hipError_tPvRmT0_T1_T2_T3_T4_T5_mmT6_P12ihipStream_tbEUlT_E0_NS1_11comp_targetILNS1_3genE10ELNS1_11target_archE1201ELNS1_3gpuE5ELNS1_3repE0EEENS1_30default_config_static_selectorELNS0_4arch9wavefront6targetE0EEEvS11_,comdat
	.protected	_ZN7rocprim17ROCPRIM_400000_NS6detail17trampoline_kernelINS0_14default_configENS1_21merge_config_selectorINS0_5tupleIJiiEEENS0_10empty_typeEEEZNS1_10merge_implIS3_NS0_12zip_iteratorINS5_IJN6thrust23THRUST_200600_302600_NS6detail15normal_iteratorINSC_10device_ptrIKiEEEESI_EEEEESK_NSA_INS5_IJNSC_16discard_iteratorINSC_11use_defaultEEESN_EEEEEPS7_SQ_SQ_NSC_11hip_rocprim7__merge17predicate_wrapperIiiNSC_4lessIiEEEEEE10hipError_tPvRmT0_T1_T2_T3_T4_T5_mmT6_P12ihipStream_tbEUlT_E0_NS1_11comp_targetILNS1_3genE10ELNS1_11target_archE1201ELNS1_3gpuE5ELNS1_3repE0EEENS1_30default_config_static_selectorELNS0_4arch9wavefront6targetE0EEEvS11_ ; -- Begin function _ZN7rocprim17ROCPRIM_400000_NS6detail17trampoline_kernelINS0_14default_configENS1_21merge_config_selectorINS0_5tupleIJiiEEENS0_10empty_typeEEEZNS1_10merge_implIS3_NS0_12zip_iteratorINS5_IJN6thrust23THRUST_200600_302600_NS6detail15normal_iteratorINSC_10device_ptrIKiEEEESI_EEEEESK_NSA_INS5_IJNSC_16discard_iteratorINSC_11use_defaultEEESN_EEEEEPS7_SQ_SQ_NSC_11hip_rocprim7__merge17predicate_wrapperIiiNSC_4lessIiEEEEEE10hipError_tPvRmT0_T1_T2_T3_T4_T5_mmT6_P12ihipStream_tbEUlT_E0_NS1_11comp_targetILNS1_3genE10ELNS1_11target_archE1201ELNS1_3gpuE5ELNS1_3repE0EEENS1_30default_config_static_selectorELNS0_4arch9wavefront6targetE0EEEvS11_
	.globl	_ZN7rocprim17ROCPRIM_400000_NS6detail17trampoline_kernelINS0_14default_configENS1_21merge_config_selectorINS0_5tupleIJiiEEENS0_10empty_typeEEEZNS1_10merge_implIS3_NS0_12zip_iteratorINS5_IJN6thrust23THRUST_200600_302600_NS6detail15normal_iteratorINSC_10device_ptrIKiEEEESI_EEEEESK_NSA_INS5_IJNSC_16discard_iteratorINSC_11use_defaultEEESN_EEEEEPS7_SQ_SQ_NSC_11hip_rocprim7__merge17predicate_wrapperIiiNSC_4lessIiEEEEEE10hipError_tPvRmT0_T1_T2_T3_T4_T5_mmT6_P12ihipStream_tbEUlT_E0_NS1_11comp_targetILNS1_3genE10ELNS1_11target_archE1201ELNS1_3gpuE5ELNS1_3repE0EEENS1_30default_config_static_selectorELNS0_4arch9wavefront6targetE0EEEvS11_
	.p2align	8
	.type	_ZN7rocprim17ROCPRIM_400000_NS6detail17trampoline_kernelINS0_14default_configENS1_21merge_config_selectorINS0_5tupleIJiiEEENS0_10empty_typeEEEZNS1_10merge_implIS3_NS0_12zip_iteratorINS5_IJN6thrust23THRUST_200600_302600_NS6detail15normal_iteratorINSC_10device_ptrIKiEEEESI_EEEEESK_NSA_INS5_IJNSC_16discard_iteratorINSC_11use_defaultEEESN_EEEEEPS7_SQ_SQ_NSC_11hip_rocprim7__merge17predicate_wrapperIiiNSC_4lessIiEEEEEE10hipError_tPvRmT0_T1_T2_T3_T4_T5_mmT6_P12ihipStream_tbEUlT_E0_NS1_11comp_targetILNS1_3genE10ELNS1_11target_archE1201ELNS1_3gpuE5ELNS1_3repE0EEENS1_30default_config_static_selectorELNS0_4arch9wavefront6targetE0EEEvS11_,@function
_ZN7rocprim17ROCPRIM_400000_NS6detail17trampoline_kernelINS0_14default_configENS1_21merge_config_selectorINS0_5tupleIJiiEEENS0_10empty_typeEEEZNS1_10merge_implIS3_NS0_12zip_iteratorINS5_IJN6thrust23THRUST_200600_302600_NS6detail15normal_iteratorINSC_10device_ptrIKiEEEESI_EEEEESK_NSA_INS5_IJNSC_16discard_iteratorINSC_11use_defaultEEESN_EEEEEPS7_SQ_SQ_NSC_11hip_rocprim7__merge17predicate_wrapperIiiNSC_4lessIiEEEEEE10hipError_tPvRmT0_T1_T2_T3_T4_T5_mmT6_P12ihipStream_tbEUlT_E0_NS1_11comp_targetILNS1_3genE10ELNS1_11target_archE1201ELNS1_3gpuE5ELNS1_3repE0EEENS1_30default_config_static_selectorELNS0_4arch9wavefront6targetE0EEEvS11_: ; @_ZN7rocprim17ROCPRIM_400000_NS6detail17trampoline_kernelINS0_14default_configENS1_21merge_config_selectorINS0_5tupleIJiiEEENS0_10empty_typeEEEZNS1_10merge_implIS3_NS0_12zip_iteratorINS5_IJN6thrust23THRUST_200600_302600_NS6detail15normal_iteratorINSC_10device_ptrIKiEEEESI_EEEEESK_NSA_INS5_IJNSC_16discard_iteratorINSC_11use_defaultEEESN_EEEEEPS7_SQ_SQ_NSC_11hip_rocprim7__merge17predicate_wrapperIiiNSC_4lessIiEEEEEE10hipError_tPvRmT0_T1_T2_T3_T4_T5_mmT6_P12ihipStream_tbEUlT_E0_NS1_11comp_targetILNS1_3genE10ELNS1_11target_archE1201ELNS1_3gpuE5ELNS1_3repE0EEENS1_30default_config_static_selectorELNS0_4arch9wavefront6targetE0EEEvS11_
; %bb.0:
	.section	.rodata,"a",@progbits
	.p2align	6, 0x0
	.amdhsa_kernel _ZN7rocprim17ROCPRIM_400000_NS6detail17trampoline_kernelINS0_14default_configENS1_21merge_config_selectorINS0_5tupleIJiiEEENS0_10empty_typeEEEZNS1_10merge_implIS3_NS0_12zip_iteratorINS5_IJN6thrust23THRUST_200600_302600_NS6detail15normal_iteratorINSC_10device_ptrIKiEEEESI_EEEEESK_NSA_INS5_IJNSC_16discard_iteratorINSC_11use_defaultEEESN_EEEEEPS7_SQ_SQ_NSC_11hip_rocprim7__merge17predicate_wrapperIiiNSC_4lessIiEEEEEE10hipError_tPvRmT0_T1_T2_T3_T4_T5_mmT6_P12ihipStream_tbEUlT_E0_NS1_11comp_targetILNS1_3genE10ELNS1_11target_archE1201ELNS1_3gpuE5ELNS1_3repE0EEENS1_30default_config_static_selectorELNS0_4arch9wavefront6targetE0EEEvS11_
		.amdhsa_group_segment_fixed_size 0
		.amdhsa_private_segment_fixed_size 0
		.amdhsa_kernarg_size 128
		.amdhsa_user_sgpr_count 6
		.amdhsa_user_sgpr_private_segment_buffer 1
		.amdhsa_user_sgpr_dispatch_ptr 0
		.amdhsa_user_sgpr_queue_ptr 0
		.amdhsa_user_sgpr_kernarg_segment_ptr 1
		.amdhsa_user_sgpr_dispatch_id 0
		.amdhsa_user_sgpr_flat_scratch_init 0
		.amdhsa_user_sgpr_private_segment_size 0
		.amdhsa_wavefront_size32 1
		.amdhsa_uses_dynamic_stack 0
		.amdhsa_system_sgpr_private_segment_wavefront_offset 0
		.amdhsa_system_sgpr_workgroup_id_x 1
		.amdhsa_system_sgpr_workgroup_id_y 0
		.amdhsa_system_sgpr_workgroup_id_z 0
		.amdhsa_system_sgpr_workgroup_info 0
		.amdhsa_system_vgpr_workitem_id 0
		.amdhsa_next_free_vgpr 1
		.amdhsa_next_free_sgpr 1
		.amdhsa_reserve_vcc 0
		.amdhsa_reserve_flat_scratch 0
		.amdhsa_float_round_mode_32 0
		.amdhsa_float_round_mode_16_64 0
		.amdhsa_float_denorm_mode_32 3
		.amdhsa_float_denorm_mode_16_64 3
		.amdhsa_dx10_clamp 1
		.amdhsa_ieee_mode 1
		.amdhsa_fp16_overflow 0
		.amdhsa_workgroup_processor_mode 1
		.amdhsa_memory_ordered 1
		.amdhsa_forward_progress 1
		.amdhsa_shared_vgpr_count 0
		.amdhsa_exception_fp_ieee_invalid_op 0
		.amdhsa_exception_fp_denorm_src 0
		.amdhsa_exception_fp_ieee_div_zero 0
		.amdhsa_exception_fp_ieee_overflow 0
		.amdhsa_exception_fp_ieee_underflow 0
		.amdhsa_exception_fp_ieee_inexact 0
		.amdhsa_exception_int_div_zero 0
	.end_amdhsa_kernel
	.section	.text._ZN7rocprim17ROCPRIM_400000_NS6detail17trampoline_kernelINS0_14default_configENS1_21merge_config_selectorINS0_5tupleIJiiEEENS0_10empty_typeEEEZNS1_10merge_implIS3_NS0_12zip_iteratorINS5_IJN6thrust23THRUST_200600_302600_NS6detail15normal_iteratorINSC_10device_ptrIKiEEEESI_EEEEESK_NSA_INS5_IJNSC_16discard_iteratorINSC_11use_defaultEEESN_EEEEEPS7_SQ_SQ_NSC_11hip_rocprim7__merge17predicate_wrapperIiiNSC_4lessIiEEEEEE10hipError_tPvRmT0_T1_T2_T3_T4_T5_mmT6_P12ihipStream_tbEUlT_E0_NS1_11comp_targetILNS1_3genE10ELNS1_11target_archE1201ELNS1_3gpuE5ELNS1_3repE0EEENS1_30default_config_static_selectorELNS0_4arch9wavefront6targetE0EEEvS11_,"axG",@progbits,_ZN7rocprim17ROCPRIM_400000_NS6detail17trampoline_kernelINS0_14default_configENS1_21merge_config_selectorINS0_5tupleIJiiEEENS0_10empty_typeEEEZNS1_10merge_implIS3_NS0_12zip_iteratorINS5_IJN6thrust23THRUST_200600_302600_NS6detail15normal_iteratorINSC_10device_ptrIKiEEEESI_EEEEESK_NSA_INS5_IJNSC_16discard_iteratorINSC_11use_defaultEEESN_EEEEEPS7_SQ_SQ_NSC_11hip_rocprim7__merge17predicate_wrapperIiiNSC_4lessIiEEEEEE10hipError_tPvRmT0_T1_T2_T3_T4_T5_mmT6_P12ihipStream_tbEUlT_E0_NS1_11comp_targetILNS1_3genE10ELNS1_11target_archE1201ELNS1_3gpuE5ELNS1_3repE0EEENS1_30default_config_static_selectorELNS0_4arch9wavefront6targetE0EEEvS11_,comdat
.Lfunc_end601:
	.size	_ZN7rocprim17ROCPRIM_400000_NS6detail17trampoline_kernelINS0_14default_configENS1_21merge_config_selectorINS0_5tupleIJiiEEENS0_10empty_typeEEEZNS1_10merge_implIS3_NS0_12zip_iteratorINS5_IJN6thrust23THRUST_200600_302600_NS6detail15normal_iteratorINSC_10device_ptrIKiEEEESI_EEEEESK_NSA_INS5_IJNSC_16discard_iteratorINSC_11use_defaultEEESN_EEEEEPS7_SQ_SQ_NSC_11hip_rocprim7__merge17predicate_wrapperIiiNSC_4lessIiEEEEEE10hipError_tPvRmT0_T1_T2_T3_T4_T5_mmT6_P12ihipStream_tbEUlT_E0_NS1_11comp_targetILNS1_3genE10ELNS1_11target_archE1201ELNS1_3gpuE5ELNS1_3repE0EEENS1_30default_config_static_selectorELNS0_4arch9wavefront6targetE0EEEvS11_, .Lfunc_end601-_ZN7rocprim17ROCPRIM_400000_NS6detail17trampoline_kernelINS0_14default_configENS1_21merge_config_selectorINS0_5tupleIJiiEEENS0_10empty_typeEEEZNS1_10merge_implIS3_NS0_12zip_iteratorINS5_IJN6thrust23THRUST_200600_302600_NS6detail15normal_iteratorINSC_10device_ptrIKiEEEESI_EEEEESK_NSA_INS5_IJNSC_16discard_iteratorINSC_11use_defaultEEESN_EEEEEPS7_SQ_SQ_NSC_11hip_rocprim7__merge17predicate_wrapperIiiNSC_4lessIiEEEEEE10hipError_tPvRmT0_T1_T2_T3_T4_T5_mmT6_P12ihipStream_tbEUlT_E0_NS1_11comp_targetILNS1_3genE10ELNS1_11target_archE1201ELNS1_3gpuE5ELNS1_3repE0EEENS1_30default_config_static_selectorELNS0_4arch9wavefront6targetE0EEEvS11_
                                        ; -- End function
	.set _ZN7rocprim17ROCPRIM_400000_NS6detail17trampoline_kernelINS0_14default_configENS1_21merge_config_selectorINS0_5tupleIJiiEEENS0_10empty_typeEEEZNS1_10merge_implIS3_NS0_12zip_iteratorINS5_IJN6thrust23THRUST_200600_302600_NS6detail15normal_iteratorINSC_10device_ptrIKiEEEESI_EEEEESK_NSA_INS5_IJNSC_16discard_iteratorINSC_11use_defaultEEESN_EEEEEPS7_SQ_SQ_NSC_11hip_rocprim7__merge17predicate_wrapperIiiNSC_4lessIiEEEEEE10hipError_tPvRmT0_T1_T2_T3_T4_T5_mmT6_P12ihipStream_tbEUlT_E0_NS1_11comp_targetILNS1_3genE10ELNS1_11target_archE1201ELNS1_3gpuE5ELNS1_3repE0EEENS1_30default_config_static_selectorELNS0_4arch9wavefront6targetE0EEEvS11_.num_vgpr, 0
	.set _ZN7rocprim17ROCPRIM_400000_NS6detail17trampoline_kernelINS0_14default_configENS1_21merge_config_selectorINS0_5tupleIJiiEEENS0_10empty_typeEEEZNS1_10merge_implIS3_NS0_12zip_iteratorINS5_IJN6thrust23THRUST_200600_302600_NS6detail15normal_iteratorINSC_10device_ptrIKiEEEESI_EEEEESK_NSA_INS5_IJNSC_16discard_iteratorINSC_11use_defaultEEESN_EEEEEPS7_SQ_SQ_NSC_11hip_rocprim7__merge17predicate_wrapperIiiNSC_4lessIiEEEEEE10hipError_tPvRmT0_T1_T2_T3_T4_T5_mmT6_P12ihipStream_tbEUlT_E0_NS1_11comp_targetILNS1_3genE10ELNS1_11target_archE1201ELNS1_3gpuE5ELNS1_3repE0EEENS1_30default_config_static_selectorELNS0_4arch9wavefront6targetE0EEEvS11_.num_agpr, 0
	.set _ZN7rocprim17ROCPRIM_400000_NS6detail17trampoline_kernelINS0_14default_configENS1_21merge_config_selectorINS0_5tupleIJiiEEENS0_10empty_typeEEEZNS1_10merge_implIS3_NS0_12zip_iteratorINS5_IJN6thrust23THRUST_200600_302600_NS6detail15normal_iteratorINSC_10device_ptrIKiEEEESI_EEEEESK_NSA_INS5_IJNSC_16discard_iteratorINSC_11use_defaultEEESN_EEEEEPS7_SQ_SQ_NSC_11hip_rocprim7__merge17predicate_wrapperIiiNSC_4lessIiEEEEEE10hipError_tPvRmT0_T1_T2_T3_T4_T5_mmT6_P12ihipStream_tbEUlT_E0_NS1_11comp_targetILNS1_3genE10ELNS1_11target_archE1201ELNS1_3gpuE5ELNS1_3repE0EEENS1_30default_config_static_selectorELNS0_4arch9wavefront6targetE0EEEvS11_.numbered_sgpr, 0
	.set _ZN7rocprim17ROCPRIM_400000_NS6detail17trampoline_kernelINS0_14default_configENS1_21merge_config_selectorINS0_5tupleIJiiEEENS0_10empty_typeEEEZNS1_10merge_implIS3_NS0_12zip_iteratorINS5_IJN6thrust23THRUST_200600_302600_NS6detail15normal_iteratorINSC_10device_ptrIKiEEEESI_EEEEESK_NSA_INS5_IJNSC_16discard_iteratorINSC_11use_defaultEEESN_EEEEEPS7_SQ_SQ_NSC_11hip_rocprim7__merge17predicate_wrapperIiiNSC_4lessIiEEEEEE10hipError_tPvRmT0_T1_T2_T3_T4_T5_mmT6_P12ihipStream_tbEUlT_E0_NS1_11comp_targetILNS1_3genE10ELNS1_11target_archE1201ELNS1_3gpuE5ELNS1_3repE0EEENS1_30default_config_static_selectorELNS0_4arch9wavefront6targetE0EEEvS11_.num_named_barrier, 0
	.set _ZN7rocprim17ROCPRIM_400000_NS6detail17trampoline_kernelINS0_14default_configENS1_21merge_config_selectorINS0_5tupleIJiiEEENS0_10empty_typeEEEZNS1_10merge_implIS3_NS0_12zip_iteratorINS5_IJN6thrust23THRUST_200600_302600_NS6detail15normal_iteratorINSC_10device_ptrIKiEEEESI_EEEEESK_NSA_INS5_IJNSC_16discard_iteratorINSC_11use_defaultEEESN_EEEEEPS7_SQ_SQ_NSC_11hip_rocprim7__merge17predicate_wrapperIiiNSC_4lessIiEEEEEE10hipError_tPvRmT0_T1_T2_T3_T4_T5_mmT6_P12ihipStream_tbEUlT_E0_NS1_11comp_targetILNS1_3genE10ELNS1_11target_archE1201ELNS1_3gpuE5ELNS1_3repE0EEENS1_30default_config_static_selectorELNS0_4arch9wavefront6targetE0EEEvS11_.private_seg_size, 0
	.set _ZN7rocprim17ROCPRIM_400000_NS6detail17trampoline_kernelINS0_14default_configENS1_21merge_config_selectorINS0_5tupleIJiiEEENS0_10empty_typeEEEZNS1_10merge_implIS3_NS0_12zip_iteratorINS5_IJN6thrust23THRUST_200600_302600_NS6detail15normal_iteratorINSC_10device_ptrIKiEEEESI_EEEEESK_NSA_INS5_IJNSC_16discard_iteratorINSC_11use_defaultEEESN_EEEEEPS7_SQ_SQ_NSC_11hip_rocprim7__merge17predicate_wrapperIiiNSC_4lessIiEEEEEE10hipError_tPvRmT0_T1_T2_T3_T4_T5_mmT6_P12ihipStream_tbEUlT_E0_NS1_11comp_targetILNS1_3genE10ELNS1_11target_archE1201ELNS1_3gpuE5ELNS1_3repE0EEENS1_30default_config_static_selectorELNS0_4arch9wavefront6targetE0EEEvS11_.uses_vcc, 0
	.set _ZN7rocprim17ROCPRIM_400000_NS6detail17trampoline_kernelINS0_14default_configENS1_21merge_config_selectorINS0_5tupleIJiiEEENS0_10empty_typeEEEZNS1_10merge_implIS3_NS0_12zip_iteratorINS5_IJN6thrust23THRUST_200600_302600_NS6detail15normal_iteratorINSC_10device_ptrIKiEEEESI_EEEEESK_NSA_INS5_IJNSC_16discard_iteratorINSC_11use_defaultEEESN_EEEEEPS7_SQ_SQ_NSC_11hip_rocprim7__merge17predicate_wrapperIiiNSC_4lessIiEEEEEE10hipError_tPvRmT0_T1_T2_T3_T4_T5_mmT6_P12ihipStream_tbEUlT_E0_NS1_11comp_targetILNS1_3genE10ELNS1_11target_archE1201ELNS1_3gpuE5ELNS1_3repE0EEENS1_30default_config_static_selectorELNS0_4arch9wavefront6targetE0EEEvS11_.uses_flat_scratch, 0
	.set _ZN7rocprim17ROCPRIM_400000_NS6detail17trampoline_kernelINS0_14default_configENS1_21merge_config_selectorINS0_5tupleIJiiEEENS0_10empty_typeEEEZNS1_10merge_implIS3_NS0_12zip_iteratorINS5_IJN6thrust23THRUST_200600_302600_NS6detail15normal_iteratorINSC_10device_ptrIKiEEEESI_EEEEESK_NSA_INS5_IJNSC_16discard_iteratorINSC_11use_defaultEEESN_EEEEEPS7_SQ_SQ_NSC_11hip_rocprim7__merge17predicate_wrapperIiiNSC_4lessIiEEEEEE10hipError_tPvRmT0_T1_T2_T3_T4_T5_mmT6_P12ihipStream_tbEUlT_E0_NS1_11comp_targetILNS1_3genE10ELNS1_11target_archE1201ELNS1_3gpuE5ELNS1_3repE0EEENS1_30default_config_static_selectorELNS0_4arch9wavefront6targetE0EEEvS11_.has_dyn_sized_stack, 0
	.set _ZN7rocprim17ROCPRIM_400000_NS6detail17trampoline_kernelINS0_14default_configENS1_21merge_config_selectorINS0_5tupleIJiiEEENS0_10empty_typeEEEZNS1_10merge_implIS3_NS0_12zip_iteratorINS5_IJN6thrust23THRUST_200600_302600_NS6detail15normal_iteratorINSC_10device_ptrIKiEEEESI_EEEEESK_NSA_INS5_IJNSC_16discard_iteratorINSC_11use_defaultEEESN_EEEEEPS7_SQ_SQ_NSC_11hip_rocprim7__merge17predicate_wrapperIiiNSC_4lessIiEEEEEE10hipError_tPvRmT0_T1_T2_T3_T4_T5_mmT6_P12ihipStream_tbEUlT_E0_NS1_11comp_targetILNS1_3genE10ELNS1_11target_archE1201ELNS1_3gpuE5ELNS1_3repE0EEENS1_30default_config_static_selectorELNS0_4arch9wavefront6targetE0EEEvS11_.has_recursion, 0
	.set _ZN7rocprim17ROCPRIM_400000_NS6detail17trampoline_kernelINS0_14default_configENS1_21merge_config_selectorINS0_5tupleIJiiEEENS0_10empty_typeEEEZNS1_10merge_implIS3_NS0_12zip_iteratorINS5_IJN6thrust23THRUST_200600_302600_NS6detail15normal_iteratorINSC_10device_ptrIKiEEEESI_EEEEESK_NSA_INS5_IJNSC_16discard_iteratorINSC_11use_defaultEEESN_EEEEEPS7_SQ_SQ_NSC_11hip_rocprim7__merge17predicate_wrapperIiiNSC_4lessIiEEEEEE10hipError_tPvRmT0_T1_T2_T3_T4_T5_mmT6_P12ihipStream_tbEUlT_E0_NS1_11comp_targetILNS1_3genE10ELNS1_11target_archE1201ELNS1_3gpuE5ELNS1_3repE0EEENS1_30default_config_static_selectorELNS0_4arch9wavefront6targetE0EEEvS11_.has_indirect_call, 0
	.section	.AMDGPU.csdata,"",@progbits
; Kernel info:
; codeLenInByte = 0
; TotalNumSgprs: 0
; NumVgprs: 0
; ScratchSize: 0
; MemoryBound: 0
; FloatMode: 240
; IeeeMode: 1
; LDSByteSize: 0 bytes/workgroup (compile time only)
; SGPRBlocks: 0
; VGPRBlocks: 0
; NumSGPRsForWavesPerEU: 1
; NumVGPRsForWavesPerEU: 1
; Occupancy: 16
; WaveLimiterHint : 0
; COMPUTE_PGM_RSRC2:SCRATCH_EN: 0
; COMPUTE_PGM_RSRC2:USER_SGPR: 6
; COMPUTE_PGM_RSRC2:TRAP_HANDLER: 0
; COMPUTE_PGM_RSRC2:TGID_X_EN: 1
; COMPUTE_PGM_RSRC2:TGID_Y_EN: 0
; COMPUTE_PGM_RSRC2:TGID_Z_EN: 0
; COMPUTE_PGM_RSRC2:TIDIG_COMP_CNT: 0
	.section	.text._ZN7rocprim17ROCPRIM_400000_NS6detail17trampoline_kernelINS0_14default_configENS1_21merge_config_selectorINS0_5tupleIJiiEEENS0_10empty_typeEEEZNS1_10merge_implIS3_NS0_12zip_iteratorINS5_IJN6thrust23THRUST_200600_302600_NS6detail15normal_iteratorINSC_10device_ptrIKiEEEESI_EEEEESK_NSA_INS5_IJNSC_16discard_iteratorINSC_11use_defaultEEESN_EEEEEPS7_SQ_SQ_NSC_11hip_rocprim7__merge17predicate_wrapperIiiNSC_4lessIiEEEEEE10hipError_tPvRmT0_T1_T2_T3_T4_T5_mmT6_P12ihipStream_tbEUlT_E0_NS1_11comp_targetILNS1_3genE10ELNS1_11target_archE1200ELNS1_3gpuE4ELNS1_3repE0EEENS1_30default_config_static_selectorELNS0_4arch9wavefront6targetE0EEEvS11_,"axG",@progbits,_ZN7rocprim17ROCPRIM_400000_NS6detail17trampoline_kernelINS0_14default_configENS1_21merge_config_selectorINS0_5tupleIJiiEEENS0_10empty_typeEEEZNS1_10merge_implIS3_NS0_12zip_iteratorINS5_IJN6thrust23THRUST_200600_302600_NS6detail15normal_iteratorINSC_10device_ptrIKiEEEESI_EEEEESK_NSA_INS5_IJNSC_16discard_iteratorINSC_11use_defaultEEESN_EEEEEPS7_SQ_SQ_NSC_11hip_rocprim7__merge17predicate_wrapperIiiNSC_4lessIiEEEEEE10hipError_tPvRmT0_T1_T2_T3_T4_T5_mmT6_P12ihipStream_tbEUlT_E0_NS1_11comp_targetILNS1_3genE10ELNS1_11target_archE1200ELNS1_3gpuE4ELNS1_3repE0EEENS1_30default_config_static_selectorELNS0_4arch9wavefront6targetE0EEEvS11_,comdat
	.protected	_ZN7rocprim17ROCPRIM_400000_NS6detail17trampoline_kernelINS0_14default_configENS1_21merge_config_selectorINS0_5tupleIJiiEEENS0_10empty_typeEEEZNS1_10merge_implIS3_NS0_12zip_iteratorINS5_IJN6thrust23THRUST_200600_302600_NS6detail15normal_iteratorINSC_10device_ptrIKiEEEESI_EEEEESK_NSA_INS5_IJNSC_16discard_iteratorINSC_11use_defaultEEESN_EEEEEPS7_SQ_SQ_NSC_11hip_rocprim7__merge17predicate_wrapperIiiNSC_4lessIiEEEEEE10hipError_tPvRmT0_T1_T2_T3_T4_T5_mmT6_P12ihipStream_tbEUlT_E0_NS1_11comp_targetILNS1_3genE10ELNS1_11target_archE1200ELNS1_3gpuE4ELNS1_3repE0EEENS1_30default_config_static_selectorELNS0_4arch9wavefront6targetE0EEEvS11_ ; -- Begin function _ZN7rocprim17ROCPRIM_400000_NS6detail17trampoline_kernelINS0_14default_configENS1_21merge_config_selectorINS0_5tupleIJiiEEENS0_10empty_typeEEEZNS1_10merge_implIS3_NS0_12zip_iteratorINS5_IJN6thrust23THRUST_200600_302600_NS6detail15normal_iteratorINSC_10device_ptrIKiEEEESI_EEEEESK_NSA_INS5_IJNSC_16discard_iteratorINSC_11use_defaultEEESN_EEEEEPS7_SQ_SQ_NSC_11hip_rocprim7__merge17predicate_wrapperIiiNSC_4lessIiEEEEEE10hipError_tPvRmT0_T1_T2_T3_T4_T5_mmT6_P12ihipStream_tbEUlT_E0_NS1_11comp_targetILNS1_3genE10ELNS1_11target_archE1200ELNS1_3gpuE4ELNS1_3repE0EEENS1_30default_config_static_selectorELNS0_4arch9wavefront6targetE0EEEvS11_
	.globl	_ZN7rocprim17ROCPRIM_400000_NS6detail17trampoline_kernelINS0_14default_configENS1_21merge_config_selectorINS0_5tupleIJiiEEENS0_10empty_typeEEEZNS1_10merge_implIS3_NS0_12zip_iteratorINS5_IJN6thrust23THRUST_200600_302600_NS6detail15normal_iteratorINSC_10device_ptrIKiEEEESI_EEEEESK_NSA_INS5_IJNSC_16discard_iteratorINSC_11use_defaultEEESN_EEEEEPS7_SQ_SQ_NSC_11hip_rocprim7__merge17predicate_wrapperIiiNSC_4lessIiEEEEEE10hipError_tPvRmT0_T1_T2_T3_T4_T5_mmT6_P12ihipStream_tbEUlT_E0_NS1_11comp_targetILNS1_3genE10ELNS1_11target_archE1200ELNS1_3gpuE4ELNS1_3repE0EEENS1_30default_config_static_selectorELNS0_4arch9wavefront6targetE0EEEvS11_
	.p2align	8
	.type	_ZN7rocprim17ROCPRIM_400000_NS6detail17trampoline_kernelINS0_14default_configENS1_21merge_config_selectorINS0_5tupleIJiiEEENS0_10empty_typeEEEZNS1_10merge_implIS3_NS0_12zip_iteratorINS5_IJN6thrust23THRUST_200600_302600_NS6detail15normal_iteratorINSC_10device_ptrIKiEEEESI_EEEEESK_NSA_INS5_IJNSC_16discard_iteratorINSC_11use_defaultEEESN_EEEEEPS7_SQ_SQ_NSC_11hip_rocprim7__merge17predicate_wrapperIiiNSC_4lessIiEEEEEE10hipError_tPvRmT0_T1_T2_T3_T4_T5_mmT6_P12ihipStream_tbEUlT_E0_NS1_11comp_targetILNS1_3genE10ELNS1_11target_archE1200ELNS1_3gpuE4ELNS1_3repE0EEENS1_30default_config_static_selectorELNS0_4arch9wavefront6targetE0EEEvS11_,@function
_ZN7rocprim17ROCPRIM_400000_NS6detail17trampoline_kernelINS0_14default_configENS1_21merge_config_selectorINS0_5tupleIJiiEEENS0_10empty_typeEEEZNS1_10merge_implIS3_NS0_12zip_iteratorINS5_IJN6thrust23THRUST_200600_302600_NS6detail15normal_iteratorINSC_10device_ptrIKiEEEESI_EEEEESK_NSA_INS5_IJNSC_16discard_iteratorINSC_11use_defaultEEESN_EEEEEPS7_SQ_SQ_NSC_11hip_rocprim7__merge17predicate_wrapperIiiNSC_4lessIiEEEEEE10hipError_tPvRmT0_T1_T2_T3_T4_T5_mmT6_P12ihipStream_tbEUlT_E0_NS1_11comp_targetILNS1_3genE10ELNS1_11target_archE1200ELNS1_3gpuE4ELNS1_3repE0EEENS1_30default_config_static_selectorELNS0_4arch9wavefront6targetE0EEEvS11_: ; @_ZN7rocprim17ROCPRIM_400000_NS6detail17trampoline_kernelINS0_14default_configENS1_21merge_config_selectorINS0_5tupleIJiiEEENS0_10empty_typeEEEZNS1_10merge_implIS3_NS0_12zip_iteratorINS5_IJN6thrust23THRUST_200600_302600_NS6detail15normal_iteratorINSC_10device_ptrIKiEEEESI_EEEEESK_NSA_INS5_IJNSC_16discard_iteratorINSC_11use_defaultEEESN_EEEEEPS7_SQ_SQ_NSC_11hip_rocprim7__merge17predicate_wrapperIiiNSC_4lessIiEEEEEE10hipError_tPvRmT0_T1_T2_T3_T4_T5_mmT6_P12ihipStream_tbEUlT_E0_NS1_11comp_targetILNS1_3genE10ELNS1_11target_archE1200ELNS1_3gpuE4ELNS1_3repE0EEENS1_30default_config_static_selectorELNS0_4arch9wavefront6targetE0EEEvS11_
; %bb.0:
	.section	.rodata,"a",@progbits
	.p2align	6, 0x0
	.amdhsa_kernel _ZN7rocprim17ROCPRIM_400000_NS6detail17trampoline_kernelINS0_14default_configENS1_21merge_config_selectorINS0_5tupleIJiiEEENS0_10empty_typeEEEZNS1_10merge_implIS3_NS0_12zip_iteratorINS5_IJN6thrust23THRUST_200600_302600_NS6detail15normal_iteratorINSC_10device_ptrIKiEEEESI_EEEEESK_NSA_INS5_IJNSC_16discard_iteratorINSC_11use_defaultEEESN_EEEEEPS7_SQ_SQ_NSC_11hip_rocprim7__merge17predicate_wrapperIiiNSC_4lessIiEEEEEE10hipError_tPvRmT0_T1_T2_T3_T4_T5_mmT6_P12ihipStream_tbEUlT_E0_NS1_11comp_targetILNS1_3genE10ELNS1_11target_archE1200ELNS1_3gpuE4ELNS1_3repE0EEENS1_30default_config_static_selectorELNS0_4arch9wavefront6targetE0EEEvS11_
		.amdhsa_group_segment_fixed_size 0
		.amdhsa_private_segment_fixed_size 0
		.amdhsa_kernarg_size 128
		.amdhsa_user_sgpr_count 6
		.amdhsa_user_sgpr_private_segment_buffer 1
		.amdhsa_user_sgpr_dispatch_ptr 0
		.amdhsa_user_sgpr_queue_ptr 0
		.amdhsa_user_sgpr_kernarg_segment_ptr 1
		.amdhsa_user_sgpr_dispatch_id 0
		.amdhsa_user_sgpr_flat_scratch_init 0
		.amdhsa_user_sgpr_private_segment_size 0
		.amdhsa_wavefront_size32 1
		.amdhsa_uses_dynamic_stack 0
		.amdhsa_system_sgpr_private_segment_wavefront_offset 0
		.amdhsa_system_sgpr_workgroup_id_x 1
		.amdhsa_system_sgpr_workgroup_id_y 0
		.amdhsa_system_sgpr_workgroup_id_z 0
		.amdhsa_system_sgpr_workgroup_info 0
		.amdhsa_system_vgpr_workitem_id 0
		.amdhsa_next_free_vgpr 1
		.amdhsa_next_free_sgpr 1
		.amdhsa_reserve_vcc 0
		.amdhsa_reserve_flat_scratch 0
		.amdhsa_float_round_mode_32 0
		.amdhsa_float_round_mode_16_64 0
		.amdhsa_float_denorm_mode_32 3
		.amdhsa_float_denorm_mode_16_64 3
		.amdhsa_dx10_clamp 1
		.amdhsa_ieee_mode 1
		.amdhsa_fp16_overflow 0
		.amdhsa_workgroup_processor_mode 1
		.amdhsa_memory_ordered 1
		.amdhsa_forward_progress 1
		.amdhsa_shared_vgpr_count 0
		.amdhsa_exception_fp_ieee_invalid_op 0
		.amdhsa_exception_fp_denorm_src 0
		.amdhsa_exception_fp_ieee_div_zero 0
		.amdhsa_exception_fp_ieee_overflow 0
		.amdhsa_exception_fp_ieee_underflow 0
		.amdhsa_exception_fp_ieee_inexact 0
		.amdhsa_exception_int_div_zero 0
	.end_amdhsa_kernel
	.section	.text._ZN7rocprim17ROCPRIM_400000_NS6detail17trampoline_kernelINS0_14default_configENS1_21merge_config_selectorINS0_5tupleIJiiEEENS0_10empty_typeEEEZNS1_10merge_implIS3_NS0_12zip_iteratorINS5_IJN6thrust23THRUST_200600_302600_NS6detail15normal_iteratorINSC_10device_ptrIKiEEEESI_EEEEESK_NSA_INS5_IJNSC_16discard_iteratorINSC_11use_defaultEEESN_EEEEEPS7_SQ_SQ_NSC_11hip_rocprim7__merge17predicate_wrapperIiiNSC_4lessIiEEEEEE10hipError_tPvRmT0_T1_T2_T3_T4_T5_mmT6_P12ihipStream_tbEUlT_E0_NS1_11comp_targetILNS1_3genE10ELNS1_11target_archE1200ELNS1_3gpuE4ELNS1_3repE0EEENS1_30default_config_static_selectorELNS0_4arch9wavefront6targetE0EEEvS11_,"axG",@progbits,_ZN7rocprim17ROCPRIM_400000_NS6detail17trampoline_kernelINS0_14default_configENS1_21merge_config_selectorINS0_5tupleIJiiEEENS0_10empty_typeEEEZNS1_10merge_implIS3_NS0_12zip_iteratorINS5_IJN6thrust23THRUST_200600_302600_NS6detail15normal_iteratorINSC_10device_ptrIKiEEEESI_EEEEESK_NSA_INS5_IJNSC_16discard_iteratorINSC_11use_defaultEEESN_EEEEEPS7_SQ_SQ_NSC_11hip_rocprim7__merge17predicate_wrapperIiiNSC_4lessIiEEEEEE10hipError_tPvRmT0_T1_T2_T3_T4_T5_mmT6_P12ihipStream_tbEUlT_E0_NS1_11comp_targetILNS1_3genE10ELNS1_11target_archE1200ELNS1_3gpuE4ELNS1_3repE0EEENS1_30default_config_static_selectorELNS0_4arch9wavefront6targetE0EEEvS11_,comdat
.Lfunc_end602:
	.size	_ZN7rocprim17ROCPRIM_400000_NS6detail17trampoline_kernelINS0_14default_configENS1_21merge_config_selectorINS0_5tupleIJiiEEENS0_10empty_typeEEEZNS1_10merge_implIS3_NS0_12zip_iteratorINS5_IJN6thrust23THRUST_200600_302600_NS6detail15normal_iteratorINSC_10device_ptrIKiEEEESI_EEEEESK_NSA_INS5_IJNSC_16discard_iteratorINSC_11use_defaultEEESN_EEEEEPS7_SQ_SQ_NSC_11hip_rocprim7__merge17predicate_wrapperIiiNSC_4lessIiEEEEEE10hipError_tPvRmT0_T1_T2_T3_T4_T5_mmT6_P12ihipStream_tbEUlT_E0_NS1_11comp_targetILNS1_3genE10ELNS1_11target_archE1200ELNS1_3gpuE4ELNS1_3repE0EEENS1_30default_config_static_selectorELNS0_4arch9wavefront6targetE0EEEvS11_, .Lfunc_end602-_ZN7rocprim17ROCPRIM_400000_NS6detail17trampoline_kernelINS0_14default_configENS1_21merge_config_selectorINS0_5tupleIJiiEEENS0_10empty_typeEEEZNS1_10merge_implIS3_NS0_12zip_iteratorINS5_IJN6thrust23THRUST_200600_302600_NS6detail15normal_iteratorINSC_10device_ptrIKiEEEESI_EEEEESK_NSA_INS5_IJNSC_16discard_iteratorINSC_11use_defaultEEESN_EEEEEPS7_SQ_SQ_NSC_11hip_rocprim7__merge17predicate_wrapperIiiNSC_4lessIiEEEEEE10hipError_tPvRmT0_T1_T2_T3_T4_T5_mmT6_P12ihipStream_tbEUlT_E0_NS1_11comp_targetILNS1_3genE10ELNS1_11target_archE1200ELNS1_3gpuE4ELNS1_3repE0EEENS1_30default_config_static_selectorELNS0_4arch9wavefront6targetE0EEEvS11_
                                        ; -- End function
	.set _ZN7rocprim17ROCPRIM_400000_NS6detail17trampoline_kernelINS0_14default_configENS1_21merge_config_selectorINS0_5tupleIJiiEEENS0_10empty_typeEEEZNS1_10merge_implIS3_NS0_12zip_iteratorINS5_IJN6thrust23THRUST_200600_302600_NS6detail15normal_iteratorINSC_10device_ptrIKiEEEESI_EEEEESK_NSA_INS5_IJNSC_16discard_iteratorINSC_11use_defaultEEESN_EEEEEPS7_SQ_SQ_NSC_11hip_rocprim7__merge17predicate_wrapperIiiNSC_4lessIiEEEEEE10hipError_tPvRmT0_T1_T2_T3_T4_T5_mmT6_P12ihipStream_tbEUlT_E0_NS1_11comp_targetILNS1_3genE10ELNS1_11target_archE1200ELNS1_3gpuE4ELNS1_3repE0EEENS1_30default_config_static_selectorELNS0_4arch9wavefront6targetE0EEEvS11_.num_vgpr, 0
	.set _ZN7rocprim17ROCPRIM_400000_NS6detail17trampoline_kernelINS0_14default_configENS1_21merge_config_selectorINS0_5tupleIJiiEEENS0_10empty_typeEEEZNS1_10merge_implIS3_NS0_12zip_iteratorINS5_IJN6thrust23THRUST_200600_302600_NS6detail15normal_iteratorINSC_10device_ptrIKiEEEESI_EEEEESK_NSA_INS5_IJNSC_16discard_iteratorINSC_11use_defaultEEESN_EEEEEPS7_SQ_SQ_NSC_11hip_rocprim7__merge17predicate_wrapperIiiNSC_4lessIiEEEEEE10hipError_tPvRmT0_T1_T2_T3_T4_T5_mmT6_P12ihipStream_tbEUlT_E0_NS1_11comp_targetILNS1_3genE10ELNS1_11target_archE1200ELNS1_3gpuE4ELNS1_3repE0EEENS1_30default_config_static_selectorELNS0_4arch9wavefront6targetE0EEEvS11_.num_agpr, 0
	.set _ZN7rocprim17ROCPRIM_400000_NS6detail17trampoline_kernelINS0_14default_configENS1_21merge_config_selectorINS0_5tupleIJiiEEENS0_10empty_typeEEEZNS1_10merge_implIS3_NS0_12zip_iteratorINS5_IJN6thrust23THRUST_200600_302600_NS6detail15normal_iteratorINSC_10device_ptrIKiEEEESI_EEEEESK_NSA_INS5_IJNSC_16discard_iteratorINSC_11use_defaultEEESN_EEEEEPS7_SQ_SQ_NSC_11hip_rocprim7__merge17predicate_wrapperIiiNSC_4lessIiEEEEEE10hipError_tPvRmT0_T1_T2_T3_T4_T5_mmT6_P12ihipStream_tbEUlT_E0_NS1_11comp_targetILNS1_3genE10ELNS1_11target_archE1200ELNS1_3gpuE4ELNS1_3repE0EEENS1_30default_config_static_selectorELNS0_4arch9wavefront6targetE0EEEvS11_.numbered_sgpr, 0
	.set _ZN7rocprim17ROCPRIM_400000_NS6detail17trampoline_kernelINS0_14default_configENS1_21merge_config_selectorINS0_5tupleIJiiEEENS0_10empty_typeEEEZNS1_10merge_implIS3_NS0_12zip_iteratorINS5_IJN6thrust23THRUST_200600_302600_NS6detail15normal_iteratorINSC_10device_ptrIKiEEEESI_EEEEESK_NSA_INS5_IJNSC_16discard_iteratorINSC_11use_defaultEEESN_EEEEEPS7_SQ_SQ_NSC_11hip_rocprim7__merge17predicate_wrapperIiiNSC_4lessIiEEEEEE10hipError_tPvRmT0_T1_T2_T3_T4_T5_mmT6_P12ihipStream_tbEUlT_E0_NS1_11comp_targetILNS1_3genE10ELNS1_11target_archE1200ELNS1_3gpuE4ELNS1_3repE0EEENS1_30default_config_static_selectorELNS0_4arch9wavefront6targetE0EEEvS11_.num_named_barrier, 0
	.set _ZN7rocprim17ROCPRIM_400000_NS6detail17trampoline_kernelINS0_14default_configENS1_21merge_config_selectorINS0_5tupleIJiiEEENS0_10empty_typeEEEZNS1_10merge_implIS3_NS0_12zip_iteratorINS5_IJN6thrust23THRUST_200600_302600_NS6detail15normal_iteratorINSC_10device_ptrIKiEEEESI_EEEEESK_NSA_INS5_IJNSC_16discard_iteratorINSC_11use_defaultEEESN_EEEEEPS7_SQ_SQ_NSC_11hip_rocprim7__merge17predicate_wrapperIiiNSC_4lessIiEEEEEE10hipError_tPvRmT0_T1_T2_T3_T4_T5_mmT6_P12ihipStream_tbEUlT_E0_NS1_11comp_targetILNS1_3genE10ELNS1_11target_archE1200ELNS1_3gpuE4ELNS1_3repE0EEENS1_30default_config_static_selectorELNS0_4arch9wavefront6targetE0EEEvS11_.private_seg_size, 0
	.set _ZN7rocprim17ROCPRIM_400000_NS6detail17trampoline_kernelINS0_14default_configENS1_21merge_config_selectorINS0_5tupleIJiiEEENS0_10empty_typeEEEZNS1_10merge_implIS3_NS0_12zip_iteratorINS5_IJN6thrust23THRUST_200600_302600_NS6detail15normal_iteratorINSC_10device_ptrIKiEEEESI_EEEEESK_NSA_INS5_IJNSC_16discard_iteratorINSC_11use_defaultEEESN_EEEEEPS7_SQ_SQ_NSC_11hip_rocprim7__merge17predicate_wrapperIiiNSC_4lessIiEEEEEE10hipError_tPvRmT0_T1_T2_T3_T4_T5_mmT6_P12ihipStream_tbEUlT_E0_NS1_11comp_targetILNS1_3genE10ELNS1_11target_archE1200ELNS1_3gpuE4ELNS1_3repE0EEENS1_30default_config_static_selectorELNS0_4arch9wavefront6targetE0EEEvS11_.uses_vcc, 0
	.set _ZN7rocprim17ROCPRIM_400000_NS6detail17trampoline_kernelINS0_14default_configENS1_21merge_config_selectorINS0_5tupleIJiiEEENS0_10empty_typeEEEZNS1_10merge_implIS3_NS0_12zip_iteratorINS5_IJN6thrust23THRUST_200600_302600_NS6detail15normal_iteratorINSC_10device_ptrIKiEEEESI_EEEEESK_NSA_INS5_IJNSC_16discard_iteratorINSC_11use_defaultEEESN_EEEEEPS7_SQ_SQ_NSC_11hip_rocprim7__merge17predicate_wrapperIiiNSC_4lessIiEEEEEE10hipError_tPvRmT0_T1_T2_T3_T4_T5_mmT6_P12ihipStream_tbEUlT_E0_NS1_11comp_targetILNS1_3genE10ELNS1_11target_archE1200ELNS1_3gpuE4ELNS1_3repE0EEENS1_30default_config_static_selectorELNS0_4arch9wavefront6targetE0EEEvS11_.uses_flat_scratch, 0
	.set _ZN7rocprim17ROCPRIM_400000_NS6detail17trampoline_kernelINS0_14default_configENS1_21merge_config_selectorINS0_5tupleIJiiEEENS0_10empty_typeEEEZNS1_10merge_implIS3_NS0_12zip_iteratorINS5_IJN6thrust23THRUST_200600_302600_NS6detail15normal_iteratorINSC_10device_ptrIKiEEEESI_EEEEESK_NSA_INS5_IJNSC_16discard_iteratorINSC_11use_defaultEEESN_EEEEEPS7_SQ_SQ_NSC_11hip_rocprim7__merge17predicate_wrapperIiiNSC_4lessIiEEEEEE10hipError_tPvRmT0_T1_T2_T3_T4_T5_mmT6_P12ihipStream_tbEUlT_E0_NS1_11comp_targetILNS1_3genE10ELNS1_11target_archE1200ELNS1_3gpuE4ELNS1_3repE0EEENS1_30default_config_static_selectorELNS0_4arch9wavefront6targetE0EEEvS11_.has_dyn_sized_stack, 0
	.set _ZN7rocprim17ROCPRIM_400000_NS6detail17trampoline_kernelINS0_14default_configENS1_21merge_config_selectorINS0_5tupleIJiiEEENS0_10empty_typeEEEZNS1_10merge_implIS3_NS0_12zip_iteratorINS5_IJN6thrust23THRUST_200600_302600_NS6detail15normal_iteratorINSC_10device_ptrIKiEEEESI_EEEEESK_NSA_INS5_IJNSC_16discard_iteratorINSC_11use_defaultEEESN_EEEEEPS7_SQ_SQ_NSC_11hip_rocprim7__merge17predicate_wrapperIiiNSC_4lessIiEEEEEE10hipError_tPvRmT0_T1_T2_T3_T4_T5_mmT6_P12ihipStream_tbEUlT_E0_NS1_11comp_targetILNS1_3genE10ELNS1_11target_archE1200ELNS1_3gpuE4ELNS1_3repE0EEENS1_30default_config_static_selectorELNS0_4arch9wavefront6targetE0EEEvS11_.has_recursion, 0
	.set _ZN7rocprim17ROCPRIM_400000_NS6detail17trampoline_kernelINS0_14default_configENS1_21merge_config_selectorINS0_5tupleIJiiEEENS0_10empty_typeEEEZNS1_10merge_implIS3_NS0_12zip_iteratorINS5_IJN6thrust23THRUST_200600_302600_NS6detail15normal_iteratorINSC_10device_ptrIKiEEEESI_EEEEESK_NSA_INS5_IJNSC_16discard_iteratorINSC_11use_defaultEEESN_EEEEEPS7_SQ_SQ_NSC_11hip_rocprim7__merge17predicate_wrapperIiiNSC_4lessIiEEEEEE10hipError_tPvRmT0_T1_T2_T3_T4_T5_mmT6_P12ihipStream_tbEUlT_E0_NS1_11comp_targetILNS1_3genE10ELNS1_11target_archE1200ELNS1_3gpuE4ELNS1_3repE0EEENS1_30default_config_static_selectorELNS0_4arch9wavefront6targetE0EEEvS11_.has_indirect_call, 0
	.section	.AMDGPU.csdata,"",@progbits
; Kernel info:
; codeLenInByte = 0
; TotalNumSgprs: 0
; NumVgprs: 0
; ScratchSize: 0
; MemoryBound: 0
; FloatMode: 240
; IeeeMode: 1
; LDSByteSize: 0 bytes/workgroup (compile time only)
; SGPRBlocks: 0
; VGPRBlocks: 0
; NumSGPRsForWavesPerEU: 1
; NumVGPRsForWavesPerEU: 1
; Occupancy: 16
; WaveLimiterHint : 0
; COMPUTE_PGM_RSRC2:SCRATCH_EN: 0
; COMPUTE_PGM_RSRC2:USER_SGPR: 6
; COMPUTE_PGM_RSRC2:TRAP_HANDLER: 0
; COMPUTE_PGM_RSRC2:TGID_X_EN: 1
; COMPUTE_PGM_RSRC2:TGID_Y_EN: 0
; COMPUTE_PGM_RSRC2:TGID_Z_EN: 0
; COMPUTE_PGM_RSRC2:TIDIG_COMP_CNT: 0
	.section	.text._ZN7rocprim17ROCPRIM_400000_NS6detail17trampoline_kernelINS0_14default_configENS1_21merge_config_selectorINS0_5tupleIJiiEEENS0_10empty_typeEEEZNS1_10merge_implIS3_NS0_12zip_iteratorINS5_IJN6thrust23THRUST_200600_302600_NS6detail15normal_iteratorINSC_10device_ptrIKiEEEESI_EEEEESK_NSA_INS5_IJNSC_16discard_iteratorINSC_11use_defaultEEESN_EEEEEPS7_SQ_SQ_NSC_11hip_rocprim7__merge17predicate_wrapperIiiNSC_4lessIiEEEEEE10hipError_tPvRmT0_T1_T2_T3_T4_T5_mmT6_P12ihipStream_tbEUlT_E0_NS1_11comp_targetILNS1_3genE9ELNS1_11target_archE1100ELNS1_3gpuE3ELNS1_3repE0EEENS1_30default_config_static_selectorELNS0_4arch9wavefront6targetE0EEEvS11_,"axG",@progbits,_ZN7rocprim17ROCPRIM_400000_NS6detail17trampoline_kernelINS0_14default_configENS1_21merge_config_selectorINS0_5tupleIJiiEEENS0_10empty_typeEEEZNS1_10merge_implIS3_NS0_12zip_iteratorINS5_IJN6thrust23THRUST_200600_302600_NS6detail15normal_iteratorINSC_10device_ptrIKiEEEESI_EEEEESK_NSA_INS5_IJNSC_16discard_iteratorINSC_11use_defaultEEESN_EEEEEPS7_SQ_SQ_NSC_11hip_rocprim7__merge17predicate_wrapperIiiNSC_4lessIiEEEEEE10hipError_tPvRmT0_T1_T2_T3_T4_T5_mmT6_P12ihipStream_tbEUlT_E0_NS1_11comp_targetILNS1_3genE9ELNS1_11target_archE1100ELNS1_3gpuE3ELNS1_3repE0EEENS1_30default_config_static_selectorELNS0_4arch9wavefront6targetE0EEEvS11_,comdat
	.protected	_ZN7rocprim17ROCPRIM_400000_NS6detail17trampoline_kernelINS0_14default_configENS1_21merge_config_selectorINS0_5tupleIJiiEEENS0_10empty_typeEEEZNS1_10merge_implIS3_NS0_12zip_iteratorINS5_IJN6thrust23THRUST_200600_302600_NS6detail15normal_iteratorINSC_10device_ptrIKiEEEESI_EEEEESK_NSA_INS5_IJNSC_16discard_iteratorINSC_11use_defaultEEESN_EEEEEPS7_SQ_SQ_NSC_11hip_rocprim7__merge17predicate_wrapperIiiNSC_4lessIiEEEEEE10hipError_tPvRmT0_T1_T2_T3_T4_T5_mmT6_P12ihipStream_tbEUlT_E0_NS1_11comp_targetILNS1_3genE9ELNS1_11target_archE1100ELNS1_3gpuE3ELNS1_3repE0EEENS1_30default_config_static_selectorELNS0_4arch9wavefront6targetE0EEEvS11_ ; -- Begin function _ZN7rocprim17ROCPRIM_400000_NS6detail17trampoline_kernelINS0_14default_configENS1_21merge_config_selectorINS0_5tupleIJiiEEENS0_10empty_typeEEEZNS1_10merge_implIS3_NS0_12zip_iteratorINS5_IJN6thrust23THRUST_200600_302600_NS6detail15normal_iteratorINSC_10device_ptrIKiEEEESI_EEEEESK_NSA_INS5_IJNSC_16discard_iteratorINSC_11use_defaultEEESN_EEEEEPS7_SQ_SQ_NSC_11hip_rocprim7__merge17predicate_wrapperIiiNSC_4lessIiEEEEEE10hipError_tPvRmT0_T1_T2_T3_T4_T5_mmT6_P12ihipStream_tbEUlT_E0_NS1_11comp_targetILNS1_3genE9ELNS1_11target_archE1100ELNS1_3gpuE3ELNS1_3repE0EEENS1_30default_config_static_selectorELNS0_4arch9wavefront6targetE0EEEvS11_
	.globl	_ZN7rocprim17ROCPRIM_400000_NS6detail17trampoline_kernelINS0_14default_configENS1_21merge_config_selectorINS0_5tupleIJiiEEENS0_10empty_typeEEEZNS1_10merge_implIS3_NS0_12zip_iteratorINS5_IJN6thrust23THRUST_200600_302600_NS6detail15normal_iteratorINSC_10device_ptrIKiEEEESI_EEEEESK_NSA_INS5_IJNSC_16discard_iteratorINSC_11use_defaultEEESN_EEEEEPS7_SQ_SQ_NSC_11hip_rocprim7__merge17predicate_wrapperIiiNSC_4lessIiEEEEEE10hipError_tPvRmT0_T1_T2_T3_T4_T5_mmT6_P12ihipStream_tbEUlT_E0_NS1_11comp_targetILNS1_3genE9ELNS1_11target_archE1100ELNS1_3gpuE3ELNS1_3repE0EEENS1_30default_config_static_selectorELNS0_4arch9wavefront6targetE0EEEvS11_
	.p2align	8
	.type	_ZN7rocprim17ROCPRIM_400000_NS6detail17trampoline_kernelINS0_14default_configENS1_21merge_config_selectorINS0_5tupleIJiiEEENS0_10empty_typeEEEZNS1_10merge_implIS3_NS0_12zip_iteratorINS5_IJN6thrust23THRUST_200600_302600_NS6detail15normal_iteratorINSC_10device_ptrIKiEEEESI_EEEEESK_NSA_INS5_IJNSC_16discard_iteratorINSC_11use_defaultEEESN_EEEEEPS7_SQ_SQ_NSC_11hip_rocprim7__merge17predicate_wrapperIiiNSC_4lessIiEEEEEE10hipError_tPvRmT0_T1_T2_T3_T4_T5_mmT6_P12ihipStream_tbEUlT_E0_NS1_11comp_targetILNS1_3genE9ELNS1_11target_archE1100ELNS1_3gpuE3ELNS1_3repE0EEENS1_30default_config_static_selectorELNS0_4arch9wavefront6targetE0EEEvS11_,@function
_ZN7rocprim17ROCPRIM_400000_NS6detail17trampoline_kernelINS0_14default_configENS1_21merge_config_selectorINS0_5tupleIJiiEEENS0_10empty_typeEEEZNS1_10merge_implIS3_NS0_12zip_iteratorINS5_IJN6thrust23THRUST_200600_302600_NS6detail15normal_iteratorINSC_10device_ptrIKiEEEESI_EEEEESK_NSA_INS5_IJNSC_16discard_iteratorINSC_11use_defaultEEESN_EEEEEPS7_SQ_SQ_NSC_11hip_rocprim7__merge17predicate_wrapperIiiNSC_4lessIiEEEEEE10hipError_tPvRmT0_T1_T2_T3_T4_T5_mmT6_P12ihipStream_tbEUlT_E0_NS1_11comp_targetILNS1_3genE9ELNS1_11target_archE1100ELNS1_3gpuE3ELNS1_3repE0EEENS1_30default_config_static_selectorELNS0_4arch9wavefront6targetE0EEEvS11_: ; @_ZN7rocprim17ROCPRIM_400000_NS6detail17trampoline_kernelINS0_14default_configENS1_21merge_config_selectorINS0_5tupleIJiiEEENS0_10empty_typeEEEZNS1_10merge_implIS3_NS0_12zip_iteratorINS5_IJN6thrust23THRUST_200600_302600_NS6detail15normal_iteratorINSC_10device_ptrIKiEEEESI_EEEEESK_NSA_INS5_IJNSC_16discard_iteratorINSC_11use_defaultEEESN_EEEEEPS7_SQ_SQ_NSC_11hip_rocprim7__merge17predicate_wrapperIiiNSC_4lessIiEEEEEE10hipError_tPvRmT0_T1_T2_T3_T4_T5_mmT6_P12ihipStream_tbEUlT_E0_NS1_11comp_targetILNS1_3genE9ELNS1_11target_archE1100ELNS1_3gpuE3ELNS1_3repE0EEENS1_30default_config_static_selectorELNS0_4arch9wavefront6targetE0EEEvS11_
; %bb.0:
	.section	.rodata,"a",@progbits
	.p2align	6, 0x0
	.amdhsa_kernel _ZN7rocprim17ROCPRIM_400000_NS6detail17trampoline_kernelINS0_14default_configENS1_21merge_config_selectorINS0_5tupleIJiiEEENS0_10empty_typeEEEZNS1_10merge_implIS3_NS0_12zip_iteratorINS5_IJN6thrust23THRUST_200600_302600_NS6detail15normal_iteratorINSC_10device_ptrIKiEEEESI_EEEEESK_NSA_INS5_IJNSC_16discard_iteratorINSC_11use_defaultEEESN_EEEEEPS7_SQ_SQ_NSC_11hip_rocprim7__merge17predicate_wrapperIiiNSC_4lessIiEEEEEE10hipError_tPvRmT0_T1_T2_T3_T4_T5_mmT6_P12ihipStream_tbEUlT_E0_NS1_11comp_targetILNS1_3genE9ELNS1_11target_archE1100ELNS1_3gpuE3ELNS1_3repE0EEENS1_30default_config_static_selectorELNS0_4arch9wavefront6targetE0EEEvS11_
		.amdhsa_group_segment_fixed_size 0
		.amdhsa_private_segment_fixed_size 0
		.amdhsa_kernarg_size 128
		.amdhsa_user_sgpr_count 6
		.amdhsa_user_sgpr_private_segment_buffer 1
		.amdhsa_user_sgpr_dispatch_ptr 0
		.amdhsa_user_sgpr_queue_ptr 0
		.amdhsa_user_sgpr_kernarg_segment_ptr 1
		.amdhsa_user_sgpr_dispatch_id 0
		.amdhsa_user_sgpr_flat_scratch_init 0
		.amdhsa_user_sgpr_private_segment_size 0
		.amdhsa_wavefront_size32 1
		.amdhsa_uses_dynamic_stack 0
		.amdhsa_system_sgpr_private_segment_wavefront_offset 0
		.amdhsa_system_sgpr_workgroup_id_x 1
		.amdhsa_system_sgpr_workgroup_id_y 0
		.amdhsa_system_sgpr_workgroup_id_z 0
		.amdhsa_system_sgpr_workgroup_info 0
		.amdhsa_system_vgpr_workitem_id 0
		.amdhsa_next_free_vgpr 1
		.amdhsa_next_free_sgpr 1
		.amdhsa_reserve_vcc 0
		.amdhsa_reserve_flat_scratch 0
		.amdhsa_float_round_mode_32 0
		.amdhsa_float_round_mode_16_64 0
		.amdhsa_float_denorm_mode_32 3
		.amdhsa_float_denorm_mode_16_64 3
		.amdhsa_dx10_clamp 1
		.amdhsa_ieee_mode 1
		.amdhsa_fp16_overflow 0
		.amdhsa_workgroup_processor_mode 1
		.amdhsa_memory_ordered 1
		.amdhsa_forward_progress 1
		.amdhsa_shared_vgpr_count 0
		.amdhsa_exception_fp_ieee_invalid_op 0
		.amdhsa_exception_fp_denorm_src 0
		.amdhsa_exception_fp_ieee_div_zero 0
		.amdhsa_exception_fp_ieee_overflow 0
		.amdhsa_exception_fp_ieee_underflow 0
		.amdhsa_exception_fp_ieee_inexact 0
		.amdhsa_exception_int_div_zero 0
	.end_amdhsa_kernel
	.section	.text._ZN7rocprim17ROCPRIM_400000_NS6detail17trampoline_kernelINS0_14default_configENS1_21merge_config_selectorINS0_5tupleIJiiEEENS0_10empty_typeEEEZNS1_10merge_implIS3_NS0_12zip_iteratorINS5_IJN6thrust23THRUST_200600_302600_NS6detail15normal_iteratorINSC_10device_ptrIKiEEEESI_EEEEESK_NSA_INS5_IJNSC_16discard_iteratorINSC_11use_defaultEEESN_EEEEEPS7_SQ_SQ_NSC_11hip_rocprim7__merge17predicate_wrapperIiiNSC_4lessIiEEEEEE10hipError_tPvRmT0_T1_T2_T3_T4_T5_mmT6_P12ihipStream_tbEUlT_E0_NS1_11comp_targetILNS1_3genE9ELNS1_11target_archE1100ELNS1_3gpuE3ELNS1_3repE0EEENS1_30default_config_static_selectorELNS0_4arch9wavefront6targetE0EEEvS11_,"axG",@progbits,_ZN7rocprim17ROCPRIM_400000_NS6detail17trampoline_kernelINS0_14default_configENS1_21merge_config_selectorINS0_5tupleIJiiEEENS0_10empty_typeEEEZNS1_10merge_implIS3_NS0_12zip_iteratorINS5_IJN6thrust23THRUST_200600_302600_NS6detail15normal_iteratorINSC_10device_ptrIKiEEEESI_EEEEESK_NSA_INS5_IJNSC_16discard_iteratorINSC_11use_defaultEEESN_EEEEEPS7_SQ_SQ_NSC_11hip_rocprim7__merge17predicate_wrapperIiiNSC_4lessIiEEEEEE10hipError_tPvRmT0_T1_T2_T3_T4_T5_mmT6_P12ihipStream_tbEUlT_E0_NS1_11comp_targetILNS1_3genE9ELNS1_11target_archE1100ELNS1_3gpuE3ELNS1_3repE0EEENS1_30default_config_static_selectorELNS0_4arch9wavefront6targetE0EEEvS11_,comdat
.Lfunc_end603:
	.size	_ZN7rocprim17ROCPRIM_400000_NS6detail17trampoline_kernelINS0_14default_configENS1_21merge_config_selectorINS0_5tupleIJiiEEENS0_10empty_typeEEEZNS1_10merge_implIS3_NS0_12zip_iteratorINS5_IJN6thrust23THRUST_200600_302600_NS6detail15normal_iteratorINSC_10device_ptrIKiEEEESI_EEEEESK_NSA_INS5_IJNSC_16discard_iteratorINSC_11use_defaultEEESN_EEEEEPS7_SQ_SQ_NSC_11hip_rocprim7__merge17predicate_wrapperIiiNSC_4lessIiEEEEEE10hipError_tPvRmT0_T1_T2_T3_T4_T5_mmT6_P12ihipStream_tbEUlT_E0_NS1_11comp_targetILNS1_3genE9ELNS1_11target_archE1100ELNS1_3gpuE3ELNS1_3repE0EEENS1_30default_config_static_selectorELNS0_4arch9wavefront6targetE0EEEvS11_, .Lfunc_end603-_ZN7rocprim17ROCPRIM_400000_NS6detail17trampoline_kernelINS0_14default_configENS1_21merge_config_selectorINS0_5tupleIJiiEEENS0_10empty_typeEEEZNS1_10merge_implIS3_NS0_12zip_iteratorINS5_IJN6thrust23THRUST_200600_302600_NS6detail15normal_iteratorINSC_10device_ptrIKiEEEESI_EEEEESK_NSA_INS5_IJNSC_16discard_iteratorINSC_11use_defaultEEESN_EEEEEPS7_SQ_SQ_NSC_11hip_rocprim7__merge17predicate_wrapperIiiNSC_4lessIiEEEEEE10hipError_tPvRmT0_T1_T2_T3_T4_T5_mmT6_P12ihipStream_tbEUlT_E0_NS1_11comp_targetILNS1_3genE9ELNS1_11target_archE1100ELNS1_3gpuE3ELNS1_3repE0EEENS1_30default_config_static_selectorELNS0_4arch9wavefront6targetE0EEEvS11_
                                        ; -- End function
	.set _ZN7rocprim17ROCPRIM_400000_NS6detail17trampoline_kernelINS0_14default_configENS1_21merge_config_selectorINS0_5tupleIJiiEEENS0_10empty_typeEEEZNS1_10merge_implIS3_NS0_12zip_iteratorINS5_IJN6thrust23THRUST_200600_302600_NS6detail15normal_iteratorINSC_10device_ptrIKiEEEESI_EEEEESK_NSA_INS5_IJNSC_16discard_iteratorINSC_11use_defaultEEESN_EEEEEPS7_SQ_SQ_NSC_11hip_rocprim7__merge17predicate_wrapperIiiNSC_4lessIiEEEEEE10hipError_tPvRmT0_T1_T2_T3_T4_T5_mmT6_P12ihipStream_tbEUlT_E0_NS1_11comp_targetILNS1_3genE9ELNS1_11target_archE1100ELNS1_3gpuE3ELNS1_3repE0EEENS1_30default_config_static_selectorELNS0_4arch9wavefront6targetE0EEEvS11_.num_vgpr, 0
	.set _ZN7rocprim17ROCPRIM_400000_NS6detail17trampoline_kernelINS0_14default_configENS1_21merge_config_selectorINS0_5tupleIJiiEEENS0_10empty_typeEEEZNS1_10merge_implIS3_NS0_12zip_iteratorINS5_IJN6thrust23THRUST_200600_302600_NS6detail15normal_iteratorINSC_10device_ptrIKiEEEESI_EEEEESK_NSA_INS5_IJNSC_16discard_iteratorINSC_11use_defaultEEESN_EEEEEPS7_SQ_SQ_NSC_11hip_rocprim7__merge17predicate_wrapperIiiNSC_4lessIiEEEEEE10hipError_tPvRmT0_T1_T2_T3_T4_T5_mmT6_P12ihipStream_tbEUlT_E0_NS1_11comp_targetILNS1_3genE9ELNS1_11target_archE1100ELNS1_3gpuE3ELNS1_3repE0EEENS1_30default_config_static_selectorELNS0_4arch9wavefront6targetE0EEEvS11_.num_agpr, 0
	.set _ZN7rocprim17ROCPRIM_400000_NS6detail17trampoline_kernelINS0_14default_configENS1_21merge_config_selectorINS0_5tupleIJiiEEENS0_10empty_typeEEEZNS1_10merge_implIS3_NS0_12zip_iteratorINS5_IJN6thrust23THRUST_200600_302600_NS6detail15normal_iteratorINSC_10device_ptrIKiEEEESI_EEEEESK_NSA_INS5_IJNSC_16discard_iteratorINSC_11use_defaultEEESN_EEEEEPS7_SQ_SQ_NSC_11hip_rocprim7__merge17predicate_wrapperIiiNSC_4lessIiEEEEEE10hipError_tPvRmT0_T1_T2_T3_T4_T5_mmT6_P12ihipStream_tbEUlT_E0_NS1_11comp_targetILNS1_3genE9ELNS1_11target_archE1100ELNS1_3gpuE3ELNS1_3repE0EEENS1_30default_config_static_selectorELNS0_4arch9wavefront6targetE0EEEvS11_.numbered_sgpr, 0
	.set _ZN7rocprim17ROCPRIM_400000_NS6detail17trampoline_kernelINS0_14default_configENS1_21merge_config_selectorINS0_5tupleIJiiEEENS0_10empty_typeEEEZNS1_10merge_implIS3_NS0_12zip_iteratorINS5_IJN6thrust23THRUST_200600_302600_NS6detail15normal_iteratorINSC_10device_ptrIKiEEEESI_EEEEESK_NSA_INS5_IJNSC_16discard_iteratorINSC_11use_defaultEEESN_EEEEEPS7_SQ_SQ_NSC_11hip_rocprim7__merge17predicate_wrapperIiiNSC_4lessIiEEEEEE10hipError_tPvRmT0_T1_T2_T3_T4_T5_mmT6_P12ihipStream_tbEUlT_E0_NS1_11comp_targetILNS1_3genE9ELNS1_11target_archE1100ELNS1_3gpuE3ELNS1_3repE0EEENS1_30default_config_static_selectorELNS0_4arch9wavefront6targetE0EEEvS11_.num_named_barrier, 0
	.set _ZN7rocprim17ROCPRIM_400000_NS6detail17trampoline_kernelINS0_14default_configENS1_21merge_config_selectorINS0_5tupleIJiiEEENS0_10empty_typeEEEZNS1_10merge_implIS3_NS0_12zip_iteratorINS5_IJN6thrust23THRUST_200600_302600_NS6detail15normal_iteratorINSC_10device_ptrIKiEEEESI_EEEEESK_NSA_INS5_IJNSC_16discard_iteratorINSC_11use_defaultEEESN_EEEEEPS7_SQ_SQ_NSC_11hip_rocprim7__merge17predicate_wrapperIiiNSC_4lessIiEEEEEE10hipError_tPvRmT0_T1_T2_T3_T4_T5_mmT6_P12ihipStream_tbEUlT_E0_NS1_11comp_targetILNS1_3genE9ELNS1_11target_archE1100ELNS1_3gpuE3ELNS1_3repE0EEENS1_30default_config_static_selectorELNS0_4arch9wavefront6targetE0EEEvS11_.private_seg_size, 0
	.set _ZN7rocprim17ROCPRIM_400000_NS6detail17trampoline_kernelINS0_14default_configENS1_21merge_config_selectorINS0_5tupleIJiiEEENS0_10empty_typeEEEZNS1_10merge_implIS3_NS0_12zip_iteratorINS5_IJN6thrust23THRUST_200600_302600_NS6detail15normal_iteratorINSC_10device_ptrIKiEEEESI_EEEEESK_NSA_INS5_IJNSC_16discard_iteratorINSC_11use_defaultEEESN_EEEEEPS7_SQ_SQ_NSC_11hip_rocprim7__merge17predicate_wrapperIiiNSC_4lessIiEEEEEE10hipError_tPvRmT0_T1_T2_T3_T4_T5_mmT6_P12ihipStream_tbEUlT_E0_NS1_11comp_targetILNS1_3genE9ELNS1_11target_archE1100ELNS1_3gpuE3ELNS1_3repE0EEENS1_30default_config_static_selectorELNS0_4arch9wavefront6targetE0EEEvS11_.uses_vcc, 0
	.set _ZN7rocprim17ROCPRIM_400000_NS6detail17trampoline_kernelINS0_14default_configENS1_21merge_config_selectorINS0_5tupleIJiiEEENS0_10empty_typeEEEZNS1_10merge_implIS3_NS0_12zip_iteratorINS5_IJN6thrust23THRUST_200600_302600_NS6detail15normal_iteratorINSC_10device_ptrIKiEEEESI_EEEEESK_NSA_INS5_IJNSC_16discard_iteratorINSC_11use_defaultEEESN_EEEEEPS7_SQ_SQ_NSC_11hip_rocprim7__merge17predicate_wrapperIiiNSC_4lessIiEEEEEE10hipError_tPvRmT0_T1_T2_T3_T4_T5_mmT6_P12ihipStream_tbEUlT_E0_NS1_11comp_targetILNS1_3genE9ELNS1_11target_archE1100ELNS1_3gpuE3ELNS1_3repE0EEENS1_30default_config_static_selectorELNS0_4arch9wavefront6targetE0EEEvS11_.uses_flat_scratch, 0
	.set _ZN7rocprim17ROCPRIM_400000_NS6detail17trampoline_kernelINS0_14default_configENS1_21merge_config_selectorINS0_5tupleIJiiEEENS0_10empty_typeEEEZNS1_10merge_implIS3_NS0_12zip_iteratorINS5_IJN6thrust23THRUST_200600_302600_NS6detail15normal_iteratorINSC_10device_ptrIKiEEEESI_EEEEESK_NSA_INS5_IJNSC_16discard_iteratorINSC_11use_defaultEEESN_EEEEEPS7_SQ_SQ_NSC_11hip_rocprim7__merge17predicate_wrapperIiiNSC_4lessIiEEEEEE10hipError_tPvRmT0_T1_T2_T3_T4_T5_mmT6_P12ihipStream_tbEUlT_E0_NS1_11comp_targetILNS1_3genE9ELNS1_11target_archE1100ELNS1_3gpuE3ELNS1_3repE0EEENS1_30default_config_static_selectorELNS0_4arch9wavefront6targetE0EEEvS11_.has_dyn_sized_stack, 0
	.set _ZN7rocprim17ROCPRIM_400000_NS6detail17trampoline_kernelINS0_14default_configENS1_21merge_config_selectorINS0_5tupleIJiiEEENS0_10empty_typeEEEZNS1_10merge_implIS3_NS0_12zip_iteratorINS5_IJN6thrust23THRUST_200600_302600_NS6detail15normal_iteratorINSC_10device_ptrIKiEEEESI_EEEEESK_NSA_INS5_IJNSC_16discard_iteratorINSC_11use_defaultEEESN_EEEEEPS7_SQ_SQ_NSC_11hip_rocprim7__merge17predicate_wrapperIiiNSC_4lessIiEEEEEE10hipError_tPvRmT0_T1_T2_T3_T4_T5_mmT6_P12ihipStream_tbEUlT_E0_NS1_11comp_targetILNS1_3genE9ELNS1_11target_archE1100ELNS1_3gpuE3ELNS1_3repE0EEENS1_30default_config_static_selectorELNS0_4arch9wavefront6targetE0EEEvS11_.has_recursion, 0
	.set _ZN7rocprim17ROCPRIM_400000_NS6detail17trampoline_kernelINS0_14default_configENS1_21merge_config_selectorINS0_5tupleIJiiEEENS0_10empty_typeEEEZNS1_10merge_implIS3_NS0_12zip_iteratorINS5_IJN6thrust23THRUST_200600_302600_NS6detail15normal_iteratorINSC_10device_ptrIKiEEEESI_EEEEESK_NSA_INS5_IJNSC_16discard_iteratorINSC_11use_defaultEEESN_EEEEEPS7_SQ_SQ_NSC_11hip_rocprim7__merge17predicate_wrapperIiiNSC_4lessIiEEEEEE10hipError_tPvRmT0_T1_T2_T3_T4_T5_mmT6_P12ihipStream_tbEUlT_E0_NS1_11comp_targetILNS1_3genE9ELNS1_11target_archE1100ELNS1_3gpuE3ELNS1_3repE0EEENS1_30default_config_static_selectorELNS0_4arch9wavefront6targetE0EEEvS11_.has_indirect_call, 0
	.section	.AMDGPU.csdata,"",@progbits
; Kernel info:
; codeLenInByte = 0
; TotalNumSgprs: 0
; NumVgprs: 0
; ScratchSize: 0
; MemoryBound: 0
; FloatMode: 240
; IeeeMode: 1
; LDSByteSize: 0 bytes/workgroup (compile time only)
; SGPRBlocks: 0
; VGPRBlocks: 0
; NumSGPRsForWavesPerEU: 1
; NumVGPRsForWavesPerEU: 1
; Occupancy: 16
; WaveLimiterHint : 0
; COMPUTE_PGM_RSRC2:SCRATCH_EN: 0
; COMPUTE_PGM_RSRC2:USER_SGPR: 6
; COMPUTE_PGM_RSRC2:TRAP_HANDLER: 0
; COMPUTE_PGM_RSRC2:TGID_X_EN: 1
; COMPUTE_PGM_RSRC2:TGID_Y_EN: 0
; COMPUTE_PGM_RSRC2:TGID_Z_EN: 0
; COMPUTE_PGM_RSRC2:TIDIG_COMP_CNT: 0
	.section	.text._ZN7rocprim17ROCPRIM_400000_NS6detail17trampoline_kernelINS0_14default_configENS1_21merge_config_selectorINS0_5tupleIJiiEEENS0_10empty_typeEEEZNS1_10merge_implIS3_NS0_12zip_iteratorINS5_IJN6thrust23THRUST_200600_302600_NS6detail15normal_iteratorINSC_10device_ptrIKiEEEESI_EEEEESK_NSA_INS5_IJNSC_16discard_iteratorINSC_11use_defaultEEESN_EEEEEPS7_SQ_SQ_NSC_11hip_rocprim7__merge17predicate_wrapperIiiNSC_4lessIiEEEEEE10hipError_tPvRmT0_T1_T2_T3_T4_T5_mmT6_P12ihipStream_tbEUlT_E0_NS1_11comp_targetILNS1_3genE8ELNS1_11target_archE1030ELNS1_3gpuE2ELNS1_3repE0EEENS1_30default_config_static_selectorELNS0_4arch9wavefront6targetE0EEEvS11_,"axG",@progbits,_ZN7rocprim17ROCPRIM_400000_NS6detail17trampoline_kernelINS0_14default_configENS1_21merge_config_selectorINS0_5tupleIJiiEEENS0_10empty_typeEEEZNS1_10merge_implIS3_NS0_12zip_iteratorINS5_IJN6thrust23THRUST_200600_302600_NS6detail15normal_iteratorINSC_10device_ptrIKiEEEESI_EEEEESK_NSA_INS5_IJNSC_16discard_iteratorINSC_11use_defaultEEESN_EEEEEPS7_SQ_SQ_NSC_11hip_rocprim7__merge17predicate_wrapperIiiNSC_4lessIiEEEEEE10hipError_tPvRmT0_T1_T2_T3_T4_T5_mmT6_P12ihipStream_tbEUlT_E0_NS1_11comp_targetILNS1_3genE8ELNS1_11target_archE1030ELNS1_3gpuE2ELNS1_3repE0EEENS1_30default_config_static_selectorELNS0_4arch9wavefront6targetE0EEEvS11_,comdat
	.protected	_ZN7rocprim17ROCPRIM_400000_NS6detail17trampoline_kernelINS0_14default_configENS1_21merge_config_selectorINS0_5tupleIJiiEEENS0_10empty_typeEEEZNS1_10merge_implIS3_NS0_12zip_iteratorINS5_IJN6thrust23THRUST_200600_302600_NS6detail15normal_iteratorINSC_10device_ptrIKiEEEESI_EEEEESK_NSA_INS5_IJNSC_16discard_iteratorINSC_11use_defaultEEESN_EEEEEPS7_SQ_SQ_NSC_11hip_rocprim7__merge17predicate_wrapperIiiNSC_4lessIiEEEEEE10hipError_tPvRmT0_T1_T2_T3_T4_T5_mmT6_P12ihipStream_tbEUlT_E0_NS1_11comp_targetILNS1_3genE8ELNS1_11target_archE1030ELNS1_3gpuE2ELNS1_3repE0EEENS1_30default_config_static_selectorELNS0_4arch9wavefront6targetE0EEEvS11_ ; -- Begin function _ZN7rocprim17ROCPRIM_400000_NS6detail17trampoline_kernelINS0_14default_configENS1_21merge_config_selectorINS0_5tupleIJiiEEENS0_10empty_typeEEEZNS1_10merge_implIS3_NS0_12zip_iteratorINS5_IJN6thrust23THRUST_200600_302600_NS6detail15normal_iteratorINSC_10device_ptrIKiEEEESI_EEEEESK_NSA_INS5_IJNSC_16discard_iteratorINSC_11use_defaultEEESN_EEEEEPS7_SQ_SQ_NSC_11hip_rocprim7__merge17predicate_wrapperIiiNSC_4lessIiEEEEEE10hipError_tPvRmT0_T1_T2_T3_T4_T5_mmT6_P12ihipStream_tbEUlT_E0_NS1_11comp_targetILNS1_3genE8ELNS1_11target_archE1030ELNS1_3gpuE2ELNS1_3repE0EEENS1_30default_config_static_selectorELNS0_4arch9wavefront6targetE0EEEvS11_
	.globl	_ZN7rocprim17ROCPRIM_400000_NS6detail17trampoline_kernelINS0_14default_configENS1_21merge_config_selectorINS0_5tupleIJiiEEENS0_10empty_typeEEEZNS1_10merge_implIS3_NS0_12zip_iteratorINS5_IJN6thrust23THRUST_200600_302600_NS6detail15normal_iteratorINSC_10device_ptrIKiEEEESI_EEEEESK_NSA_INS5_IJNSC_16discard_iteratorINSC_11use_defaultEEESN_EEEEEPS7_SQ_SQ_NSC_11hip_rocprim7__merge17predicate_wrapperIiiNSC_4lessIiEEEEEE10hipError_tPvRmT0_T1_T2_T3_T4_T5_mmT6_P12ihipStream_tbEUlT_E0_NS1_11comp_targetILNS1_3genE8ELNS1_11target_archE1030ELNS1_3gpuE2ELNS1_3repE0EEENS1_30default_config_static_selectorELNS0_4arch9wavefront6targetE0EEEvS11_
	.p2align	8
	.type	_ZN7rocprim17ROCPRIM_400000_NS6detail17trampoline_kernelINS0_14default_configENS1_21merge_config_selectorINS0_5tupleIJiiEEENS0_10empty_typeEEEZNS1_10merge_implIS3_NS0_12zip_iteratorINS5_IJN6thrust23THRUST_200600_302600_NS6detail15normal_iteratorINSC_10device_ptrIKiEEEESI_EEEEESK_NSA_INS5_IJNSC_16discard_iteratorINSC_11use_defaultEEESN_EEEEEPS7_SQ_SQ_NSC_11hip_rocprim7__merge17predicate_wrapperIiiNSC_4lessIiEEEEEE10hipError_tPvRmT0_T1_T2_T3_T4_T5_mmT6_P12ihipStream_tbEUlT_E0_NS1_11comp_targetILNS1_3genE8ELNS1_11target_archE1030ELNS1_3gpuE2ELNS1_3repE0EEENS1_30default_config_static_selectorELNS0_4arch9wavefront6targetE0EEEvS11_,@function
_ZN7rocprim17ROCPRIM_400000_NS6detail17trampoline_kernelINS0_14default_configENS1_21merge_config_selectorINS0_5tupleIJiiEEENS0_10empty_typeEEEZNS1_10merge_implIS3_NS0_12zip_iteratorINS5_IJN6thrust23THRUST_200600_302600_NS6detail15normal_iteratorINSC_10device_ptrIKiEEEESI_EEEEESK_NSA_INS5_IJNSC_16discard_iteratorINSC_11use_defaultEEESN_EEEEEPS7_SQ_SQ_NSC_11hip_rocprim7__merge17predicate_wrapperIiiNSC_4lessIiEEEEEE10hipError_tPvRmT0_T1_T2_T3_T4_T5_mmT6_P12ihipStream_tbEUlT_E0_NS1_11comp_targetILNS1_3genE8ELNS1_11target_archE1030ELNS1_3gpuE2ELNS1_3repE0EEENS1_30default_config_static_selectorELNS0_4arch9wavefront6targetE0EEEvS11_: ; @_ZN7rocprim17ROCPRIM_400000_NS6detail17trampoline_kernelINS0_14default_configENS1_21merge_config_selectorINS0_5tupleIJiiEEENS0_10empty_typeEEEZNS1_10merge_implIS3_NS0_12zip_iteratorINS5_IJN6thrust23THRUST_200600_302600_NS6detail15normal_iteratorINSC_10device_ptrIKiEEEESI_EEEEESK_NSA_INS5_IJNSC_16discard_iteratorINSC_11use_defaultEEESN_EEEEEPS7_SQ_SQ_NSC_11hip_rocprim7__merge17predicate_wrapperIiiNSC_4lessIiEEEEEE10hipError_tPvRmT0_T1_T2_T3_T4_T5_mmT6_P12ihipStream_tbEUlT_E0_NS1_11comp_targetILNS1_3genE8ELNS1_11target_archE1030ELNS1_3gpuE2ELNS1_3repE0EEENS1_30default_config_static_selectorELNS0_4arch9wavefront6targetE0EEEvS11_
; %bb.0:
	s_clause 0x2
	s_load_dwordx4 s[0:3], s[4:5], 0x68
	s_load_dwordx8 s[8:15], s[4:5], 0x8
	s_load_dwordx2 s[20:21], s[4:5], 0x28
	s_lshl_b32 s17, s6, 12
	s_mov_b32 s19, 0
	v_mov_b32_e32 v1, 0
	s_waitcnt lgkmcnt(0)
	s_add_i32 s16, s2, s0
	s_add_i32 s0, s16, 0xfff
	s_lshr_b32 s0, s0, 12
	s_min_u32 s1, s6, s0
	s_lshl_b32 s1, s1, 2
	s_load_dword s18, s[8:9], s1 offset:0x0
	s_add_i32 s1, s6, 1
	s_min_u32 s0, s1, s0
	s_lshl_b32 s0, s0, 2
	s_load_dword s22, s[8:9], s0 offset:0x0
	s_add_i32 s0, s17, 0x1000
	s_mov_b32 s9, s19
	s_min_u32 s23, s16, s0
	s_waitcnt lgkmcnt(0)
	s_lshl_b64 s[2:3], s[18:19], 2
	s_sub_i32 s8, s17, s18
	s_add_u32 s0, s10, s2
	s_addc_u32 s1, s11, s3
	s_add_u32 s2, s12, s2
	s_addc_u32 s3, s13, s3
	s_lshl_b64 s[6:7], s[8:9], 2
	s_mov_b32 s11, exec_lo
	s_add_u32 s4, s14, s6
	s_addc_u32 s5, s15, s7
	s_add_u32 s6, s20, s6
	s_addc_u32 s7, s21, s7
	s_add_i32 s8, s8, s22
	s_sub_i32 s15, s22, s18
	s_sub_i32 s10, s23, s8
	s_add_u32 s8, s10, s15
	s_addc_u32 s9, 0, 0
	v_cmpx_le_u32_e64 s15, v0
	s_xor_b32 s11, exec_lo, s11
	s_cbranch_execz .LBB604_4
; %bb.1:
	s_mov_b32 s12, exec_lo
	v_cmpx_gt_u64_e64 s[8:9], v[0:1]
	s_cbranch_execz .LBB604_3
; %bb.2:
	v_subrev_nc_u32_e32 v1, s15, v0
	v_lshlrev_b32_e32 v3, 3, v0
	v_lshlrev_b32_e32 v2, 2, v1
	s_clause 0x1
	global_load_dword v1, v2, s[4:5]
	global_load_dword v2, v2, s[6:7]
	s_waitcnt vmcnt(0)
	ds_write_b64 v3, v[1:2]
.LBB604_3:
	s_or_b32 exec_lo, exec_lo, s12
.LBB604_4:
	s_or_saveexec_b32 s11, s11
	v_lshlrev_b32_e32 v32, 2, v0
	v_lshlrev_b32_e32 v3, 3, v0
	s_xor_b32 exec_lo, exec_lo, s11
	s_cbranch_execz .LBB604_6
; %bb.5:
	s_clause 0x1
	global_load_dword v1, v32, s[0:1]
	global_load_dword v2, v32, s[2:3]
	s_waitcnt vmcnt(0)
	ds_write_b64 v3, v[1:2]
.LBB604_6:
	s_or_b32 exec_lo, exec_lo, s11
	v_or_b32_e32 v1, 0x100, v0
	s_mov_b32 s11, exec_lo
	v_cmpx_le_u32_e64 s15, v1
	s_xor_b32 s11, exec_lo, s11
	s_cbranch_execz .LBB604_10
; %bb.7:
	v_mov_b32_e32 v2, 0
	s_mov_b32 s12, exec_lo
	v_cmpx_gt_u64_e64 s[8:9], v[1:2]
	s_cbranch_execz .LBB604_9
; %bb.8:
	v_sub_co_u32 v1, s13, v0, s15
	v_sub_co_ci_u32_e64 v2, null, 0, 0, s13
	v_lshlrev_b64 v[1:2], 2, v[1:2]
	v_add_co_u32 v4, vcc_lo, s4, v1
	v_add_co_ci_u32_e64 v5, null, s5, v2, vcc_lo
	v_add_co_u32 v1, vcc_lo, s6, v1
	v_add_co_ci_u32_e64 v2, null, s7, v2, vcc_lo
	global_load_dword v4, v[4:5], off offset:1024
	global_load_dword v5, v[1:2], off offset:1024
	s_waitcnt vmcnt(0)
	ds_write_b64 v3, v[4:5] offset:2048
.LBB604_9:
	s_or_b32 exec_lo, exec_lo, s12
.LBB604_10:
	s_andn2_saveexec_b32 s11, s11
	s_cbranch_execz .LBB604_12
; %bb.11:
	s_clause 0x1
	global_load_dword v1, v32, s[0:1] offset:1024
	global_load_dword v2, v32, s[2:3] offset:1024
	s_waitcnt vmcnt(0)
	ds_write_b64 v3, v[1:2] offset:2048
.LBB604_12:
	s_or_b32 exec_lo, exec_lo, s11
	v_or_b32_e32 v1, 0x200, v0
	v_mov_b32_e32 v2, 0
	s_mov_b32 s11, exec_lo
	v_cmpx_le_u32_e64 s15, v1
	s_xor_b32 s11, exec_lo, s11
	s_cbranch_execz .LBB604_16
; %bb.13:
	s_mov_b32 s12, exec_lo
	v_cmpx_gt_u64_e64 s[8:9], v[1:2]
	s_cbranch_execz .LBB604_15
; %bb.14:
	v_subrev_nc_u32_e32 v1, s15, v1
	v_lshlrev_b32_e32 v2, 2, v1
	s_clause 0x1
	global_load_dword v1, v2, s[4:5]
	global_load_dword v2, v2, s[6:7]
	s_waitcnt vmcnt(0)
	ds_write_b64 v3, v[1:2] offset:4096
.LBB604_15:
	s_or_b32 exec_lo, exec_lo, s12
                                        ; implicit-def: $vgpr1_vgpr2
.LBB604_16:
	s_andn2_saveexec_b32 s11, s11
	s_cbranch_execz .LBB604_18
; %bb.17:
	v_lshlrev_b32_e32 v2, 2, v1
	s_clause 0x1
	global_load_dword v1, v2, s[0:1]
	global_load_dword v2, v2, s[2:3]
	s_waitcnt vmcnt(0)
	ds_write_b64 v3, v[1:2] offset:4096
.LBB604_18:
	s_or_b32 exec_lo, exec_lo, s11
	v_or_b32_e32 v1, 0x300, v0
	v_mov_b32_e32 v2, 0
	s_mov_b32 s11, exec_lo
	v_cmpx_le_u32_e64 s15, v1
	s_xor_b32 s11, exec_lo, s11
	s_cbranch_execz .LBB604_22
; %bb.19:
	s_mov_b32 s12, exec_lo
	v_cmpx_gt_u64_e64 s[8:9], v[1:2]
	s_cbranch_execz .LBB604_21
; %bb.20:
	v_subrev_nc_u32_e32 v1, s15, v1
	v_lshlrev_b32_e32 v2, 2, v1
	s_clause 0x1
	global_load_dword v1, v2, s[4:5]
	global_load_dword v2, v2, s[6:7]
	s_waitcnt vmcnt(0)
	ds_write_b64 v3, v[1:2] offset:6144
.LBB604_21:
	s_or_b32 exec_lo, exec_lo, s12
                                        ; implicit-def: $vgpr1_vgpr2
.LBB604_22:
	s_andn2_saveexec_b32 s11, s11
	s_cbranch_execz .LBB604_24
; %bb.23:
	v_lshlrev_b32_e32 v2, 2, v1
	s_clause 0x1
	global_load_dword v1, v2, s[0:1]
	global_load_dword v2, v2, s[2:3]
	s_waitcnt vmcnt(0)
	ds_write_b64 v3, v[1:2] offset:6144
.LBB604_24:
	;; [unrolled: 33-line block ×13, first 2 shown]
	s_or_b32 exec_lo, exec_lo, s11
	v_or_b32_e32 v1, 0xf00, v0
	v_mov_b32_e32 v2, 0
	s_mov_b32 s11, exec_lo
	v_cmpx_le_u32_e64 s15, v1
	s_xor_b32 s11, exec_lo, s11
	s_cbranch_execz .LBB604_94
; %bb.91:
	v_cmp_gt_u64_e32 vcc_lo, s[8:9], v[1:2]
	s_and_saveexec_b32 s8, vcc_lo
	s_cbranch_execz .LBB604_93
; %bb.92:
	v_subrev_nc_u32_e32 v1, s15, v1
	v_lshlrev_b32_e32 v2, 2, v1
	s_clause 0x1
	global_load_dword v1, v2, s[4:5]
	global_load_dword v2, v2, s[6:7]
	s_waitcnt vmcnt(0)
	ds_write_b64 v3, v[1:2] offset:30720
.LBB604_93:
	s_or_b32 exec_lo, exec_lo, s8
                                        ; implicit-def: $vgpr1_vgpr2
                                        ; implicit-def: $vgpr3
.LBB604_94:
	s_andn2_saveexec_b32 s4, s11
	s_cbranch_execz .LBB604_96
; %bb.95:
	v_lshlrev_b32_e32 v2, 2, v1
	s_clause 0x1
	global_load_dword v1, v2, s[0:1]
	global_load_dword v2, v2, s[2:3]
	s_waitcnt vmcnt(0)
	ds_write_b64 v3, v[1:2] offset:30720
.LBB604_96:
	s_or_b32 exec_lo, exec_lo, s4
	v_lshlrev_b32_e32 v33, 4, v0
	s_mov_b32 s0, exec_lo
	s_waitcnt lgkmcnt(0)
	s_barrier
	buffer_gl0_inv
	v_sub_nc_u32_e64 v34, v33, s10 clamp
	v_min_u32_e32 v0, s15, v33
	v_cmpx_lt_u32_e64 v34, v0
	s_cbranch_execz .LBB604_100
; %bb.97:
	v_lshlrev_b32_e32 v1, 3, v33
	s_mov_b32 s1, 0
	v_lshl_add_u32 v1, s15, 3, v1
	.p2align	6
.LBB604_98:                             ; =>This Inner Loop Header: Depth=1
	v_add_nc_u32_e32 v2, v0, v34
	v_lshrrev_b32_e32 v2, 1, v2
	v_not_b32_e32 v3, v2
	v_lshlrev_b32_e32 v4, 3, v2
	v_add_nc_u32_e32 v5, 1, v2
	v_lshl_add_u32 v3, v3, 3, v1
	ds_read_b32 v4, v4
	ds_read_b32 v3, v3
	s_waitcnt lgkmcnt(0)
	v_cmp_lt_i32_e32 vcc_lo, v3, v4
	v_cndmask_b32_e32 v0, v0, v2, vcc_lo
	v_cndmask_b32_e32 v34, v5, v34, vcc_lo
	v_cmp_ge_u32_e32 vcc_lo, v34, v0
	s_or_b32 s1, vcc_lo, s1
	s_andn2_b32 exec_lo, exec_lo, s1
	s_cbranch_execnz .LBB604_98
; %bb.99:
	s_or_b32 exec_lo, exec_lo, s1
.LBB604_100:
	s_or_b32 exec_lo, exec_lo, s0
	v_add_nc_u32_e32 v2, s15, v33
	s_add_i32 s19, s10, s15
	v_cmp_ge_u32_e32 vcc_lo, s15, v34
	v_mov_b32_e32 v0, 0
	v_mov_b32_e32 v4, 0
	v_sub_nc_u32_e32 v35, v2, v34
	v_mov_b32_e32 v2, 0
	v_mov_b32_e32 v6, 0
	;; [unrolled: 1-line block ×4, first 2 shown]
	v_cmp_ge_u32_e64 s0, s19, v35
	v_mov_b32_e32 v12, 0
	v_mov_b32_e32 v14, 0
	;; [unrolled: 1-line block ×26, first 2 shown]
	s_or_b32 s0, vcc_lo, s0
	s_and_saveexec_b32 s18, s0
	s_cbranch_execz .LBB604_106
; %bb.101:
	v_cmp_gt_u32_e32 vcc_lo, s15, v34
	v_mov_b32_e32 v0, 0
	v_mov_b32_e32 v2, 0
	;; [unrolled: 1-line block ×3, first 2 shown]
	s_and_saveexec_b32 s0, vcc_lo
; %bb.102:
	v_lshlrev_b32_e32 v1, 3, v34
	ds_read_b64 v[2:3], v1
; %bb.103:
	s_or_b32 exec_lo, exec_lo, s0
	v_cmp_le_u32_e64 s0, s19, v35
	v_mov_b32_e32 v1, 0
	s_mov_b32 s2, exec_lo
	v_cmpx_gt_u32_e64 s19, v35
; %bb.104:
	v_lshlrev_b32_e32 v0, 3, v35
	ds_read_b64 v[0:1], v0
; %bb.105:
	s_or_b32 exec_lo, exec_lo, s2
	s_waitcnt lgkmcnt(0)
	v_cmp_ge_i32_e64 s1, v0, v2
	v_mov_b32_e32 v36, s15
	s_and_b32 s1, vcc_lo, s1
	s_or_b32 vcc_lo, s0, s1
	v_cndmask_b32_e32 v4, v35, v34, vcc_lo
	v_cndmask_b32_e32 v5, s19, v36, vcc_lo
	v_add_nc_u32_e32 v6, 1, v4
	v_add_nc_u32_e32 v4, -1, v5
	v_cndmask_b32_e32 v8, v34, v6, vcc_lo
	v_min_u32_e32 v4, v6, v4
	v_cndmask_b32_e32 v9, v6, v35, vcc_lo
	v_cmp_gt_u32_e64 s0, s15, v8
	v_lshlrev_b32_e32 v4, 3, v4
	v_cmp_le_u32_e64 s2, s19, v9
	ds_read_b64 v[4:5], v4
	s_waitcnt lgkmcnt(0)
	v_cndmask_b32_e32 v34, v4, v0, vcc_lo
	v_cndmask_b32_e32 v4, v2, v4, vcc_lo
	;; [unrolled: 1-line block ×6, first 2 shown]
	v_cmp_ge_i32_e64 s1, v34, v4
	s_and_b32 s0, s0, s1
	s_or_b32 s0, s2, s0
	v_cndmask_b32_e64 v6, v9, v8, s0
	v_cndmask_b32_e64 v7, s19, v36, s0
	v_add_nc_u32_e32 v10, 1, v6
	v_add_nc_u32_e32 v6, -1, v7
	v_cndmask_b32_e64 v11, v8, v10, s0
	v_min_u32_e32 v6, v10, v6
	v_cndmask_b32_e64 v10, v10, v9, s0
	v_cmp_gt_u32_e64 s1, s15, v11
	v_lshlrev_b32_e32 v6, 3, v6
	v_cmp_le_u32_e64 s3, s19, v10
	ds_read_b64 v[6:7], v6
	s_waitcnt lgkmcnt(0)
	v_cndmask_b32_e64 v35, v6, v34, s0
	v_cndmask_b32_e64 v6, v4, v6, s0
	;; [unrolled: 1-line block ×6, first 2 shown]
	v_cmp_ge_i32_e64 s2, v35, v6
	s_and_b32 s1, s1, s2
	s_or_b32 s1, s3, s1
	v_cndmask_b32_e64 v8, v10, v11, s1
	v_cndmask_b32_e64 v9, s19, v36, s1
	;; [unrolled: 1-line block ×4, first 2 shown]
	v_add_nc_u32_e32 v12, 1, v8
	v_add_nc_u32_e32 v8, -1, v9
	v_cndmask_b32_e64 v13, v11, v12, s1
	v_min_u32_e32 v8, v12, v8
	v_cndmask_b32_e64 v12, v12, v10, s1
	v_cmp_gt_u32_e64 s2, s15, v13
	v_lshlrev_b32_e32 v8, 3, v8
	v_cmp_le_u32_e64 s4, s19, v12
	ds_read_b64 v[8:9], v8
	s_waitcnt lgkmcnt(0)
	v_cndmask_b32_e64 v37, v8, v35, s1
	v_cndmask_b32_e64 v8, v6, v8, s1
	;; [unrolled: 1-line block ×4, first 2 shown]
	v_cmp_ge_i32_e64 s3, v37, v8
	s_and_b32 s2, s2, s3
	s_or_b32 s2, s4, s2
	v_cndmask_b32_e64 v10, v12, v13, s2
	v_cndmask_b32_e64 v11, s19, v36, s2
	;; [unrolled: 1-line block ×4, first 2 shown]
	v_add_nc_u32_e32 v14, 1, v10
	v_add_nc_u32_e32 v10, -1, v11
	v_cndmask_b32_e64 v15, v13, v14, s2
	v_min_u32_e32 v10, v14, v10
	v_cndmask_b32_e64 v14, v14, v12, s2
	v_cmp_gt_u32_e64 s3, s15, v15
	v_lshlrev_b32_e32 v10, 3, v10
	v_cmp_le_u32_e64 s5, s19, v14
	ds_read_b64 v[10:11], v10
	s_waitcnt lgkmcnt(0)
	v_cndmask_b32_e64 v38, v10, v37, s2
	v_cndmask_b32_e64 v10, v8, v10, s2
	;; [unrolled: 1-line block ×4, first 2 shown]
	v_cmp_ge_i32_e64 s4, v38, v10
	s_and_b32 s3, s3, s4
	s_or_b32 s3, s5, s3
	v_cndmask_b32_e64 v12, v14, v15, s3
	v_cndmask_b32_e64 v13, s19, v36, s3
	v_add_nc_u32_e32 v16, 1, v12
	v_add_nc_u32_e32 v12, -1, v13
	v_cndmask_b32_e64 v17, v15, v16, s3
	v_min_u32_e32 v12, v16, v12
	v_cndmask_b32_e64 v16, v16, v14, s3
	v_cmp_gt_u32_e64 s4, s15, v17
	v_lshlrev_b32_e32 v12, 3, v12
	v_cmp_le_u32_e64 s6, s19, v16
	ds_read_b64 v[12:13], v12
	s_waitcnt lgkmcnt(0)
	v_cndmask_b32_e64 v39, v12, v38, s3
	v_cndmask_b32_e64 v12, v10, v12, s3
	;; [unrolled: 1-line block ×6, first 2 shown]
	v_cmp_ge_i32_e64 s5, v39, v12
	s_and_b32 s4, s4, s5
	s_or_b32 s4, s6, s4
	v_cndmask_b32_e64 v14, v16, v17, s4
	v_cndmask_b32_e64 v15, s19, v36, s4
	;; [unrolled: 1-line block ×3, first 2 shown]
	v_add_nc_u32_e32 v18, 1, v14
	v_add_nc_u32_e32 v14, -1, v15
	v_cndmask_b32_e64 v19, v17, v18, s4
	v_min_u32_e32 v14, v18, v14
	v_cndmask_b32_e64 v18, v18, v16, s4
	v_cmp_gt_u32_e64 s5, s15, v19
	v_lshlrev_b32_e32 v14, 3, v14
	v_cmp_le_u32_e64 s7, s19, v18
	ds_read_b64 v[14:15], v14
	s_waitcnt lgkmcnt(0)
	v_cndmask_b32_e64 v40, v14, v39, s4
	v_cndmask_b32_e64 v14, v12, v14, s4
	;; [unrolled: 1-line block ×5, first 2 shown]
	v_cmp_ge_i32_e64 s6, v40, v14
	s_and_b32 s5, s5, s6
	s_or_b32 s5, s7, s5
	v_cndmask_b32_e64 v16, v18, v19, s5
	v_cndmask_b32_e64 v17, s19, v36, s5
	;; [unrolled: 1-line block ×4, first 2 shown]
	v_add_nc_u32_e32 v20, 1, v16
	v_add_nc_u32_e32 v16, -1, v17
	v_cndmask_b32_e64 v21, v19, v20, s5
	v_min_u32_e32 v16, v20, v16
	v_cndmask_b32_e64 v20, v20, v18, s5
	v_cmp_gt_u32_e64 s6, s15, v21
	v_lshlrev_b32_e32 v16, 3, v16
	v_cmp_le_u32_e64 s8, s19, v20
	ds_read_b64 v[16:17], v16
	s_waitcnt lgkmcnt(0)
	v_cndmask_b32_e64 v41, v16, v40, s5
	v_cndmask_b32_e64 v16, v14, v16, s5
	v_cmp_ge_i32_e64 s7, v41, v16
	s_and_b32 s6, s6, s7
	s_or_b32 s6, s8, s6
	v_cndmask_b32_e64 v18, v20, v21, s6
	v_cndmask_b32_e64 v19, s19, v36, s6
	;; [unrolled: 1-line block ×3, first 2 shown]
	v_add_nc_u32_e32 v22, 1, v18
	v_add_nc_u32_e32 v18, -1, v19
	v_cndmask_b32_e64 v23, v21, v22, s6
	v_min_u32_e32 v18, v22, v18
	v_cndmask_b32_e64 v22, v22, v20, s6
	v_cmp_gt_u32_e64 s7, s15, v23
	v_lshlrev_b32_e32 v18, 3, v18
	v_cmp_le_u32_e64 s9, s19, v22
	ds_read_b64 v[18:19], v18
	s_waitcnt lgkmcnt(0)
	v_cndmask_b32_e64 v42, v18, v41, s6
	v_cndmask_b32_e64 v18, v16, v18, s6
	v_cmp_ge_i32_e64 s8, v42, v18
	s_and_b32 s7, s7, s8
	s_or_b32 s7, s9, s7
	v_cndmask_b32_e64 v20, v22, v23, s7
	v_cndmask_b32_e64 v21, s19, v36, s7
	;; [unrolled: 1-line block ×3, first 2 shown]
	v_add_nc_u32_e32 v24, 1, v20
	v_add_nc_u32_e32 v20, -1, v21
	v_cndmask_b32_e64 v25, v23, v24, s7
	v_min_u32_e32 v20, v24, v20
	v_cndmask_b32_e64 v24, v24, v22, s7
	v_cmp_gt_u32_e64 s8, s15, v25
	v_lshlrev_b32_e32 v20, 3, v20
	v_cmp_le_u32_e64 s10, s19, v24
	ds_read_b64 v[20:21], v20
	s_waitcnt lgkmcnt(0)
	v_cndmask_b32_e64 v43, v20, v42, s7
	v_cndmask_b32_e64 v20, v18, v20, s7
	v_cmp_ge_i32_e64 s9, v43, v20
	s_and_b32 s8, s8, s9
	s_or_b32 s8, s10, s8
	v_cndmask_b32_e64 v22, v24, v25, s8
	v_cndmask_b32_e64 v23, s19, v36, s8
	v_add_nc_u32_e32 v26, 1, v22
	v_add_nc_u32_e32 v22, -1, v23
	v_cndmask_b32_e64 v27, v25, v26, s8
	v_min_u32_e32 v22, v26, v22
	v_cndmask_b32_e64 v26, v26, v24, s8
	v_cmp_gt_u32_e64 s9, s15, v27
	v_lshlrev_b32_e32 v22, 3, v22
	v_cmp_le_u32_e64 s11, s19, v26
	ds_read_b64 v[22:23], v22
	s_waitcnt lgkmcnt(0)
	v_cndmask_b32_e64 v44, v22, v43, s8
	v_cndmask_b32_e64 v22, v20, v22, s8
	;; [unrolled: 1-line block ×3, first 2 shown]
	v_cmp_ge_i32_e64 s10, v44, v22
	s_and_b32 s9, s9, s10
	s_or_b32 s9, s11, s9
	v_cndmask_b32_e64 v24, v26, v27, s9
	v_cndmask_b32_e64 v25, s19, v36, s9
	;; [unrolled: 1-line block ×3, first 2 shown]
	v_add_nc_u32_e32 v28, 1, v24
	v_add_nc_u32_e32 v24, -1, v25
	v_cndmask_b32_e64 v29, v27, v28, s9
	v_min_u32_e32 v24, v28, v24
	v_cndmask_b32_e64 v28, v28, v26, s9
	v_cmp_gt_u32_e64 s10, s15, v29
	v_lshlrev_b32_e32 v24, 3, v24
	v_cmp_le_u32_e64 s12, s19, v28
	ds_read_b64 v[24:25], v24
	s_waitcnt lgkmcnt(0)
	v_cndmask_b32_e64 v45, v24, v44, s9
	v_cndmask_b32_e64 v24, v22, v24, s9
	v_cmp_ge_i32_e64 s11, v45, v24
	s_and_b32 s10, s10, s11
	s_or_b32 s10, s12, s10
	v_cndmask_b32_e64 v26, v28, v29, s10
	v_cndmask_b32_e64 v27, s19, v36, s10
	v_add_nc_u32_e32 v30, 1, v26
	v_add_nc_u32_e32 v26, -1, v27
	v_cndmask_b32_e64 v31, v29, v30, s10
	v_min_u32_e32 v26, v30, v26
	v_cndmask_b32_e64 v30, v30, v28, s10
	v_cmp_gt_u32_e64 s11, s15, v31
	v_lshlrev_b32_e32 v26, 3, v26
	v_cmp_le_u32_e64 s13, s19, v30
	ds_read_b64 v[26:27], v26
	s_waitcnt lgkmcnt(0)
	v_cndmask_b32_e64 v46, v26, v45, s10
	v_cndmask_b32_e64 v26, v24, v26, s10
	;; [unrolled: 1-line block ×3, first 2 shown]
	v_cmp_ge_i32_e64 s12, v46, v26
	s_and_b32 s11, s11, s12
	s_or_b32 s11, s13, s11
	v_cndmask_b32_e64 v28, v30, v31, s11
	v_cndmask_b32_e64 v29, s19, v36, s11
	v_cndmask_b32_e64 v22, v46, v26, s11
	v_add_nc_u32_e32 v47, 1, v28
	v_add_nc_u32_e32 v28, -1, v29
	v_cndmask_b32_e64 v48, v31, v47, s11
	v_min_u32_e32 v28, v47, v28
	v_cndmask_b32_e64 v47, v47, v30, s11
	v_cmp_gt_u32_e64 s12, s15, v48
	v_lshlrev_b32_e32 v28, 3, v28
	v_cmp_le_u32_e64 s14, s19, v47
	ds_read_b64 v[28:29], v28
	s_waitcnt lgkmcnt(0)
	v_cndmask_b32_e64 v49, v28, v46, s11
	v_cndmask_b32_e64 v28, v26, v28, s11
	v_cmp_ge_i32_e64 s13, v49, v28
	s_and_b32 s12, s12, s13
	s_or_b32 s12, s14, s12
	v_cndmask_b32_e64 v30, v47, v48, s12
	v_cndmask_b32_e64 v31, s19, v36, s12
	;; [unrolled: 1-line block ×3, first 2 shown]
	v_add_nc_u32_e32 v50, 1, v30
	v_add_nc_u32_e32 v30, -1, v31
	v_cndmask_b32_e64 v37, v48, v50, s12
	v_min_u32_e32 v30, v50, v30
	v_cndmask_b32_e64 v47, v50, v47, s12
	v_cndmask_b32_e64 v50, v17, v34, s5
	;; [unrolled: 1-line block ×3, first 2 shown]
	v_cmp_gt_u32_e32 vcc_lo, s15, v37
	v_lshlrev_b32_e32 v30, 3, v30
	v_cmp_le_u32_e64 s1, s19, v47
	v_cndmask_b32_e64 v15, v50, v17, s6
	ds_read_b64 v[30:31], v30
	s_waitcnt lgkmcnt(0)
	v_cndmask_b32_e64 v48, v30, v49, s12
	v_cndmask_b32_e64 v30, v28, v30, s12
	v_cmp_ge_i32_e64 s0, v48, v30
	s_and_b32 s0, vcc_lo, s0
	s_or_b32 vcc_lo, s1, s0
	v_cndmask_b32_e32 v35, v47, v37, vcc_lo
	v_cndmask_b32_e32 v36, s19, v36, vcc_lo
	v_add_nc_u32_e32 v38, 1, v35
	v_add_nc_u32_e32 v35, -1, v36
	v_cndmask_b32_e64 v36, v19, v50, s6
	v_cndmask_b32_e64 v19, v17, v19, s6
	v_cndmask_b32_e32 v28, v37, v38, vcc_lo
	v_min_u32_e32 v35, v38, v35
	v_cndmask_b32_e64 v39, v21, v36, s7
	v_cndmask_b32_e64 v21, v19, v21, s7
	;; [unrolled: 1-line block ×3, first 2 shown]
	v_cndmask_b32_e32 v38, v38, v47, vcc_lo
	v_lshlrev_b32_e32 v34, 3, v35
	v_cndmask_b32_e64 v40, v23, v39, s8
	v_cndmask_b32_e64 v23, v21, v23, s8
	v_cndmask_b32_e64 v21, v39, v21, s8
	v_cmp_gt_u32_e64 s0, s15, v28
	ds_read_b64 v[34:35], v34
	v_cndmask_b32_e64 v41, v25, v40, s9
	v_cndmask_b32_e64 v25, v23, v25, s9
	;; [unrolled: 1-line block ×3, first 2 shown]
	v_cmp_le_u32_e64 s2, s19, v38
	v_cndmask_b32_e32 v28, v48, v30, vcc_lo
	v_cndmask_b32_e64 v36, v27, v41, s10
	v_cndmask_b32_e64 v27, v25, v27, s10
	;; [unrolled: 1-line block ×9, first 2 shown]
	s_waitcnt lgkmcnt(0)
	v_cndmask_b32_e32 v36, v34, v48, vcc_lo
	v_cndmask_b32_e32 v34, v30, v34, vcc_lo
	;; [unrolled: 1-line block ×5, first 2 shown]
	v_cmp_ge_i32_e64 s1, v36, v34
	s_and_b32 s0, s0, s1
	s_or_b32 vcc_lo, s2, s0
	v_cndmask_b32_e32 v31, v31, v35, vcc_lo
	v_cndmask_b32_e32 v30, v36, v34, vcc_lo
.LBB604_106:
	s_or_b32 exec_lo, exec_lo, s18
	v_and_b32_e32 v32, 0x3f8, v32
	s_sub_i32 s0, s16, s17
	s_cmpk_gt_u32 s0, 0xfff
	s_mov_b32 s0, -1
	v_lshl_add_u32 v32, v33, 3, v32
	s_barrier
	buffer_gl0_inv
	ds_write2_b64 v32, v[0:1], v[4:5] offset1:1
	ds_write2_b64 v32, v[2:3], v[6:7] offset0:2 offset1:3
	ds_write2_b64 v32, v[8:9], v[10:11] offset0:4 offset1:5
	;; [unrolled: 1-line block ×7, first 2 shown]
	s_waitcnt lgkmcnt(0)
	s_cbranch_scc1 .LBB604_109
; %bb.107:
	s_andn2_b32 vcc_lo, exec_lo, s0
	s_cbranch_vccz .LBB604_110
.LBB604_108:
	buffer_gl0_inv
	s_endpgm
.LBB604_109:
	s_barrier
	s_cbranch_execnz .LBB604_108
.LBB604_110:
	s_barrier
	buffer_gl0_inv
	s_endpgm
	.section	.rodata,"a",@progbits
	.p2align	6, 0x0
	.amdhsa_kernel _ZN7rocprim17ROCPRIM_400000_NS6detail17trampoline_kernelINS0_14default_configENS1_21merge_config_selectorINS0_5tupleIJiiEEENS0_10empty_typeEEEZNS1_10merge_implIS3_NS0_12zip_iteratorINS5_IJN6thrust23THRUST_200600_302600_NS6detail15normal_iteratorINSC_10device_ptrIKiEEEESI_EEEEESK_NSA_INS5_IJNSC_16discard_iteratorINSC_11use_defaultEEESN_EEEEEPS7_SQ_SQ_NSC_11hip_rocprim7__merge17predicate_wrapperIiiNSC_4lessIiEEEEEE10hipError_tPvRmT0_T1_T2_T3_T4_T5_mmT6_P12ihipStream_tbEUlT_E0_NS1_11comp_targetILNS1_3genE8ELNS1_11target_archE1030ELNS1_3gpuE2ELNS1_3repE0EEENS1_30default_config_static_selectorELNS0_4arch9wavefront6targetE0EEEvS11_
		.amdhsa_group_segment_fixed_size 33792
		.amdhsa_private_segment_fixed_size 0
		.amdhsa_kernarg_size 128
		.amdhsa_user_sgpr_count 6
		.amdhsa_user_sgpr_private_segment_buffer 1
		.amdhsa_user_sgpr_dispatch_ptr 0
		.amdhsa_user_sgpr_queue_ptr 0
		.amdhsa_user_sgpr_kernarg_segment_ptr 1
		.amdhsa_user_sgpr_dispatch_id 0
		.amdhsa_user_sgpr_flat_scratch_init 0
		.amdhsa_user_sgpr_private_segment_size 0
		.amdhsa_wavefront_size32 1
		.amdhsa_uses_dynamic_stack 0
		.amdhsa_system_sgpr_private_segment_wavefront_offset 0
		.amdhsa_system_sgpr_workgroup_id_x 1
		.amdhsa_system_sgpr_workgroup_id_y 0
		.amdhsa_system_sgpr_workgroup_id_z 0
		.amdhsa_system_sgpr_workgroup_info 0
		.amdhsa_system_vgpr_workitem_id 0
		.amdhsa_next_free_vgpr 145
		.amdhsa_next_free_sgpr 24
		.amdhsa_reserve_vcc 1
		.amdhsa_reserve_flat_scratch 0
		.amdhsa_float_round_mode_32 0
		.amdhsa_float_round_mode_16_64 0
		.amdhsa_float_denorm_mode_32 3
		.amdhsa_float_denorm_mode_16_64 3
		.amdhsa_dx10_clamp 1
		.amdhsa_ieee_mode 1
		.amdhsa_fp16_overflow 0
		.amdhsa_workgroup_processor_mode 1
		.amdhsa_memory_ordered 1
		.amdhsa_forward_progress 1
		.amdhsa_shared_vgpr_count 0
		.amdhsa_exception_fp_ieee_invalid_op 0
		.amdhsa_exception_fp_denorm_src 0
		.amdhsa_exception_fp_ieee_div_zero 0
		.amdhsa_exception_fp_ieee_overflow 0
		.amdhsa_exception_fp_ieee_underflow 0
		.amdhsa_exception_fp_ieee_inexact 0
		.amdhsa_exception_int_div_zero 0
	.end_amdhsa_kernel
	.section	.text._ZN7rocprim17ROCPRIM_400000_NS6detail17trampoline_kernelINS0_14default_configENS1_21merge_config_selectorINS0_5tupleIJiiEEENS0_10empty_typeEEEZNS1_10merge_implIS3_NS0_12zip_iteratorINS5_IJN6thrust23THRUST_200600_302600_NS6detail15normal_iteratorINSC_10device_ptrIKiEEEESI_EEEEESK_NSA_INS5_IJNSC_16discard_iteratorINSC_11use_defaultEEESN_EEEEEPS7_SQ_SQ_NSC_11hip_rocprim7__merge17predicate_wrapperIiiNSC_4lessIiEEEEEE10hipError_tPvRmT0_T1_T2_T3_T4_T5_mmT6_P12ihipStream_tbEUlT_E0_NS1_11comp_targetILNS1_3genE8ELNS1_11target_archE1030ELNS1_3gpuE2ELNS1_3repE0EEENS1_30default_config_static_selectorELNS0_4arch9wavefront6targetE0EEEvS11_,"axG",@progbits,_ZN7rocprim17ROCPRIM_400000_NS6detail17trampoline_kernelINS0_14default_configENS1_21merge_config_selectorINS0_5tupleIJiiEEENS0_10empty_typeEEEZNS1_10merge_implIS3_NS0_12zip_iteratorINS5_IJN6thrust23THRUST_200600_302600_NS6detail15normal_iteratorINSC_10device_ptrIKiEEEESI_EEEEESK_NSA_INS5_IJNSC_16discard_iteratorINSC_11use_defaultEEESN_EEEEEPS7_SQ_SQ_NSC_11hip_rocprim7__merge17predicate_wrapperIiiNSC_4lessIiEEEEEE10hipError_tPvRmT0_T1_T2_T3_T4_T5_mmT6_P12ihipStream_tbEUlT_E0_NS1_11comp_targetILNS1_3genE8ELNS1_11target_archE1030ELNS1_3gpuE2ELNS1_3repE0EEENS1_30default_config_static_selectorELNS0_4arch9wavefront6targetE0EEEvS11_,comdat
.Lfunc_end604:
	.size	_ZN7rocprim17ROCPRIM_400000_NS6detail17trampoline_kernelINS0_14default_configENS1_21merge_config_selectorINS0_5tupleIJiiEEENS0_10empty_typeEEEZNS1_10merge_implIS3_NS0_12zip_iteratorINS5_IJN6thrust23THRUST_200600_302600_NS6detail15normal_iteratorINSC_10device_ptrIKiEEEESI_EEEEESK_NSA_INS5_IJNSC_16discard_iteratorINSC_11use_defaultEEESN_EEEEEPS7_SQ_SQ_NSC_11hip_rocprim7__merge17predicate_wrapperIiiNSC_4lessIiEEEEEE10hipError_tPvRmT0_T1_T2_T3_T4_T5_mmT6_P12ihipStream_tbEUlT_E0_NS1_11comp_targetILNS1_3genE8ELNS1_11target_archE1030ELNS1_3gpuE2ELNS1_3repE0EEENS1_30default_config_static_selectorELNS0_4arch9wavefront6targetE0EEEvS11_, .Lfunc_end604-_ZN7rocprim17ROCPRIM_400000_NS6detail17trampoline_kernelINS0_14default_configENS1_21merge_config_selectorINS0_5tupleIJiiEEENS0_10empty_typeEEEZNS1_10merge_implIS3_NS0_12zip_iteratorINS5_IJN6thrust23THRUST_200600_302600_NS6detail15normal_iteratorINSC_10device_ptrIKiEEEESI_EEEEESK_NSA_INS5_IJNSC_16discard_iteratorINSC_11use_defaultEEESN_EEEEEPS7_SQ_SQ_NSC_11hip_rocprim7__merge17predicate_wrapperIiiNSC_4lessIiEEEEEE10hipError_tPvRmT0_T1_T2_T3_T4_T5_mmT6_P12ihipStream_tbEUlT_E0_NS1_11comp_targetILNS1_3genE8ELNS1_11target_archE1030ELNS1_3gpuE2ELNS1_3repE0EEENS1_30default_config_static_selectorELNS0_4arch9wavefront6targetE0EEEvS11_
                                        ; -- End function
	.set _ZN7rocprim17ROCPRIM_400000_NS6detail17trampoline_kernelINS0_14default_configENS1_21merge_config_selectorINS0_5tupleIJiiEEENS0_10empty_typeEEEZNS1_10merge_implIS3_NS0_12zip_iteratorINS5_IJN6thrust23THRUST_200600_302600_NS6detail15normal_iteratorINSC_10device_ptrIKiEEEESI_EEEEESK_NSA_INS5_IJNSC_16discard_iteratorINSC_11use_defaultEEESN_EEEEEPS7_SQ_SQ_NSC_11hip_rocprim7__merge17predicate_wrapperIiiNSC_4lessIiEEEEEE10hipError_tPvRmT0_T1_T2_T3_T4_T5_mmT6_P12ihipStream_tbEUlT_E0_NS1_11comp_targetILNS1_3genE8ELNS1_11target_archE1030ELNS1_3gpuE2ELNS1_3repE0EEENS1_30default_config_static_selectorELNS0_4arch9wavefront6targetE0EEEvS11_.num_vgpr, 54
	.set _ZN7rocprim17ROCPRIM_400000_NS6detail17trampoline_kernelINS0_14default_configENS1_21merge_config_selectorINS0_5tupleIJiiEEENS0_10empty_typeEEEZNS1_10merge_implIS3_NS0_12zip_iteratorINS5_IJN6thrust23THRUST_200600_302600_NS6detail15normal_iteratorINSC_10device_ptrIKiEEEESI_EEEEESK_NSA_INS5_IJNSC_16discard_iteratorINSC_11use_defaultEEESN_EEEEEPS7_SQ_SQ_NSC_11hip_rocprim7__merge17predicate_wrapperIiiNSC_4lessIiEEEEEE10hipError_tPvRmT0_T1_T2_T3_T4_T5_mmT6_P12ihipStream_tbEUlT_E0_NS1_11comp_targetILNS1_3genE8ELNS1_11target_archE1030ELNS1_3gpuE2ELNS1_3repE0EEENS1_30default_config_static_selectorELNS0_4arch9wavefront6targetE0EEEvS11_.num_agpr, 0
	.set _ZN7rocprim17ROCPRIM_400000_NS6detail17trampoline_kernelINS0_14default_configENS1_21merge_config_selectorINS0_5tupleIJiiEEENS0_10empty_typeEEEZNS1_10merge_implIS3_NS0_12zip_iteratorINS5_IJN6thrust23THRUST_200600_302600_NS6detail15normal_iteratorINSC_10device_ptrIKiEEEESI_EEEEESK_NSA_INS5_IJNSC_16discard_iteratorINSC_11use_defaultEEESN_EEEEEPS7_SQ_SQ_NSC_11hip_rocprim7__merge17predicate_wrapperIiiNSC_4lessIiEEEEEE10hipError_tPvRmT0_T1_T2_T3_T4_T5_mmT6_P12ihipStream_tbEUlT_E0_NS1_11comp_targetILNS1_3genE8ELNS1_11target_archE1030ELNS1_3gpuE2ELNS1_3repE0EEENS1_30default_config_static_selectorELNS0_4arch9wavefront6targetE0EEEvS11_.numbered_sgpr, 24
	.set _ZN7rocprim17ROCPRIM_400000_NS6detail17trampoline_kernelINS0_14default_configENS1_21merge_config_selectorINS0_5tupleIJiiEEENS0_10empty_typeEEEZNS1_10merge_implIS3_NS0_12zip_iteratorINS5_IJN6thrust23THRUST_200600_302600_NS6detail15normal_iteratorINSC_10device_ptrIKiEEEESI_EEEEESK_NSA_INS5_IJNSC_16discard_iteratorINSC_11use_defaultEEESN_EEEEEPS7_SQ_SQ_NSC_11hip_rocprim7__merge17predicate_wrapperIiiNSC_4lessIiEEEEEE10hipError_tPvRmT0_T1_T2_T3_T4_T5_mmT6_P12ihipStream_tbEUlT_E0_NS1_11comp_targetILNS1_3genE8ELNS1_11target_archE1030ELNS1_3gpuE2ELNS1_3repE0EEENS1_30default_config_static_selectorELNS0_4arch9wavefront6targetE0EEEvS11_.num_named_barrier, 0
	.set _ZN7rocprim17ROCPRIM_400000_NS6detail17trampoline_kernelINS0_14default_configENS1_21merge_config_selectorINS0_5tupleIJiiEEENS0_10empty_typeEEEZNS1_10merge_implIS3_NS0_12zip_iteratorINS5_IJN6thrust23THRUST_200600_302600_NS6detail15normal_iteratorINSC_10device_ptrIKiEEEESI_EEEEESK_NSA_INS5_IJNSC_16discard_iteratorINSC_11use_defaultEEESN_EEEEEPS7_SQ_SQ_NSC_11hip_rocprim7__merge17predicate_wrapperIiiNSC_4lessIiEEEEEE10hipError_tPvRmT0_T1_T2_T3_T4_T5_mmT6_P12ihipStream_tbEUlT_E0_NS1_11comp_targetILNS1_3genE8ELNS1_11target_archE1030ELNS1_3gpuE2ELNS1_3repE0EEENS1_30default_config_static_selectorELNS0_4arch9wavefront6targetE0EEEvS11_.private_seg_size, 0
	.set _ZN7rocprim17ROCPRIM_400000_NS6detail17trampoline_kernelINS0_14default_configENS1_21merge_config_selectorINS0_5tupleIJiiEEENS0_10empty_typeEEEZNS1_10merge_implIS3_NS0_12zip_iteratorINS5_IJN6thrust23THRUST_200600_302600_NS6detail15normal_iteratorINSC_10device_ptrIKiEEEESI_EEEEESK_NSA_INS5_IJNSC_16discard_iteratorINSC_11use_defaultEEESN_EEEEEPS7_SQ_SQ_NSC_11hip_rocprim7__merge17predicate_wrapperIiiNSC_4lessIiEEEEEE10hipError_tPvRmT0_T1_T2_T3_T4_T5_mmT6_P12ihipStream_tbEUlT_E0_NS1_11comp_targetILNS1_3genE8ELNS1_11target_archE1030ELNS1_3gpuE2ELNS1_3repE0EEENS1_30default_config_static_selectorELNS0_4arch9wavefront6targetE0EEEvS11_.uses_vcc, 1
	.set _ZN7rocprim17ROCPRIM_400000_NS6detail17trampoline_kernelINS0_14default_configENS1_21merge_config_selectorINS0_5tupleIJiiEEENS0_10empty_typeEEEZNS1_10merge_implIS3_NS0_12zip_iteratorINS5_IJN6thrust23THRUST_200600_302600_NS6detail15normal_iteratorINSC_10device_ptrIKiEEEESI_EEEEESK_NSA_INS5_IJNSC_16discard_iteratorINSC_11use_defaultEEESN_EEEEEPS7_SQ_SQ_NSC_11hip_rocprim7__merge17predicate_wrapperIiiNSC_4lessIiEEEEEE10hipError_tPvRmT0_T1_T2_T3_T4_T5_mmT6_P12ihipStream_tbEUlT_E0_NS1_11comp_targetILNS1_3genE8ELNS1_11target_archE1030ELNS1_3gpuE2ELNS1_3repE0EEENS1_30default_config_static_selectorELNS0_4arch9wavefront6targetE0EEEvS11_.uses_flat_scratch, 0
	.set _ZN7rocprim17ROCPRIM_400000_NS6detail17trampoline_kernelINS0_14default_configENS1_21merge_config_selectorINS0_5tupleIJiiEEENS0_10empty_typeEEEZNS1_10merge_implIS3_NS0_12zip_iteratorINS5_IJN6thrust23THRUST_200600_302600_NS6detail15normal_iteratorINSC_10device_ptrIKiEEEESI_EEEEESK_NSA_INS5_IJNSC_16discard_iteratorINSC_11use_defaultEEESN_EEEEEPS7_SQ_SQ_NSC_11hip_rocprim7__merge17predicate_wrapperIiiNSC_4lessIiEEEEEE10hipError_tPvRmT0_T1_T2_T3_T4_T5_mmT6_P12ihipStream_tbEUlT_E0_NS1_11comp_targetILNS1_3genE8ELNS1_11target_archE1030ELNS1_3gpuE2ELNS1_3repE0EEENS1_30default_config_static_selectorELNS0_4arch9wavefront6targetE0EEEvS11_.has_dyn_sized_stack, 0
	.set _ZN7rocprim17ROCPRIM_400000_NS6detail17trampoline_kernelINS0_14default_configENS1_21merge_config_selectorINS0_5tupleIJiiEEENS0_10empty_typeEEEZNS1_10merge_implIS3_NS0_12zip_iteratorINS5_IJN6thrust23THRUST_200600_302600_NS6detail15normal_iteratorINSC_10device_ptrIKiEEEESI_EEEEESK_NSA_INS5_IJNSC_16discard_iteratorINSC_11use_defaultEEESN_EEEEEPS7_SQ_SQ_NSC_11hip_rocprim7__merge17predicate_wrapperIiiNSC_4lessIiEEEEEE10hipError_tPvRmT0_T1_T2_T3_T4_T5_mmT6_P12ihipStream_tbEUlT_E0_NS1_11comp_targetILNS1_3genE8ELNS1_11target_archE1030ELNS1_3gpuE2ELNS1_3repE0EEENS1_30default_config_static_selectorELNS0_4arch9wavefront6targetE0EEEvS11_.has_recursion, 0
	.set _ZN7rocprim17ROCPRIM_400000_NS6detail17trampoline_kernelINS0_14default_configENS1_21merge_config_selectorINS0_5tupleIJiiEEENS0_10empty_typeEEEZNS1_10merge_implIS3_NS0_12zip_iteratorINS5_IJN6thrust23THRUST_200600_302600_NS6detail15normal_iteratorINSC_10device_ptrIKiEEEESI_EEEEESK_NSA_INS5_IJNSC_16discard_iteratorINSC_11use_defaultEEESN_EEEEEPS7_SQ_SQ_NSC_11hip_rocprim7__merge17predicate_wrapperIiiNSC_4lessIiEEEEEE10hipError_tPvRmT0_T1_T2_T3_T4_T5_mmT6_P12ihipStream_tbEUlT_E0_NS1_11comp_targetILNS1_3genE8ELNS1_11target_archE1030ELNS1_3gpuE2ELNS1_3repE0EEENS1_30default_config_static_selectorELNS0_4arch9wavefront6targetE0EEEvS11_.has_indirect_call, 0
	.section	.AMDGPU.csdata,"",@progbits
; Kernel info:
; codeLenInByte = 5092
; TotalNumSgprs: 26
; NumVgprs: 54
; ScratchSize: 0
; MemoryBound: 0
; FloatMode: 240
; IeeeMode: 1
; LDSByteSize: 33792 bytes/workgroup (compile time only)
; SGPRBlocks: 0
; VGPRBlocks: 18
; NumSGPRsForWavesPerEU: 26
; NumVGPRsForWavesPerEU: 145
; Occupancy: 6
; WaveLimiterHint : 1
; COMPUTE_PGM_RSRC2:SCRATCH_EN: 0
; COMPUTE_PGM_RSRC2:USER_SGPR: 6
; COMPUTE_PGM_RSRC2:TRAP_HANDLER: 0
; COMPUTE_PGM_RSRC2:TGID_X_EN: 1
; COMPUTE_PGM_RSRC2:TGID_Y_EN: 0
; COMPUTE_PGM_RSRC2:TGID_Z_EN: 0
; COMPUTE_PGM_RSRC2:TIDIG_COMP_CNT: 0
	.section	.text._ZN7rocprim17ROCPRIM_400000_NS6detail17trampoline_kernelINS0_14default_configENS1_21merge_config_selectorINS0_5tupleIJssEEENS0_10empty_typeEEEZNS1_10merge_implIS3_NS0_12zip_iteratorINS5_IJN6thrust23THRUST_200600_302600_NS6detail15normal_iteratorINSC_10device_ptrIKsEEEESI_EEEEESK_NSA_INS5_IJNSC_16discard_iteratorINSC_11use_defaultEEESN_EEEEEPS7_SQ_SQ_NSC_11hip_rocprim7__merge17predicate_wrapperIssNSC_4lessIsEEEEEE10hipError_tPvRmT0_T1_T2_T3_T4_T5_mmT6_P12ihipStream_tbEUlT_E_NS1_11comp_targetILNS1_3genE0ELNS1_11target_archE4294967295ELNS1_3gpuE0ELNS1_3repE0EEENS1_30default_config_static_selectorELNS0_4arch9wavefront6targetE0EEEvS11_,"axG",@progbits,_ZN7rocprim17ROCPRIM_400000_NS6detail17trampoline_kernelINS0_14default_configENS1_21merge_config_selectorINS0_5tupleIJssEEENS0_10empty_typeEEEZNS1_10merge_implIS3_NS0_12zip_iteratorINS5_IJN6thrust23THRUST_200600_302600_NS6detail15normal_iteratorINSC_10device_ptrIKsEEEESI_EEEEESK_NSA_INS5_IJNSC_16discard_iteratorINSC_11use_defaultEEESN_EEEEEPS7_SQ_SQ_NSC_11hip_rocprim7__merge17predicate_wrapperIssNSC_4lessIsEEEEEE10hipError_tPvRmT0_T1_T2_T3_T4_T5_mmT6_P12ihipStream_tbEUlT_E_NS1_11comp_targetILNS1_3genE0ELNS1_11target_archE4294967295ELNS1_3gpuE0ELNS1_3repE0EEENS1_30default_config_static_selectorELNS0_4arch9wavefront6targetE0EEEvS11_,comdat
	.protected	_ZN7rocprim17ROCPRIM_400000_NS6detail17trampoline_kernelINS0_14default_configENS1_21merge_config_selectorINS0_5tupleIJssEEENS0_10empty_typeEEEZNS1_10merge_implIS3_NS0_12zip_iteratorINS5_IJN6thrust23THRUST_200600_302600_NS6detail15normal_iteratorINSC_10device_ptrIKsEEEESI_EEEEESK_NSA_INS5_IJNSC_16discard_iteratorINSC_11use_defaultEEESN_EEEEEPS7_SQ_SQ_NSC_11hip_rocprim7__merge17predicate_wrapperIssNSC_4lessIsEEEEEE10hipError_tPvRmT0_T1_T2_T3_T4_T5_mmT6_P12ihipStream_tbEUlT_E_NS1_11comp_targetILNS1_3genE0ELNS1_11target_archE4294967295ELNS1_3gpuE0ELNS1_3repE0EEENS1_30default_config_static_selectorELNS0_4arch9wavefront6targetE0EEEvS11_ ; -- Begin function _ZN7rocprim17ROCPRIM_400000_NS6detail17trampoline_kernelINS0_14default_configENS1_21merge_config_selectorINS0_5tupleIJssEEENS0_10empty_typeEEEZNS1_10merge_implIS3_NS0_12zip_iteratorINS5_IJN6thrust23THRUST_200600_302600_NS6detail15normal_iteratorINSC_10device_ptrIKsEEEESI_EEEEESK_NSA_INS5_IJNSC_16discard_iteratorINSC_11use_defaultEEESN_EEEEEPS7_SQ_SQ_NSC_11hip_rocprim7__merge17predicate_wrapperIssNSC_4lessIsEEEEEE10hipError_tPvRmT0_T1_T2_T3_T4_T5_mmT6_P12ihipStream_tbEUlT_E_NS1_11comp_targetILNS1_3genE0ELNS1_11target_archE4294967295ELNS1_3gpuE0ELNS1_3repE0EEENS1_30default_config_static_selectorELNS0_4arch9wavefront6targetE0EEEvS11_
	.globl	_ZN7rocprim17ROCPRIM_400000_NS6detail17trampoline_kernelINS0_14default_configENS1_21merge_config_selectorINS0_5tupleIJssEEENS0_10empty_typeEEEZNS1_10merge_implIS3_NS0_12zip_iteratorINS5_IJN6thrust23THRUST_200600_302600_NS6detail15normal_iteratorINSC_10device_ptrIKsEEEESI_EEEEESK_NSA_INS5_IJNSC_16discard_iteratorINSC_11use_defaultEEESN_EEEEEPS7_SQ_SQ_NSC_11hip_rocprim7__merge17predicate_wrapperIssNSC_4lessIsEEEEEE10hipError_tPvRmT0_T1_T2_T3_T4_T5_mmT6_P12ihipStream_tbEUlT_E_NS1_11comp_targetILNS1_3genE0ELNS1_11target_archE4294967295ELNS1_3gpuE0ELNS1_3repE0EEENS1_30default_config_static_selectorELNS0_4arch9wavefront6targetE0EEEvS11_
	.p2align	8
	.type	_ZN7rocprim17ROCPRIM_400000_NS6detail17trampoline_kernelINS0_14default_configENS1_21merge_config_selectorINS0_5tupleIJssEEENS0_10empty_typeEEEZNS1_10merge_implIS3_NS0_12zip_iteratorINS5_IJN6thrust23THRUST_200600_302600_NS6detail15normal_iteratorINSC_10device_ptrIKsEEEESI_EEEEESK_NSA_INS5_IJNSC_16discard_iteratorINSC_11use_defaultEEESN_EEEEEPS7_SQ_SQ_NSC_11hip_rocprim7__merge17predicate_wrapperIssNSC_4lessIsEEEEEE10hipError_tPvRmT0_T1_T2_T3_T4_T5_mmT6_P12ihipStream_tbEUlT_E_NS1_11comp_targetILNS1_3genE0ELNS1_11target_archE4294967295ELNS1_3gpuE0ELNS1_3repE0EEENS1_30default_config_static_selectorELNS0_4arch9wavefront6targetE0EEEvS11_,@function
_ZN7rocprim17ROCPRIM_400000_NS6detail17trampoline_kernelINS0_14default_configENS1_21merge_config_selectorINS0_5tupleIJssEEENS0_10empty_typeEEEZNS1_10merge_implIS3_NS0_12zip_iteratorINS5_IJN6thrust23THRUST_200600_302600_NS6detail15normal_iteratorINSC_10device_ptrIKsEEEESI_EEEEESK_NSA_INS5_IJNSC_16discard_iteratorINSC_11use_defaultEEESN_EEEEEPS7_SQ_SQ_NSC_11hip_rocprim7__merge17predicate_wrapperIssNSC_4lessIsEEEEEE10hipError_tPvRmT0_T1_T2_T3_T4_T5_mmT6_P12ihipStream_tbEUlT_E_NS1_11comp_targetILNS1_3genE0ELNS1_11target_archE4294967295ELNS1_3gpuE0ELNS1_3repE0EEENS1_30default_config_static_selectorELNS0_4arch9wavefront6targetE0EEEvS11_: ; @_ZN7rocprim17ROCPRIM_400000_NS6detail17trampoline_kernelINS0_14default_configENS1_21merge_config_selectorINS0_5tupleIJssEEENS0_10empty_typeEEEZNS1_10merge_implIS3_NS0_12zip_iteratorINS5_IJN6thrust23THRUST_200600_302600_NS6detail15normal_iteratorINSC_10device_ptrIKsEEEESI_EEEEESK_NSA_INS5_IJNSC_16discard_iteratorINSC_11use_defaultEEESN_EEEEEPS7_SQ_SQ_NSC_11hip_rocprim7__merge17predicate_wrapperIssNSC_4lessIsEEEEEE10hipError_tPvRmT0_T1_T2_T3_T4_T5_mmT6_P12ihipStream_tbEUlT_E_NS1_11comp_targetILNS1_3genE0ELNS1_11target_archE4294967295ELNS1_3gpuE0ELNS1_3repE0EEENS1_30default_config_static_selectorELNS0_4arch9wavefront6targetE0EEEvS11_
; %bb.0:
	.section	.rodata,"a",@progbits
	.p2align	6, 0x0
	.amdhsa_kernel _ZN7rocprim17ROCPRIM_400000_NS6detail17trampoline_kernelINS0_14default_configENS1_21merge_config_selectorINS0_5tupleIJssEEENS0_10empty_typeEEEZNS1_10merge_implIS3_NS0_12zip_iteratorINS5_IJN6thrust23THRUST_200600_302600_NS6detail15normal_iteratorINSC_10device_ptrIKsEEEESI_EEEEESK_NSA_INS5_IJNSC_16discard_iteratorINSC_11use_defaultEEESN_EEEEEPS7_SQ_SQ_NSC_11hip_rocprim7__merge17predicate_wrapperIssNSC_4lessIsEEEEEE10hipError_tPvRmT0_T1_T2_T3_T4_T5_mmT6_P12ihipStream_tbEUlT_E_NS1_11comp_targetILNS1_3genE0ELNS1_11target_archE4294967295ELNS1_3gpuE0ELNS1_3repE0EEENS1_30default_config_static_selectorELNS0_4arch9wavefront6targetE0EEEvS11_
		.amdhsa_group_segment_fixed_size 0
		.amdhsa_private_segment_fixed_size 0
		.amdhsa_kernarg_size 64
		.amdhsa_user_sgpr_count 6
		.amdhsa_user_sgpr_private_segment_buffer 1
		.amdhsa_user_sgpr_dispatch_ptr 0
		.amdhsa_user_sgpr_queue_ptr 0
		.amdhsa_user_sgpr_kernarg_segment_ptr 1
		.amdhsa_user_sgpr_dispatch_id 0
		.amdhsa_user_sgpr_flat_scratch_init 0
		.amdhsa_user_sgpr_private_segment_size 0
		.amdhsa_wavefront_size32 1
		.amdhsa_uses_dynamic_stack 0
		.amdhsa_system_sgpr_private_segment_wavefront_offset 0
		.amdhsa_system_sgpr_workgroup_id_x 1
		.amdhsa_system_sgpr_workgroup_id_y 0
		.amdhsa_system_sgpr_workgroup_id_z 0
		.amdhsa_system_sgpr_workgroup_info 0
		.amdhsa_system_vgpr_workitem_id 0
		.amdhsa_next_free_vgpr 1
		.amdhsa_next_free_sgpr 1
		.amdhsa_reserve_vcc 0
		.amdhsa_reserve_flat_scratch 0
		.amdhsa_float_round_mode_32 0
		.amdhsa_float_round_mode_16_64 0
		.amdhsa_float_denorm_mode_32 3
		.amdhsa_float_denorm_mode_16_64 3
		.amdhsa_dx10_clamp 1
		.amdhsa_ieee_mode 1
		.amdhsa_fp16_overflow 0
		.amdhsa_workgroup_processor_mode 1
		.amdhsa_memory_ordered 1
		.amdhsa_forward_progress 1
		.amdhsa_shared_vgpr_count 0
		.amdhsa_exception_fp_ieee_invalid_op 0
		.amdhsa_exception_fp_denorm_src 0
		.amdhsa_exception_fp_ieee_div_zero 0
		.amdhsa_exception_fp_ieee_overflow 0
		.amdhsa_exception_fp_ieee_underflow 0
		.amdhsa_exception_fp_ieee_inexact 0
		.amdhsa_exception_int_div_zero 0
	.end_amdhsa_kernel
	.section	.text._ZN7rocprim17ROCPRIM_400000_NS6detail17trampoline_kernelINS0_14default_configENS1_21merge_config_selectorINS0_5tupleIJssEEENS0_10empty_typeEEEZNS1_10merge_implIS3_NS0_12zip_iteratorINS5_IJN6thrust23THRUST_200600_302600_NS6detail15normal_iteratorINSC_10device_ptrIKsEEEESI_EEEEESK_NSA_INS5_IJNSC_16discard_iteratorINSC_11use_defaultEEESN_EEEEEPS7_SQ_SQ_NSC_11hip_rocprim7__merge17predicate_wrapperIssNSC_4lessIsEEEEEE10hipError_tPvRmT0_T1_T2_T3_T4_T5_mmT6_P12ihipStream_tbEUlT_E_NS1_11comp_targetILNS1_3genE0ELNS1_11target_archE4294967295ELNS1_3gpuE0ELNS1_3repE0EEENS1_30default_config_static_selectorELNS0_4arch9wavefront6targetE0EEEvS11_,"axG",@progbits,_ZN7rocprim17ROCPRIM_400000_NS6detail17trampoline_kernelINS0_14default_configENS1_21merge_config_selectorINS0_5tupleIJssEEENS0_10empty_typeEEEZNS1_10merge_implIS3_NS0_12zip_iteratorINS5_IJN6thrust23THRUST_200600_302600_NS6detail15normal_iteratorINSC_10device_ptrIKsEEEESI_EEEEESK_NSA_INS5_IJNSC_16discard_iteratorINSC_11use_defaultEEESN_EEEEEPS7_SQ_SQ_NSC_11hip_rocprim7__merge17predicate_wrapperIssNSC_4lessIsEEEEEE10hipError_tPvRmT0_T1_T2_T3_T4_T5_mmT6_P12ihipStream_tbEUlT_E_NS1_11comp_targetILNS1_3genE0ELNS1_11target_archE4294967295ELNS1_3gpuE0ELNS1_3repE0EEENS1_30default_config_static_selectorELNS0_4arch9wavefront6targetE0EEEvS11_,comdat
.Lfunc_end605:
	.size	_ZN7rocprim17ROCPRIM_400000_NS6detail17trampoline_kernelINS0_14default_configENS1_21merge_config_selectorINS0_5tupleIJssEEENS0_10empty_typeEEEZNS1_10merge_implIS3_NS0_12zip_iteratorINS5_IJN6thrust23THRUST_200600_302600_NS6detail15normal_iteratorINSC_10device_ptrIKsEEEESI_EEEEESK_NSA_INS5_IJNSC_16discard_iteratorINSC_11use_defaultEEESN_EEEEEPS7_SQ_SQ_NSC_11hip_rocprim7__merge17predicate_wrapperIssNSC_4lessIsEEEEEE10hipError_tPvRmT0_T1_T2_T3_T4_T5_mmT6_P12ihipStream_tbEUlT_E_NS1_11comp_targetILNS1_3genE0ELNS1_11target_archE4294967295ELNS1_3gpuE0ELNS1_3repE0EEENS1_30default_config_static_selectorELNS0_4arch9wavefront6targetE0EEEvS11_, .Lfunc_end605-_ZN7rocprim17ROCPRIM_400000_NS6detail17trampoline_kernelINS0_14default_configENS1_21merge_config_selectorINS0_5tupleIJssEEENS0_10empty_typeEEEZNS1_10merge_implIS3_NS0_12zip_iteratorINS5_IJN6thrust23THRUST_200600_302600_NS6detail15normal_iteratorINSC_10device_ptrIKsEEEESI_EEEEESK_NSA_INS5_IJNSC_16discard_iteratorINSC_11use_defaultEEESN_EEEEEPS7_SQ_SQ_NSC_11hip_rocprim7__merge17predicate_wrapperIssNSC_4lessIsEEEEEE10hipError_tPvRmT0_T1_T2_T3_T4_T5_mmT6_P12ihipStream_tbEUlT_E_NS1_11comp_targetILNS1_3genE0ELNS1_11target_archE4294967295ELNS1_3gpuE0ELNS1_3repE0EEENS1_30default_config_static_selectorELNS0_4arch9wavefront6targetE0EEEvS11_
                                        ; -- End function
	.set _ZN7rocprim17ROCPRIM_400000_NS6detail17trampoline_kernelINS0_14default_configENS1_21merge_config_selectorINS0_5tupleIJssEEENS0_10empty_typeEEEZNS1_10merge_implIS3_NS0_12zip_iteratorINS5_IJN6thrust23THRUST_200600_302600_NS6detail15normal_iteratorINSC_10device_ptrIKsEEEESI_EEEEESK_NSA_INS5_IJNSC_16discard_iteratorINSC_11use_defaultEEESN_EEEEEPS7_SQ_SQ_NSC_11hip_rocprim7__merge17predicate_wrapperIssNSC_4lessIsEEEEEE10hipError_tPvRmT0_T1_T2_T3_T4_T5_mmT6_P12ihipStream_tbEUlT_E_NS1_11comp_targetILNS1_3genE0ELNS1_11target_archE4294967295ELNS1_3gpuE0ELNS1_3repE0EEENS1_30default_config_static_selectorELNS0_4arch9wavefront6targetE0EEEvS11_.num_vgpr, 0
	.set _ZN7rocprim17ROCPRIM_400000_NS6detail17trampoline_kernelINS0_14default_configENS1_21merge_config_selectorINS0_5tupleIJssEEENS0_10empty_typeEEEZNS1_10merge_implIS3_NS0_12zip_iteratorINS5_IJN6thrust23THRUST_200600_302600_NS6detail15normal_iteratorINSC_10device_ptrIKsEEEESI_EEEEESK_NSA_INS5_IJNSC_16discard_iteratorINSC_11use_defaultEEESN_EEEEEPS7_SQ_SQ_NSC_11hip_rocprim7__merge17predicate_wrapperIssNSC_4lessIsEEEEEE10hipError_tPvRmT0_T1_T2_T3_T4_T5_mmT6_P12ihipStream_tbEUlT_E_NS1_11comp_targetILNS1_3genE0ELNS1_11target_archE4294967295ELNS1_3gpuE0ELNS1_3repE0EEENS1_30default_config_static_selectorELNS0_4arch9wavefront6targetE0EEEvS11_.num_agpr, 0
	.set _ZN7rocprim17ROCPRIM_400000_NS6detail17trampoline_kernelINS0_14default_configENS1_21merge_config_selectorINS0_5tupleIJssEEENS0_10empty_typeEEEZNS1_10merge_implIS3_NS0_12zip_iteratorINS5_IJN6thrust23THRUST_200600_302600_NS6detail15normal_iteratorINSC_10device_ptrIKsEEEESI_EEEEESK_NSA_INS5_IJNSC_16discard_iteratorINSC_11use_defaultEEESN_EEEEEPS7_SQ_SQ_NSC_11hip_rocprim7__merge17predicate_wrapperIssNSC_4lessIsEEEEEE10hipError_tPvRmT0_T1_T2_T3_T4_T5_mmT6_P12ihipStream_tbEUlT_E_NS1_11comp_targetILNS1_3genE0ELNS1_11target_archE4294967295ELNS1_3gpuE0ELNS1_3repE0EEENS1_30default_config_static_selectorELNS0_4arch9wavefront6targetE0EEEvS11_.numbered_sgpr, 0
	.set _ZN7rocprim17ROCPRIM_400000_NS6detail17trampoline_kernelINS0_14default_configENS1_21merge_config_selectorINS0_5tupleIJssEEENS0_10empty_typeEEEZNS1_10merge_implIS3_NS0_12zip_iteratorINS5_IJN6thrust23THRUST_200600_302600_NS6detail15normal_iteratorINSC_10device_ptrIKsEEEESI_EEEEESK_NSA_INS5_IJNSC_16discard_iteratorINSC_11use_defaultEEESN_EEEEEPS7_SQ_SQ_NSC_11hip_rocprim7__merge17predicate_wrapperIssNSC_4lessIsEEEEEE10hipError_tPvRmT0_T1_T2_T3_T4_T5_mmT6_P12ihipStream_tbEUlT_E_NS1_11comp_targetILNS1_3genE0ELNS1_11target_archE4294967295ELNS1_3gpuE0ELNS1_3repE0EEENS1_30default_config_static_selectorELNS0_4arch9wavefront6targetE0EEEvS11_.num_named_barrier, 0
	.set _ZN7rocprim17ROCPRIM_400000_NS6detail17trampoline_kernelINS0_14default_configENS1_21merge_config_selectorINS0_5tupleIJssEEENS0_10empty_typeEEEZNS1_10merge_implIS3_NS0_12zip_iteratorINS5_IJN6thrust23THRUST_200600_302600_NS6detail15normal_iteratorINSC_10device_ptrIKsEEEESI_EEEEESK_NSA_INS5_IJNSC_16discard_iteratorINSC_11use_defaultEEESN_EEEEEPS7_SQ_SQ_NSC_11hip_rocprim7__merge17predicate_wrapperIssNSC_4lessIsEEEEEE10hipError_tPvRmT0_T1_T2_T3_T4_T5_mmT6_P12ihipStream_tbEUlT_E_NS1_11comp_targetILNS1_3genE0ELNS1_11target_archE4294967295ELNS1_3gpuE0ELNS1_3repE0EEENS1_30default_config_static_selectorELNS0_4arch9wavefront6targetE0EEEvS11_.private_seg_size, 0
	.set _ZN7rocprim17ROCPRIM_400000_NS6detail17trampoline_kernelINS0_14default_configENS1_21merge_config_selectorINS0_5tupleIJssEEENS0_10empty_typeEEEZNS1_10merge_implIS3_NS0_12zip_iteratorINS5_IJN6thrust23THRUST_200600_302600_NS6detail15normal_iteratorINSC_10device_ptrIKsEEEESI_EEEEESK_NSA_INS5_IJNSC_16discard_iteratorINSC_11use_defaultEEESN_EEEEEPS7_SQ_SQ_NSC_11hip_rocprim7__merge17predicate_wrapperIssNSC_4lessIsEEEEEE10hipError_tPvRmT0_T1_T2_T3_T4_T5_mmT6_P12ihipStream_tbEUlT_E_NS1_11comp_targetILNS1_3genE0ELNS1_11target_archE4294967295ELNS1_3gpuE0ELNS1_3repE0EEENS1_30default_config_static_selectorELNS0_4arch9wavefront6targetE0EEEvS11_.uses_vcc, 0
	.set _ZN7rocprim17ROCPRIM_400000_NS6detail17trampoline_kernelINS0_14default_configENS1_21merge_config_selectorINS0_5tupleIJssEEENS0_10empty_typeEEEZNS1_10merge_implIS3_NS0_12zip_iteratorINS5_IJN6thrust23THRUST_200600_302600_NS6detail15normal_iteratorINSC_10device_ptrIKsEEEESI_EEEEESK_NSA_INS5_IJNSC_16discard_iteratorINSC_11use_defaultEEESN_EEEEEPS7_SQ_SQ_NSC_11hip_rocprim7__merge17predicate_wrapperIssNSC_4lessIsEEEEEE10hipError_tPvRmT0_T1_T2_T3_T4_T5_mmT6_P12ihipStream_tbEUlT_E_NS1_11comp_targetILNS1_3genE0ELNS1_11target_archE4294967295ELNS1_3gpuE0ELNS1_3repE0EEENS1_30default_config_static_selectorELNS0_4arch9wavefront6targetE0EEEvS11_.uses_flat_scratch, 0
	.set _ZN7rocprim17ROCPRIM_400000_NS6detail17trampoline_kernelINS0_14default_configENS1_21merge_config_selectorINS0_5tupleIJssEEENS0_10empty_typeEEEZNS1_10merge_implIS3_NS0_12zip_iteratorINS5_IJN6thrust23THRUST_200600_302600_NS6detail15normal_iteratorINSC_10device_ptrIKsEEEESI_EEEEESK_NSA_INS5_IJNSC_16discard_iteratorINSC_11use_defaultEEESN_EEEEEPS7_SQ_SQ_NSC_11hip_rocprim7__merge17predicate_wrapperIssNSC_4lessIsEEEEEE10hipError_tPvRmT0_T1_T2_T3_T4_T5_mmT6_P12ihipStream_tbEUlT_E_NS1_11comp_targetILNS1_3genE0ELNS1_11target_archE4294967295ELNS1_3gpuE0ELNS1_3repE0EEENS1_30default_config_static_selectorELNS0_4arch9wavefront6targetE0EEEvS11_.has_dyn_sized_stack, 0
	.set _ZN7rocprim17ROCPRIM_400000_NS6detail17trampoline_kernelINS0_14default_configENS1_21merge_config_selectorINS0_5tupleIJssEEENS0_10empty_typeEEEZNS1_10merge_implIS3_NS0_12zip_iteratorINS5_IJN6thrust23THRUST_200600_302600_NS6detail15normal_iteratorINSC_10device_ptrIKsEEEESI_EEEEESK_NSA_INS5_IJNSC_16discard_iteratorINSC_11use_defaultEEESN_EEEEEPS7_SQ_SQ_NSC_11hip_rocprim7__merge17predicate_wrapperIssNSC_4lessIsEEEEEE10hipError_tPvRmT0_T1_T2_T3_T4_T5_mmT6_P12ihipStream_tbEUlT_E_NS1_11comp_targetILNS1_3genE0ELNS1_11target_archE4294967295ELNS1_3gpuE0ELNS1_3repE0EEENS1_30default_config_static_selectorELNS0_4arch9wavefront6targetE0EEEvS11_.has_recursion, 0
	.set _ZN7rocprim17ROCPRIM_400000_NS6detail17trampoline_kernelINS0_14default_configENS1_21merge_config_selectorINS0_5tupleIJssEEENS0_10empty_typeEEEZNS1_10merge_implIS3_NS0_12zip_iteratorINS5_IJN6thrust23THRUST_200600_302600_NS6detail15normal_iteratorINSC_10device_ptrIKsEEEESI_EEEEESK_NSA_INS5_IJNSC_16discard_iteratorINSC_11use_defaultEEESN_EEEEEPS7_SQ_SQ_NSC_11hip_rocprim7__merge17predicate_wrapperIssNSC_4lessIsEEEEEE10hipError_tPvRmT0_T1_T2_T3_T4_T5_mmT6_P12ihipStream_tbEUlT_E_NS1_11comp_targetILNS1_3genE0ELNS1_11target_archE4294967295ELNS1_3gpuE0ELNS1_3repE0EEENS1_30default_config_static_selectorELNS0_4arch9wavefront6targetE0EEEvS11_.has_indirect_call, 0
	.section	.AMDGPU.csdata,"",@progbits
; Kernel info:
; codeLenInByte = 0
; TotalNumSgprs: 0
; NumVgprs: 0
; ScratchSize: 0
; MemoryBound: 0
; FloatMode: 240
; IeeeMode: 1
; LDSByteSize: 0 bytes/workgroup (compile time only)
; SGPRBlocks: 0
; VGPRBlocks: 0
; NumSGPRsForWavesPerEU: 1
; NumVGPRsForWavesPerEU: 1
; Occupancy: 16
; WaveLimiterHint : 0
; COMPUTE_PGM_RSRC2:SCRATCH_EN: 0
; COMPUTE_PGM_RSRC2:USER_SGPR: 6
; COMPUTE_PGM_RSRC2:TRAP_HANDLER: 0
; COMPUTE_PGM_RSRC2:TGID_X_EN: 1
; COMPUTE_PGM_RSRC2:TGID_Y_EN: 0
; COMPUTE_PGM_RSRC2:TGID_Z_EN: 0
; COMPUTE_PGM_RSRC2:TIDIG_COMP_CNT: 0
	.section	.text._ZN7rocprim17ROCPRIM_400000_NS6detail17trampoline_kernelINS0_14default_configENS1_21merge_config_selectorINS0_5tupleIJssEEENS0_10empty_typeEEEZNS1_10merge_implIS3_NS0_12zip_iteratorINS5_IJN6thrust23THRUST_200600_302600_NS6detail15normal_iteratorINSC_10device_ptrIKsEEEESI_EEEEESK_NSA_INS5_IJNSC_16discard_iteratorINSC_11use_defaultEEESN_EEEEEPS7_SQ_SQ_NSC_11hip_rocprim7__merge17predicate_wrapperIssNSC_4lessIsEEEEEE10hipError_tPvRmT0_T1_T2_T3_T4_T5_mmT6_P12ihipStream_tbEUlT_E_NS1_11comp_targetILNS1_3genE5ELNS1_11target_archE942ELNS1_3gpuE9ELNS1_3repE0EEENS1_30default_config_static_selectorELNS0_4arch9wavefront6targetE0EEEvS11_,"axG",@progbits,_ZN7rocprim17ROCPRIM_400000_NS6detail17trampoline_kernelINS0_14default_configENS1_21merge_config_selectorINS0_5tupleIJssEEENS0_10empty_typeEEEZNS1_10merge_implIS3_NS0_12zip_iteratorINS5_IJN6thrust23THRUST_200600_302600_NS6detail15normal_iteratorINSC_10device_ptrIKsEEEESI_EEEEESK_NSA_INS5_IJNSC_16discard_iteratorINSC_11use_defaultEEESN_EEEEEPS7_SQ_SQ_NSC_11hip_rocprim7__merge17predicate_wrapperIssNSC_4lessIsEEEEEE10hipError_tPvRmT0_T1_T2_T3_T4_T5_mmT6_P12ihipStream_tbEUlT_E_NS1_11comp_targetILNS1_3genE5ELNS1_11target_archE942ELNS1_3gpuE9ELNS1_3repE0EEENS1_30default_config_static_selectorELNS0_4arch9wavefront6targetE0EEEvS11_,comdat
	.protected	_ZN7rocprim17ROCPRIM_400000_NS6detail17trampoline_kernelINS0_14default_configENS1_21merge_config_selectorINS0_5tupleIJssEEENS0_10empty_typeEEEZNS1_10merge_implIS3_NS0_12zip_iteratorINS5_IJN6thrust23THRUST_200600_302600_NS6detail15normal_iteratorINSC_10device_ptrIKsEEEESI_EEEEESK_NSA_INS5_IJNSC_16discard_iteratorINSC_11use_defaultEEESN_EEEEEPS7_SQ_SQ_NSC_11hip_rocprim7__merge17predicate_wrapperIssNSC_4lessIsEEEEEE10hipError_tPvRmT0_T1_T2_T3_T4_T5_mmT6_P12ihipStream_tbEUlT_E_NS1_11comp_targetILNS1_3genE5ELNS1_11target_archE942ELNS1_3gpuE9ELNS1_3repE0EEENS1_30default_config_static_selectorELNS0_4arch9wavefront6targetE0EEEvS11_ ; -- Begin function _ZN7rocprim17ROCPRIM_400000_NS6detail17trampoline_kernelINS0_14default_configENS1_21merge_config_selectorINS0_5tupleIJssEEENS0_10empty_typeEEEZNS1_10merge_implIS3_NS0_12zip_iteratorINS5_IJN6thrust23THRUST_200600_302600_NS6detail15normal_iteratorINSC_10device_ptrIKsEEEESI_EEEEESK_NSA_INS5_IJNSC_16discard_iteratorINSC_11use_defaultEEESN_EEEEEPS7_SQ_SQ_NSC_11hip_rocprim7__merge17predicate_wrapperIssNSC_4lessIsEEEEEE10hipError_tPvRmT0_T1_T2_T3_T4_T5_mmT6_P12ihipStream_tbEUlT_E_NS1_11comp_targetILNS1_3genE5ELNS1_11target_archE942ELNS1_3gpuE9ELNS1_3repE0EEENS1_30default_config_static_selectorELNS0_4arch9wavefront6targetE0EEEvS11_
	.globl	_ZN7rocprim17ROCPRIM_400000_NS6detail17trampoline_kernelINS0_14default_configENS1_21merge_config_selectorINS0_5tupleIJssEEENS0_10empty_typeEEEZNS1_10merge_implIS3_NS0_12zip_iteratorINS5_IJN6thrust23THRUST_200600_302600_NS6detail15normal_iteratorINSC_10device_ptrIKsEEEESI_EEEEESK_NSA_INS5_IJNSC_16discard_iteratorINSC_11use_defaultEEESN_EEEEEPS7_SQ_SQ_NSC_11hip_rocprim7__merge17predicate_wrapperIssNSC_4lessIsEEEEEE10hipError_tPvRmT0_T1_T2_T3_T4_T5_mmT6_P12ihipStream_tbEUlT_E_NS1_11comp_targetILNS1_3genE5ELNS1_11target_archE942ELNS1_3gpuE9ELNS1_3repE0EEENS1_30default_config_static_selectorELNS0_4arch9wavefront6targetE0EEEvS11_
	.p2align	8
	.type	_ZN7rocprim17ROCPRIM_400000_NS6detail17trampoline_kernelINS0_14default_configENS1_21merge_config_selectorINS0_5tupleIJssEEENS0_10empty_typeEEEZNS1_10merge_implIS3_NS0_12zip_iteratorINS5_IJN6thrust23THRUST_200600_302600_NS6detail15normal_iteratorINSC_10device_ptrIKsEEEESI_EEEEESK_NSA_INS5_IJNSC_16discard_iteratorINSC_11use_defaultEEESN_EEEEEPS7_SQ_SQ_NSC_11hip_rocprim7__merge17predicate_wrapperIssNSC_4lessIsEEEEEE10hipError_tPvRmT0_T1_T2_T3_T4_T5_mmT6_P12ihipStream_tbEUlT_E_NS1_11comp_targetILNS1_3genE5ELNS1_11target_archE942ELNS1_3gpuE9ELNS1_3repE0EEENS1_30default_config_static_selectorELNS0_4arch9wavefront6targetE0EEEvS11_,@function
_ZN7rocprim17ROCPRIM_400000_NS6detail17trampoline_kernelINS0_14default_configENS1_21merge_config_selectorINS0_5tupleIJssEEENS0_10empty_typeEEEZNS1_10merge_implIS3_NS0_12zip_iteratorINS5_IJN6thrust23THRUST_200600_302600_NS6detail15normal_iteratorINSC_10device_ptrIKsEEEESI_EEEEESK_NSA_INS5_IJNSC_16discard_iteratorINSC_11use_defaultEEESN_EEEEEPS7_SQ_SQ_NSC_11hip_rocprim7__merge17predicate_wrapperIssNSC_4lessIsEEEEEE10hipError_tPvRmT0_T1_T2_T3_T4_T5_mmT6_P12ihipStream_tbEUlT_E_NS1_11comp_targetILNS1_3genE5ELNS1_11target_archE942ELNS1_3gpuE9ELNS1_3repE0EEENS1_30default_config_static_selectorELNS0_4arch9wavefront6targetE0EEEvS11_: ; @_ZN7rocprim17ROCPRIM_400000_NS6detail17trampoline_kernelINS0_14default_configENS1_21merge_config_selectorINS0_5tupleIJssEEENS0_10empty_typeEEEZNS1_10merge_implIS3_NS0_12zip_iteratorINS5_IJN6thrust23THRUST_200600_302600_NS6detail15normal_iteratorINSC_10device_ptrIKsEEEESI_EEEEESK_NSA_INS5_IJNSC_16discard_iteratorINSC_11use_defaultEEESN_EEEEEPS7_SQ_SQ_NSC_11hip_rocprim7__merge17predicate_wrapperIssNSC_4lessIsEEEEEE10hipError_tPvRmT0_T1_T2_T3_T4_T5_mmT6_P12ihipStream_tbEUlT_E_NS1_11comp_targetILNS1_3genE5ELNS1_11target_archE942ELNS1_3gpuE9ELNS1_3repE0EEENS1_30default_config_static_selectorELNS0_4arch9wavefront6targetE0EEEvS11_
; %bb.0:
	.section	.rodata,"a",@progbits
	.p2align	6, 0x0
	.amdhsa_kernel _ZN7rocprim17ROCPRIM_400000_NS6detail17trampoline_kernelINS0_14default_configENS1_21merge_config_selectorINS0_5tupleIJssEEENS0_10empty_typeEEEZNS1_10merge_implIS3_NS0_12zip_iteratorINS5_IJN6thrust23THRUST_200600_302600_NS6detail15normal_iteratorINSC_10device_ptrIKsEEEESI_EEEEESK_NSA_INS5_IJNSC_16discard_iteratorINSC_11use_defaultEEESN_EEEEEPS7_SQ_SQ_NSC_11hip_rocprim7__merge17predicate_wrapperIssNSC_4lessIsEEEEEE10hipError_tPvRmT0_T1_T2_T3_T4_T5_mmT6_P12ihipStream_tbEUlT_E_NS1_11comp_targetILNS1_3genE5ELNS1_11target_archE942ELNS1_3gpuE9ELNS1_3repE0EEENS1_30default_config_static_selectorELNS0_4arch9wavefront6targetE0EEEvS11_
		.amdhsa_group_segment_fixed_size 0
		.amdhsa_private_segment_fixed_size 0
		.amdhsa_kernarg_size 64
		.amdhsa_user_sgpr_count 6
		.amdhsa_user_sgpr_private_segment_buffer 1
		.amdhsa_user_sgpr_dispatch_ptr 0
		.amdhsa_user_sgpr_queue_ptr 0
		.amdhsa_user_sgpr_kernarg_segment_ptr 1
		.amdhsa_user_sgpr_dispatch_id 0
		.amdhsa_user_sgpr_flat_scratch_init 0
		.amdhsa_user_sgpr_private_segment_size 0
		.amdhsa_wavefront_size32 1
		.amdhsa_uses_dynamic_stack 0
		.amdhsa_system_sgpr_private_segment_wavefront_offset 0
		.amdhsa_system_sgpr_workgroup_id_x 1
		.amdhsa_system_sgpr_workgroup_id_y 0
		.amdhsa_system_sgpr_workgroup_id_z 0
		.amdhsa_system_sgpr_workgroup_info 0
		.amdhsa_system_vgpr_workitem_id 0
		.amdhsa_next_free_vgpr 1
		.amdhsa_next_free_sgpr 1
		.amdhsa_reserve_vcc 0
		.amdhsa_reserve_flat_scratch 0
		.amdhsa_float_round_mode_32 0
		.amdhsa_float_round_mode_16_64 0
		.amdhsa_float_denorm_mode_32 3
		.amdhsa_float_denorm_mode_16_64 3
		.amdhsa_dx10_clamp 1
		.amdhsa_ieee_mode 1
		.amdhsa_fp16_overflow 0
		.amdhsa_workgroup_processor_mode 1
		.amdhsa_memory_ordered 1
		.amdhsa_forward_progress 1
		.amdhsa_shared_vgpr_count 0
		.amdhsa_exception_fp_ieee_invalid_op 0
		.amdhsa_exception_fp_denorm_src 0
		.amdhsa_exception_fp_ieee_div_zero 0
		.amdhsa_exception_fp_ieee_overflow 0
		.amdhsa_exception_fp_ieee_underflow 0
		.amdhsa_exception_fp_ieee_inexact 0
		.amdhsa_exception_int_div_zero 0
	.end_amdhsa_kernel
	.section	.text._ZN7rocprim17ROCPRIM_400000_NS6detail17trampoline_kernelINS0_14default_configENS1_21merge_config_selectorINS0_5tupleIJssEEENS0_10empty_typeEEEZNS1_10merge_implIS3_NS0_12zip_iteratorINS5_IJN6thrust23THRUST_200600_302600_NS6detail15normal_iteratorINSC_10device_ptrIKsEEEESI_EEEEESK_NSA_INS5_IJNSC_16discard_iteratorINSC_11use_defaultEEESN_EEEEEPS7_SQ_SQ_NSC_11hip_rocprim7__merge17predicate_wrapperIssNSC_4lessIsEEEEEE10hipError_tPvRmT0_T1_T2_T3_T4_T5_mmT6_P12ihipStream_tbEUlT_E_NS1_11comp_targetILNS1_3genE5ELNS1_11target_archE942ELNS1_3gpuE9ELNS1_3repE0EEENS1_30default_config_static_selectorELNS0_4arch9wavefront6targetE0EEEvS11_,"axG",@progbits,_ZN7rocprim17ROCPRIM_400000_NS6detail17trampoline_kernelINS0_14default_configENS1_21merge_config_selectorINS0_5tupleIJssEEENS0_10empty_typeEEEZNS1_10merge_implIS3_NS0_12zip_iteratorINS5_IJN6thrust23THRUST_200600_302600_NS6detail15normal_iteratorINSC_10device_ptrIKsEEEESI_EEEEESK_NSA_INS5_IJNSC_16discard_iteratorINSC_11use_defaultEEESN_EEEEEPS7_SQ_SQ_NSC_11hip_rocprim7__merge17predicate_wrapperIssNSC_4lessIsEEEEEE10hipError_tPvRmT0_T1_T2_T3_T4_T5_mmT6_P12ihipStream_tbEUlT_E_NS1_11comp_targetILNS1_3genE5ELNS1_11target_archE942ELNS1_3gpuE9ELNS1_3repE0EEENS1_30default_config_static_selectorELNS0_4arch9wavefront6targetE0EEEvS11_,comdat
.Lfunc_end606:
	.size	_ZN7rocprim17ROCPRIM_400000_NS6detail17trampoline_kernelINS0_14default_configENS1_21merge_config_selectorINS0_5tupleIJssEEENS0_10empty_typeEEEZNS1_10merge_implIS3_NS0_12zip_iteratorINS5_IJN6thrust23THRUST_200600_302600_NS6detail15normal_iteratorINSC_10device_ptrIKsEEEESI_EEEEESK_NSA_INS5_IJNSC_16discard_iteratorINSC_11use_defaultEEESN_EEEEEPS7_SQ_SQ_NSC_11hip_rocprim7__merge17predicate_wrapperIssNSC_4lessIsEEEEEE10hipError_tPvRmT0_T1_T2_T3_T4_T5_mmT6_P12ihipStream_tbEUlT_E_NS1_11comp_targetILNS1_3genE5ELNS1_11target_archE942ELNS1_3gpuE9ELNS1_3repE0EEENS1_30default_config_static_selectorELNS0_4arch9wavefront6targetE0EEEvS11_, .Lfunc_end606-_ZN7rocprim17ROCPRIM_400000_NS6detail17trampoline_kernelINS0_14default_configENS1_21merge_config_selectorINS0_5tupleIJssEEENS0_10empty_typeEEEZNS1_10merge_implIS3_NS0_12zip_iteratorINS5_IJN6thrust23THRUST_200600_302600_NS6detail15normal_iteratorINSC_10device_ptrIKsEEEESI_EEEEESK_NSA_INS5_IJNSC_16discard_iteratorINSC_11use_defaultEEESN_EEEEEPS7_SQ_SQ_NSC_11hip_rocprim7__merge17predicate_wrapperIssNSC_4lessIsEEEEEE10hipError_tPvRmT0_T1_T2_T3_T4_T5_mmT6_P12ihipStream_tbEUlT_E_NS1_11comp_targetILNS1_3genE5ELNS1_11target_archE942ELNS1_3gpuE9ELNS1_3repE0EEENS1_30default_config_static_selectorELNS0_4arch9wavefront6targetE0EEEvS11_
                                        ; -- End function
	.set _ZN7rocprim17ROCPRIM_400000_NS6detail17trampoline_kernelINS0_14default_configENS1_21merge_config_selectorINS0_5tupleIJssEEENS0_10empty_typeEEEZNS1_10merge_implIS3_NS0_12zip_iteratorINS5_IJN6thrust23THRUST_200600_302600_NS6detail15normal_iteratorINSC_10device_ptrIKsEEEESI_EEEEESK_NSA_INS5_IJNSC_16discard_iteratorINSC_11use_defaultEEESN_EEEEEPS7_SQ_SQ_NSC_11hip_rocprim7__merge17predicate_wrapperIssNSC_4lessIsEEEEEE10hipError_tPvRmT0_T1_T2_T3_T4_T5_mmT6_P12ihipStream_tbEUlT_E_NS1_11comp_targetILNS1_3genE5ELNS1_11target_archE942ELNS1_3gpuE9ELNS1_3repE0EEENS1_30default_config_static_selectorELNS0_4arch9wavefront6targetE0EEEvS11_.num_vgpr, 0
	.set _ZN7rocprim17ROCPRIM_400000_NS6detail17trampoline_kernelINS0_14default_configENS1_21merge_config_selectorINS0_5tupleIJssEEENS0_10empty_typeEEEZNS1_10merge_implIS3_NS0_12zip_iteratorINS5_IJN6thrust23THRUST_200600_302600_NS6detail15normal_iteratorINSC_10device_ptrIKsEEEESI_EEEEESK_NSA_INS5_IJNSC_16discard_iteratorINSC_11use_defaultEEESN_EEEEEPS7_SQ_SQ_NSC_11hip_rocprim7__merge17predicate_wrapperIssNSC_4lessIsEEEEEE10hipError_tPvRmT0_T1_T2_T3_T4_T5_mmT6_P12ihipStream_tbEUlT_E_NS1_11comp_targetILNS1_3genE5ELNS1_11target_archE942ELNS1_3gpuE9ELNS1_3repE0EEENS1_30default_config_static_selectorELNS0_4arch9wavefront6targetE0EEEvS11_.num_agpr, 0
	.set _ZN7rocprim17ROCPRIM_400000_NS6detail17trampoline_kernelINS0_14default_configENS1_21merge_config_selectorINS0_5tupleIJssEEENS0_10empty_typeEEEZNS1_10merge_implIS3_NS0_12zip_iteratorINS5_IJN6thrust23THRUST_200600_302600_NS6detail15normal_iteratorINSC_10device_ptrIKsEEEESI_EEEEESK_NSA_INS5_IJNSC_16discard_iteratorINSC_11use_defaultEEESN_EEEEEPS7_SQ_SQ_NSC_11hip_rocprim7__merge17predicate_wrapperIssNSC_4lessIsEEEEEE10hipError_tPvRmT0_T1_T2_T3_T4_T5_mmT6_P12ihipStream_tbEUlT_E_NS1_11comp_targetILNS1_3genE5ELNS1_11target_archE942ELNS1_3gpuE9ELNS1_3repE0EEENS1_30default_config_static_selectorELNS0_4arch9wavefront6targetE0EEEvS11_.numbered_sgpr, 0
	.set _ZN7rocprim17ROCPRIM_400000_NS6detail17trampoline_kernelINS0_14default_configENS1_21merge_config_selectorINS0_5tupleIJssEEENS0_10empty_typeEEEZNS1_10merge_implIS3_NS0_12zip_iteratorINS5_IJN6thrust23THRUST_200600_302600_NS6detail15normal_iteratorINSC_10device_ptrIKsEEEESI_EEEEESK_NSA_INS5_IJNSC_16discard_iteratorINSC_11use_defaultEEESN_EEEEEPS7_SQ_SQ_NSC_11hip_rocprim7__merge17predicate_wrapperIssNSC_4lessIsEEEEEE10hipError_tPvRmT0_T1_T2_T3_T4_T5_mmT6_P12ihipStream_tbEUlT_E_NS1_11comp_targetILNS1_3genE5ELNS1_11target_archE942ELNS1_3gpuE9ELNS1_3repE0EEENS1_30default_config_static_selectorELNS0_4arch9wavefront6targetE0EEEvS11_.num_named_barrier, 0
	.set _ZN7rocprim17ROCPRIM_400000_NS6detail17trampoline_kernelINS0_14default_configENS1_21merge_config_selectorINS0_5tupleIJssEEENS0_10empty_typeEEEZNS1_10merge_implIS3_NS0_12zip_iteratorINS5_IJN6thrust23THRUST_200600_302600_NS6detail15normal_iteratorINSC_10device_ptrIKsEEEESI_EEEEESK_NSA_INS5_IJNSC_16discard_iteratorINSC_11use_defaultEEESN_EEEEEPS7_SQ_SQ_NSC_11hip_rocprim7__merge17predicate_wrapperIssNSC_4lessIsEEEEEE10hipError_tPvRmT0_T1_T2_T3_T4_T5_mmT6_P12ihipStream_tbEUlT_E_NS1_11comp_targetILNS1_3genE5ELNS1_11target_archE942ELNS1_3gpuE9ELNS1_3repE0EEENS1_30default_config_static_selectorELNS0_4arch9wavefront6targetE0EEEvS11_.private_seg_size, 0
	.set _ZN7rocprim17ROCPRIM_400000_NS6detail17trampoline_kernelINS0_14default_configENS1_21merge_config_selectorINS0_5tupleIJssEEENS0_10empty_typeEEEZNS1_10merge_implIS3_NS0_12zip_iteratorINS5_IJN6thrust23THRUST_200600_302600_NS6detail15normal_iteratorINSC_10device_ptrIKsEEEESI_EEEEESK_NSA_INS5_IJNSC_16discard_iteratorINSC_11use_defaultEEESN_EEEEEPS7_SQ_SQ_NSC_11hip_rocprim7__merge17predicate_wrapperIssNSC_4lessIsEEEEEE10hipError_tPvRmT0_T1_T2_T3_T4_T5_mmT6_P12ihipStream_tbEUlT_E_NS1_11comp_targetILNS1_3genE5ELNS1_11target_archE942ELNS1_3gpuE9ELNS1_3repE0EEENS1_30default_config_static_selectorELNS0_4arch9wavefront6targetE0EEEvS11_.uses_vcc, 0
	.set _ZN7rocprim17ROCPRIM_400000_NS6detail17trampoline_kernelINS0_14default_configENS1_21merge_config_selectorINS0_5tupleIJssEEENS0_10empty_typeEEEZNS1_10merge_implIS3_NS0_12zip_iteratorINS5_IJN6thrust23THRUST_200600_302600_NS6detail15normal_iteratorINSC_10device_ptrIKsEEEESI_EEEEESK_NSA_INS5_IJNSC_16discard_iteratorINSC_11use_defaultEEESN_EEEEEPS7_SQ_SQ_NSC_11hip_rocprim7__merge17predicate_wrapperIssNSC_4lessIsEEEEEE10hipError_tPvRmT0_T1_T2_T3_T4_T5_mmT6_P12ihipStream_tbEUlT_E_NS1_11comp_targetILNS1_3genE5ELNS1_11target_archE942ELNS1_3gpuE9ELNS1_3repE0EEENS1_30default_config_static_selectorELNS0_4arch9wavefront6targetE0EEEvS11_.uses_flat_scratch, 0
	.set _ZN7rocprim17ROCPRIM_400000_NS6detail17trampoline_kernelINS0_14default_configENS1_21merge_config_selectorINS0_5tupleIJssEEENS0_10empty_typeEEEZNS1_10merge_implIS3_NS0_12zip_iteratorINS5_IJN6thrust23THRUST_200600_302600_NS6detail15normal_iteratorINSC_10device_ptrIKsEEEESI_EEEEESK_NSA_INS5_IJNSC_16discard_iteratorINSC_11use_defaultEEESN_EEEEEPS7_SQ_SQ_NSC_11hip_rocprim7__merge17predicate_wrapperIssNSC_4lessIsEEEEEE10hipError_tPvRmT0_T1_T2_T3_T4_T5_mmT6_P12ihipStream_tbEUlT_E_NS1_11comp_targetILNS1_3genE5ELNS1_11target_archE942ELNS1_3gpuE9ELNS1_3repE0EEENS1_30default_config_static_selectorELNS0_4arch9wavefront6targetE0EEEvS11_.has_dyn_sized_stack, 0
	.set _ZN7rocprim17ROCPRIM_400000_NS6detail17trampoline_kernelINS0_14default_configENS1_21merge_config_selectorINS0_5tupleIJssEEENS0_10empty_typeEEEZNS1_10merge_implIS3_NS0_12zip_iteratorINS5_IJN6thrust23THRUST_200600_302600_NS6detail15normal_iteratorINSC_10device_ptrIKsEEEESI_EEEEESK_NSA_INS5_IJNSC_16discard_iteratorINSC_11use_defaultEEESN_EEEEEPS7_SQ_SQ_NSC_11hip_rocprim7__merge17predicate_wrapperIssNSC_4lessIsEEEEEE10hipError_tPvRmT0_T1_T2_T3_T4_T5_mmT6_P12ihipStream_tbEUlT_E_NS1_11comp_targetILNS1_3genE5ELNS1_11target_archE942ELNS1_3gpuE9ELNS1_3repE0EEENS1_30default_config_static_selectorELNS0_4arch9wavefront6targetE0EEEvS11_.has_recursion, 0
	.set _ZN7rocprim17ROCPRIM_400000_NS6detail17trampoline_kernelINS0_14default_configENS1_21merge_config_selectorINS0_5tupleIJssEEENS0_10empty_typeEEEZNS1_10merge_implIS3_NS0_12zip_iteratorINS5_IJN6thrust23THRUST_200600_302600_NS6detail15normal_iteratorINSC_10device_ptrIKsEEEESI_EEEEESK_NSA_INS5_IJNSC_16discard_iteratorINSC_11use_defaultEEESN_EEEEEPS7_SQ_SQ_NSC_11hip_rocprim7__merge17predicate_wrapperIssNSC_4lessIsEEEEEE10hipError_tPvRmT0_T1_T2_T3_T4_T5_mmT6_P12ihipStream_tbEUlT_E_NS1_11comp_targetILNS1_3genE5ELNS1_11target_archE942ELNS1_3gpuE9ELNS1_3repE0EEENS1_30default_config_static_selectorELNS0_4arch9wavefront6targetE0EEEvS11_.has_indirect_call, 0
	.section	.AMDGPU.csdata,"",@progbits
; Kernel info:
; codeLenInByte = 0
; TotalNumSgprs: 0
; NumVgprs: 0
; ScratchSize: 0
; MemoryBound: 0
; FloatMode: 240
; IeeeMode: 1
; LDSByteSize: 0 bytes/workgroup (compile time only)
; SGPRBlocks: 0
; VGPRBlocks: 0
; NumSGPRsForWavesPerEU: 1
; NumVGPRsForWavesPerEU: 1
; Occupancy: 16
; WaveLimiterHint : 0
; COMPUTE_PGM_RSRC2:SCRATCH_EN: 0
; COMPUTE_PGM_RSRC2:USER_SGPR: 6
; COMPUTE_PGM_RSRC2:TRAP_HANDLER: 0
; COMPUTE_PGM_RSRC2:TGID_X_EN: 1
; COMPUTE_PGM_RSRC2:TGID_Y_EN: 0
; COMPUTE_PGM_RSRC2:TGID_Z_EN: 0
; COMPUTE_PGM_RSRC2:TIDIG_COMP_CNT: 0
	.section	.text._ZN7rocprim17ROCPRIM_400000_NS6detail17trampoline_kernelINS0_14default_configENS1_21merge_config_selectorINS0_5tupleIJssEEENS0_10empty_typeEEEZNS1_10merge_implIS3_NS0_12zip_iteratorINS5_IJN6thrust23THRUST_200600_302600_NS6detail15normal_iteratorINSC_10device_ptrIKsEEEESI_EEEEESK_NSA_INS5_IJNSC_16discard_iteratorINSC_11use_defaultEEESN_EEEEEPS7_SQ_SQ_NSC_11hip_rocprim7__merge17predicate_wrapperIssNSC_4lessIsEEEEEE10hipError_tPvRmT0_T1_T2_T3_T4_T5_mmT6_P12ihipStream_tbEUlT_E_NS1_11comp_targetILNS1_3genE4ELNS1_11target_archE910ELNS1_3gpuE8ELNS1_3repE0EEENS1_30default_config_static_selectorELNS0_4arch9wavefront6targetE0EEEvS11_,"axG",@progbits,_ZN7rocprim17ROCPRIM_400000_NS6detail17trampoline_kernelINS0_14default_configENS1_21merge_config_selectorINS0_5tupleIJssEEENS0_10empty_typeEEEZNS1_10merge_implIS3_NS0_12zip_iteratorINS5_IJN6thrust23THRUST_200600_302600_NS6detail15normal_iteratorINSC_10device_ptrIKsEEEESI_EEEEESK_NSA_INS5_IJNSC_16discard_iteratorINSC_11use_defaultEEESN_EEEEEPS7_SQ_SQ_NSC_11hip_rocprim7__merge17predicate_wrapperIssNSC_4lessIsEEEEEE10hipError_tPvRmT0_T1_T2_T3_T4_T5_mmT6_P12ihipStream_tbEUlT_E_NS1_11comp_targetILNS1_3genE4ELNS1_11target_archE910ELNS1_3gpuE8ELNS1_3repE0EEENS1_30default_config_static_selectorELNS0_4arch9wavefront6targetE0EEEvS11_,comdat
	.protected	_ZN7rocprim17ROCPRIM_400000_NS6detail17trampoline_kernelINS0_14default_configENS1_21merge_config_selectorINS0_5tupleIJssEEENS0_10empty_typeEEEZNS1_10merge_implIS3_NS0_12zip_iteratorINS5_IJN6thrust23THRUST_200600_302600_NS6detail15normal_iteratorINSC_10device_ptrIKsEEEESI_EEEEESK_NSA_INS5_IJNSC_16discard_iteratorINSC_11use_defaultEEESN_EEEEEPS7_SQ_SQ_NSC_11hip_rocprim7__merge17predicate_wrapperIssNSC_4lessIsEEEEEE10hipError_tPvRmT0_T1_T2_T3_T4_T5_mmT6_P12ihipStream_tbEUlT_E_NS1_11comp_targetILNS1_3genE4ELNS1_11target_archE910ELNS1_3gpuE8ELNS1_3repE0EEENS1_30default_config_static_selectorELNS0_4arch9wavefront6targetE0EEEvS11_ ; -- Begin function _ZN7rocprim17ROCPRIM_400000_NS6detail17trampoline_kernelINS0_14default_configENS1_21merge_config_selectorINS0_5tupleIJssEEENS0_10empty_typeEEEZNS1_10merge_implIS3_NS0_12zip_iteratorINS5_IJN6thrust23THRUST_200600_302600_NS6detail15normal_iteratorINSC_10device_ptrIKsEEEESI_EEEEESK_NSA_INS5_IJNSC_16discard_iteratorINSC_11use_defaultEEESN_EEEEEPS7_SQ_SQ_NSC_11hip_rocprim7__merge17predicate_wrapperIssNSC_4lessIsEEEEEE10hipError_tPvRmT0_T1_T2_T3_T4_T5_mmT6_P12ihipStream_tbEUlT_E_NS1_11comp_targetILNS1_3genE4ELNS1_11target_archE910ELNS1_3gpuE8ELNS1_3repE0EEENS1_30default_config_static_selectorELNS0_4arch9wavefront6targetE0EEEvS11_
	.globl	_ZN7rocprim17ROCPRIM_400000_NS6detail17trampoline_kernelINS0_14default_configENS1_21merge_config_selectorINS0_5tupleIJssEEENS0_10empty_typeEEEZNS1_10merge_implIS3_NS0_12zip_iteratorINS5_IJN6thrust23THRUST_200600_302600_NS6detail15normal_iteratorINSC_10device_ptrIKsEEEESI_EEEEESK_NSA_INS5_IJNSC_16discard_iteratorINSC_11use_defaultEEESN_EEEEEPS7_SQ_SQ_NSC_11hip_rocprim7__merge17predicate_wrapperIssNSC_4lessIsEEEEEE10hipError_tPvRmT0_T1_T2_T3_T4_T5_mmT6_P12ihipStream_tbEUlT_E_NS1_11comp_targetILNS1_3genE4ELNS1_11target_archE910ELNS1_3gpuE8ELNS1_3repE0EEENS1_30default_config_static_selectorELNS0_4arch9wavefront6targetE0EEEvS11_
	.p2align	8
	.type	_ZN7rocprim17ROCPRIM_400000_NS6detail17trampoline_kernelINS0_14default_configENS1_21merge_config_selectorINS0_5tupleIJssEEENS0_10empty_typeEEEZNS1_10merge_implIS3_NS0_12zip_iteratorINS5_IJN6thrust23THRUST_200600_302600_NS6detail15normal_iteratorINSC_10device_ptrIKsEEEESI_EEEEESK_NSA_INS5_IJNSC_16discard_iteratorINSC_11use_defaultEEESN_EEEEEPS7_SQ_SQ_NSC_11hip_rocprim7__merge17predicate_wrapperIssNSC_4lessIsEEEEEE10hipError_tPvRmT0_T1_T2_T3_T4_T5_mmT6_P12ihipStream_tbEUlT_E_NS1_11comp_targetILNS1_3genE4ELNS1_11target_archE910ELNS1_3gpuE8ELNS1_3repE0EEENS1_30default_config_static_selectorELNS0_4arch9wavefront6targetE0EEEvS11_,@function
_ZN7rocprim17ROCPRIM_400000_NS6detail17trampoline_kernelINS0_14default_configENS1_21merge_config_selectorINS0_5tupleIJssEEENS0_10empty_typeEEEZNS1_10merge_implIS3_NS0_12zip_iteratorINS5_IJN6thrust23THRUST_200600_302600_NS6detail15normal_iteratorINSC_10device_ptrIKsEEEESI_EEEEESK_NSA_INS5_IJNSC_16discard_iteratorINSC_11use_defaultEEESN_EEEEEPS7_SQ_SQ_NSC_11hip_rocprim7__merge17predicate_wrapperIssNSC_4lessIsEEEEEE10hipError_tPvRmT0_T1_T2_T3_T4_T5_mmT6_P12ihipStream_tbEUlT_E_NS1_11comp_targetILNS1_3genE4ELNS1_11target_archE910ELNS1_3gpuE8ELNS1_3repE0EEENS1_30default_config_static_selectorELNS0_4arch9wavefront6targetE0EEEvS11_: ; @_ZN7rocprim17ROCPRIM_400000_NS6detail17trampoline_kernelINS0_14default_configENS1_21merge_config_selectorINS0_5tupleIJssEEENS0_10empty_typeEEEZNS1_10merge_implIS3_NS0_12zip_iteratorINS5_IJN6thrust23THRUST_200600_302600_NS6detail15normal_iteratorINSC_10device_ptrIKsEEEESI_EEEEESK_NSA_INS5_IJNSC_16discard_iteratorINSC_11use_defaultEEESN_EEEEEPS7_SQ_SQ_NSC_11hip_rocprim7__merge17predicate_wrapperIssNSC_4lessIsEEEEEE10hipError_tPvRmT0_T1_T2_T3_T4_T5_mmT6_P12ihipStream_tbEUlT_E_NS1_11comp_targetILNS1_3genE4ELNS1_11target_archE910ELNS1_3gpuE8ELNS1_3repE0EEENS1_30default_config_static_selectorELNS0_4arch9wavefront6targetE0EEEvS11_
; %bb.0:
	.section	.rodata,"a",@progbits
	.p2align	6, 0x0
	.amdhsa_kernel _ZN7rocprim17ROCPRIM_400000_NS6detail17trampoline_kernelINS0_14default_configENS1_21merge_config_selectorINS0_5tupleIJssEEENS0_10empty_typeEEEZNS1_10merge_implIS3_NS0_12zip_iteratorINS5_IJN6thrust23THRUST_200600_302600_NS6detail15normal_iteratorINSC_10device_ptrIKsEEEESI_EEEEESK_NSA_INS5_IJNSC_16discard_iteratorINSC_11use_defaultEEESN_EEEEEPS7_SQ_SQ_NSC_11hip_rocprim7__merge17predicate_wrapperIssNSC_4lessIsEEEEEE10hipError_tPvRmT0_T1_T2_T3_T4_T5_mmT6_P12ihipStream_tbEUlT_E_NS1_11comp_targetILNS1_3genE4ELNS1_11target_archE910ELNS1_3gpuE8ELNS1_3repE0EEENS1_30default_config_static_selectorELNS0_4arch9wavefront6targetE0EEEvS11_
		.amdhsa_group_segment_fixed_size 0
		.amdhsa_private_segment_fixed_size 0
		.amdhsa_kernarg_size 64
		.amdhsa_user_sgpr_count 6
		.amdhsa_user_sgpr_private_segment_buffer 1
		.amdhsa_user_sgpr_dispatch_ptr 0
		.amdhsa_user_sgpr_queue_ptr 0
		.amdhsa_user_sgpr_kernarg_segment_ptr 1
		.amdhsa_user_sgpr_dispatch_id 0
		.amdhsa_user_sgpr_flat_scratch_init 0
		.amdhsa_user_sgpr_private_segment_size 0
		.amdhsa_wavefront_size32 1
		.amdhsa_uses_dynamic_stack 0
		.amdhsa_system_sgpr_private_segment_wavefront_offset 0
		.amdhsa_system_sgpr_workgroup_id_x 1
		.amdhsa_system_sgpr_workgroup_id_y 0
		.amdhsa_system_sgpr_workgroup_id_z 0
		.amdhsa_system_sgpr_workgroup_info 0
		.amdhsa_system_vgpr_workitem_id 0
		.amdhsa_next_free_vgpr 1
		.amdhsa_next_free_sgpr 1
		.amdhsa_reserve_vcc 0
		.amdhsa_reserve_flat_scratch 0
		.amdhsa_float_round_mode_32 0
		.amdhsa_float_round_mode_16_64 0
		.amdhsa_float_denorm_mode_32 3
		.amdhsa_float_denorm_mode_16_64 3
		.amdhsa_dx10_clamp 1
		.amdhsa_ieee_mode 1
		.amdhsa_fp16_overflow 0
		.amdhsa_workgroup_processor_mode 1
		.amdhsa_memory_ordered 1
		.amdhsa_forward_progress 1
		.amdhsa_shared_vgpr_count 0
		.amdhsa_exception_fp_ieee_invalid_op 0
		.amdhsa_exception_fp_denorm_src 0
		.amdhsa_exception_fp_ieee_div_zero 0
		.amdhsa_exception_fp_ieee_overflow 0
		.amdhsa_exception_fp_ieee_underflow 0
		.amdhsa_exception_fp_ieee_inexact 0
		.amdhsa_exception_int_div_zero 0
	.end_amdhsa_kernel
	.section	.text._ZN7rocprim17ROCPRIM_400000_NS6detail17trampoline_kernelINS0_14default_configENS1_21merge_config_selectorINS0_5tupleIJssEEENS0_10empty_typeEEEZNS1_10merge_implIS3_NS0_12zip_iteratorINS5_IJN6thrust23THRUST_200600_302600_NS6detail15normal_iteratorINSC_10device_ptrIKsEEEESI_EEEEESK_NSA_INS5_IJNSC_16discard_iteratorINSC_11use_defaultEEESN_EEEEEPS7_SQ_SQ_NSC_11hip_rocprim7__merge17predicate_wrapperIssNSC_4lessIsEEEEEE10hipError_tPvRmT0_T1_T2_T3_T4_T5_mmT6_P12ihipStream_tbEUlT_E_NS1_11comp_targetILNS1_3genE4ELNS1_11target_archE910ELNS1_3gpuE8ELNS1_3repE0EEENS1_30default_config_static_selectorELNS0_4arch9wavefront6targetE0EEEvS11_,"axG",@progbits,_ZN7rocprim17ROCPRIM_400000_NS6detail17trampoline_kernelINS0_14default_configENS1_21merge_config_selectorINS0_5tupleIJssEEENS0_10empty_typeEEEZNS1_10merge_implIS3_NS0_12zip_iteratorINS5_IJN6thrust23THRUST_200600_302600_NS6detail15normal_iteratorINSC_10device_ptrIKsEEEESI_EEEEESK_NSA_INS5_IJNSC_16discard_iteratorINSC_11use_defaultEEESN_EEEEEPS7_SQ_SQ_NSC_11hip_rocprim7__merge17predicate_wrapperIssNSC_4lessIsEEEEEE10hipError_tPvRmT0_T1_T2_T3_T4_T5_mmT6_P12ihipStream_tbEUlT_E_NS1_11comp_targetILNS1_3genE4ELNS1_11target_archE910ELNS1_3gpuE8ELNS1_3repE0EEENS1_30default_config_static_selectorELNS0_4arch9wavefront6targetE0EEEvS11_,comdat
.Lfunc_end607:
	.size	_ZN7rocprim17ROCPRIM_400000_NS6detail17trampoline_kernelINS0_14default_configENS1_21merge_config_selectorINS0_5tupleIJssEEENS0_10empty_typeEEEZNS1_10merge_implIS3_NS0_12zip_iteratorINS5_IJN6thrust23THRUST_200600_302600_NS6detail15normal_iteratorINSC_10device_ptrIKsEEEESI_EEEEESK_NSA_INS5_IJNSC_16discard_iteratorINSC_11use_defaultEEESN_EEEEEPS7_SQ_SQ_NSC_11hip_rocprim7__merge17predicate_wrapperIssNSC_4lessIsEEEEEE10hipError_tPvRmT0_T1_T2_T3_T4_T5_mmT6_P12ihipStream_tbEUlT_E_NS1_11comp_targetILNS1_3genE4ELNS1_11target_archE910ELNS1_3gpuE8ELNS1_3repE0EEENS1_30default_config_static_selectorELNS0_4arch9wavefront6targetE0EEEvS11_, .Lfunc_end607-_ZN7rocprim17ROCPRIM_400000_NS6detail17trampoline_kernelINS0_14default_configENS1_21merge_config_selectorINS0_5tupleIJssEEENS0_10empty_typeEEEZNS1_10merge_implIS3_NS0_12zip_iteratorINS5_IJN6thrust23THRUST_200600_302600_NS6detail15normal_iteratorINSC_10device_ptrIKsEEEESI_EEEEESK_NSA_INS5_IJNSC_16discard_iteratorINSC_11use_defaultEEESN_EEEEEPS7_SQ_SQ_NSC_11hip_rocprim7__merge17predicate_wrapperIssNSC_4lessIsEEEEEE10hipError_tPvRmT0_T1_T2_T3_T4_T5_mmT6_P12ihipStream_tbEUlT_E_NS1_11comp_targetILNS1_3genE4ELNS1_11target_archE910ELNS1_3gpuE8ELNS1_3repE0EEENS1_30default_config_static_selectorELNS0_4arch9wavefront6targetE0EEEvS11_
                                        ; -- End function
	.set _ZN7rocprim17ROCPRIM_400000_NS6detail17trampoline_kernelINS0_14default_configENS1_21merge_config_selectorINS0_5tupleIJssEEENS0_10empty_typeEEEZNS1_10merge_implIS3_NS0_12zip_iteratorINS5_IJN6thrust23THRUST_200600_302600_NS6detail15normal_iteratorINSC_10device_ptrIKsEEEESI_EEEEESK_NSA_INS5_IJNSC_16discard_iteratorINSC_11use_defaultEEESN_EEEEEPS7_SQ_SQ_NSC_11hip_rocprim7__merge17predicate_wrapperIssNSC_4lessIsEEEEEE10hipError_tPvRmT0_T1_T2_T3_T4_T5_mmT6_P12ihipStream_tbEUlT_E_NS1_11comp_targetILNS1_3genE4ELNS1_11target_archE910ELNS1_3gpuE8ELNS1_3repE0EEENS1_30default_config_static_selectorELNS0_4arch9wavefront6targetE0EEEvS11_.num_vgpr, 0
	.set _ZN7rocprim17ROCPRIM_400000_NS6detail17trampoline_kernelINS0_14default_configENS1_21merge_config_selectorINS0_5tupleIJssEEENS0_10empty_typeEEEZNS1_10merge_implIS3_NS0_12zip_iteratorINS5_IJN6thrust23THRUST_200600_302600_NS6detail15normal_iteratorINSC_10device_ptrIKsEEEESI_EEEEESK_NSA_INS5_IJNSC_16discard_iteratorINSC_11use_defaultEEESN_EEEEEPS7_SQ_SQ_NSC_11hip_rocprim7__merge17predicate_wrapperIssNSC_4lessIsEEEEEE10hipError_tPvRmT0_T1_T2_T3_T4_T5_mmT6_P12ihipStream_tbEUlT_E_NS1_11comp_targetILNS1_3genE4ELNS1_11target_archE910ELNS1_3gpuE8ELNS1_3repE0EEENS1_30default_config_static_selectorELNS0_4arch9wavefront6targetE0EEEvS11_.num_agpr, 0
	.set _ZN7rocprim17ROCPRIM_400000_NS6detail17trampoline_kernelINS0_14default_configENS1_21merge_config_selectorINS0_5tupleIJssEEENS0_10empty_typeEEEZNS1_10merge_implIS3_NS0_12zip_iteratorINS5_IJN6thrust23THRUST_200600_302600_NS6detail15normal_iteratorINSC_10device_ptrIKsEEEESI_EEEEESK_NSA_INS5_IJNSC_16discard_iteratorINSC_11use_defaultEEESN_EEEEEPS7_SQ_SQ_NSC_11hip_rocprim7__merge17predicate_wrapperIssNSC_4lessIsEEEEEE10hipError_tPvRmT0_T1_T2_T3_T4_T5_mmT6_P12ihipStream_tbEUlT_E_NS1_11comp_targetILNS1_3genE4ELNS1_11target_archE910ELNS1_3gpuE8ELNS1_3repE0EEENS1_30default_config_static_selectorELNS0_4arch9wavefront6targetE0EEEvS11_.numbered_sgpr, 0
	.set _ZN7rocprim17ROCPRIM_400000_NS6detail17trampoline_kernelINS0_14default_configENS1_21merge_config_selectorINS0_5tupleIJssEEENS0_10empty_typeEEEZNS1_10merge_implIS3_NS0_12zip_iteratorINS5_IJN6thrust23THRUST_200600_302600_NS6detail15normal_iteratorINSC_10device_ptrIKsEEEESI_EEEEESK_NSA_INS5_IJNSC_16discard_iteratorINSC_11use_defaultEEESN_EEEEEPS7_SQ_SQ_NSC_11hip_rocprim7__merge17predicate_wrapperIssNSC_4lessIsEEEEEE10hipError_tPvRmT0_T1_T2_T3_T4_T5_mmT6_P12ihipStream_tbEUlT_E_NS1_11comp_targetILNS1_3genE4ELNS1_11target_archE910ELNS1_3gpuE8ELNS1_3repE0EEENS1_30default_config_static_selectorELNS0_4arch9wavefront6targetE0EEEvS11_.num_named_barrier, 0
	.set _ZN7rocprim17ROCPRIM_400000_NS6detail17trampoline_kernelINS0_14default_configENS1_21merge_config_selectorINS0_5tupleIJssEEENS0_10empty_typeEEEZNS1_10merge_implIS3_NS0_12zip_iteratorINS5_IJN6thrust23THRUST_200600_302600_NS6detail15normal_iteratorINSC_10device_ptrIKsEEEESI_EEEEESK_NSA_INS5_IJNSC_16discard_iteratorINSC_11use_defaultEEESN_EEEEEPS7_SQ_SQ_NSC_11hip_rocprim7__merge17predicate_wrapperIssNSC_4lessIsEEEEEE10hipError_tPvRmT0_T1_T2_T3_T4_T5_mmT6_P12ihipStream_tbEUlT_E_NS1_11comp_targetILNS1_3genE4ELNS1_11target_archE910ELNS1_3gpuE8ELNS1_3repE0EEENS1_30default_config_static_selectorELNS0_4arch9wavefront6targetE0EEEvS11_.private_seg_size, 0
	.set _ZN7rocprim17ROCPRIM_400000_NS6detail17trampoline_kernelINS0_14default_configENS1_21merge_config_selectorINS0_5tupleIJssEEENS0_10empty_typeEEEZNS1_10merge_implIS3_NS0_12zip_iteratorINS5_IJN6thrust23THRUST_200600_302600_NS6detail15normal_iteratorINSC_10device_ptrIKsEEEESI_EEEEESK_NSA_INS5_IJNSC_16discard_iteratorINSC_11use_defaultEEESN_EEEEEPS7_SQ_SQ_NSC_11hip_rocprim7__merge17predicate_wrapperIssNSC_4lessIsEEEEEE10hipError_tPvRmT0_T1_T2_T3_T4_T5_mmT6_P12ihipStream_tbEUlT_E_NS1_11comp_targetILNS1_3genE4ELNS1_11target_archE910ELNS1_3gpuE8ELNS1_3repE0EEENS1_30default_config_static_selectorELNS0_4arch9wavefront6targetE0EEEvS11_.uses_vcc, 0
	.set _ZN7rocprim17ROCPRIM_400000_NS6detail17trampoline_kernelINS0_14default_configENS1_21merge_config_selectorINS0_5tupleIJssEEENS0_10empty_typeEEEZNS1_10merge_implIS3_NS0_12zip_iteratorINS5_IJN6thrust23THRUST_200600_302600_NS6detail15normal_iteratorINSC_10device_ptrIKsEEEESI_EEEEESK_NSA_INS5_IJNSC_16discard_iteratorINSC_11use_defaultEEESN_EEEEEPS7_SQ_SQ_NSC_11hip_rocprim7__merge17predicate_wrapperIssNSC_4lessIsEEEEEE10hipError_tPvRmT0_T1_T2_T3_T4_T5_mmT6_P12ihipStream_tbEUlT_E_NS1_11comp_targetILNS1_3genE4ELNS1_11target_archE910ELNS1_3gpuE8ELNS1_3repE0EEENS1_30default_config_static_selectorELNS0_4arch9wavefront6targetE0EEEvS11_.uses_flat_scratch, 0
	.set _ZN7rocprim17ROCPRIM_400000_NS6detail17trampoline_kernelINS0_14default_configENS1_21merge_config_selectorINS0_5tupleIJssEEENS0_10empty_typeEEEZNS1_10merge_implIS3_NS0_12zip_iteratorINS5_IJN6thrust23THRUST_200600_302600_NS6detail15normal_iteratorINSC_10device_ptrIKsEEEESI_EEEEESK_NSA_INS5_IJNSC_16discard_iteratorINSC_11use_defaultEEESN_EEEEEPS7_SQ_SQ_NSC_11hip_rocprim7__merge17predicate_wrapperIssNSC_4lessIsEEEEEE10hipError_tPvRmT0_T1_T2_T3_T4_T5_mmT6_P12ihipStream_tbEUlT_E_NS1_11comp_targetILNS1_3genE4ELNS1_11target_archE910ELNS1_3gpuE8ELNS1_3repE0EEENS1_30default_config_static_selectorELNS0_4arch9wavefront6targetE0EEEvS11_.has_dyn_sized_stack, 0
	.set _ZN7rocprim17ROCPRIM_400000_NS6detail17trampoline_kernelINS0_14default_configENS1_21merge_config_selectorINS0_5tupleIJssEEENS0_10empty_typeEEEZNS1_10merge_implIS3_NS0_12zip_iteratorINS5_IJN6thrust23THRUST_200600_302600_NS6detail15normal_iteratorINSC_10device_ptrIKsEEEESI_EEEEESK_NSA_INS5_IJNSC_16discard_iteratorINSC_11use_defaultEEESN_EEEEEPS7_SQ_SQ_NSC_11hip_rocprim7__merge17predicate_wrapperIssNSC_4lessIsEEEEEE10hipError_tPvRmT0_T1_T2_T3_T4_T5_mmT6_P12ihipStream_tbEUlT_E_NS1_11comp_targetILNS1_3genE4ELNS1_11target_archE910ELNS1_3gpuE8ELNS1_3repE0EEENS1_30default_config_static_selectorELNS0_4arch9wavefront6targetE0EEEvS11_.has_recursion, 0
	.set _ZN7rocprim17ROCPRIM_400000_NS6detail17trampoline_kernelINS0_14default_configENS1_21merge_config_selectorINS0_5tupleIJssEEENS0_10empty_typeEEEZNS1_10merge_implIS3_NS0_12zip_iteratorINS5_IJN6thrust23THRUST_200600_302600_NS6detail15normal_iteratorINSC_10device_ptrIKsEEEESI_EEEEESK_NSA_INS5_IJNSC_16discard_iteratorINSC_11use_defaultEEESN_EEEEEPS7_SQ_SQ_NSC_11hip_rocprim7__merge17predicate_wrapperIssNSC_4lessIsEEEEEE10hipError_tPvRmT0_T1_T2_T3_T4_T5_mmT6_P12ihipStream_tbEUlT_E_NS1_11comp_targetILNS1_3genE4ELNS1_11target_archE910ELNS1_3gpuE8ELNS1_3repE0EEENS1_30default_config_static_selectorELNS0_4arch9wavefront6targetE0EEEvS11_.has_indirect_call, 0
	.section	.AMDGPU.csdata,"",@progbits
; Kernel info:
; codeLenInByte = 0
; TotalNumSgprs: 0
; NumVgprs: 0
; ScratchSize: 0
; MemoryBound: 0
; FloatMode: 240
; IeeeMode: 1
; LDSByteSize: 0 bytes/workgroup (compile time only)
; SGPRBlocks: 0
; VGPRBlocks: 0
; NumSGPRsForWavesPerEU: 1
; NumVGPRsForWavesPerEU: 1
; Occupancy: 16
; WaveLimiterHint : 0
; COMPUTE_PGM_RSRC2:SCRATCH_EN: 0
; COMPUTE_PGM_RSRC2:USER_SGPR: 6
; COMPUTE_PGM_RSRC2:TRAP_HANDLER: 0
; COMPUTE_PGM_RSRC2:TGID_X_EN: 1
; COMPUTE_PGM_RSRC2:TGID_Y_EN: 0
; COMPUTE_PGM_RSRC2:TGID_Z_EN: 0
; COMPUTE_PGM_RSRC2:TIDIG_COMP_CNT: 0
	.section	.text._ZN7rocprim17ROCPRIM_400000_NS6detail17trampoline_kernelINS0_14default_configENS1_21merge_config_selectorINS0_5tupleIJssEEENS0_10empty_typeEEEZNS1_10merge_implIS3_NS0_12zip_iteratorINS5_IJN6thrust23THRUST_200600_302600_NS6detail15normal_iteratorINSC_10device_ptrIKsEEEESI_EEEEESK_NSA_INS5_IJNSC_16discard_iteratorINSC_11use_defaultEEESN_EEEEEPS7_SQ_SQ_NSC_11hip_rocprim7__merge17predicate_wrapperIssNSC_4lessIsEEEEEE10hipError_tPvRmT0_T1_T2_T3_T4_T5_mmT6_P12ihipStream_tbEUlT_E_NS1_11comp_targetILNS1_3genE3ELNS1_11target_archE908ELNS1_3gpuE7ELNS1_3repE0EEENS1_30default_config_static_selectorELNS0_4arch9wavefront6targetE0EEEvS11_,"axG",@progbits,_ZN7rocprim17ROCPRIM_400000_NS6detail17trampoline_kernelINS0_14default_configENS1_21merge_config_selectorINS0_5tupleIJssEEENS0_10empty_typeEEEZNS1_10merge_implIS3_NS0_12zip_iteratorINS5_IJN6thrust23THRUST_200600_302600_NS6detail15normal_iteratorINSC_10device_ptrIKsEEEESI_EEEEESK_NSA_INS5_IJNSC_16discard_iteratorINSC_11use_defaultEEESN_EEEEEPS7_SQ_SQ_NSC_11hip_rocprim7__merge17predicate_wrapperIssNSC_4lessIsEEEEEE10hipError_tPvRmT0_T1_T2_T3_T4_T5_mmT6_P12ihipStream_tbEUlT_E_NS1_11comp_targetILNS1_3genE3ELNS1_11target_archE908ELNS1_3gpuE7ELNS1_3repE0EEENS1_30default_config_static_selectorELNS0_4arch9wavefront6targetE0EEEvS11_,comdat
	.protected	_ZN7rocprim17ROCPRIM_400000_NS6detail17trampoline_kernelINS0_14default_configENS1_21merge_config_selectorINS0_5tupleIJssEEENS0_10empty_typeEEEZNS1_10merge_implIS3_NS0_12zip_iteratorINS5_IJN6thrust23THRUST_200600_302600_NS6detail15normal_iteratorINSC_10device_ptrIKsEEEESI_EEEEESK_NSA_INS5_IJNSC_16discard_iteratorINSC_11use_defaultEEESN_EEEEEPS7_SQ_SQ_NSC_11hip_rocprim7__merge17predicate_wrapperIssNSC_4lessIsEEEEEE10hipError_tPvRmT0_T1_T2_T3_T4_T5_mmT6_P12ihipStream_tbEUlT_E_NS1_11comp_targetILNS1_3genE3ELNS1_11target_archE908ELNS1_3gpuE7ELNS1_3repE0EEENS1_30default_config_static_selectorELNS0_4arch9wavefront6targetE0EEEvS11_ ; -- Begin function _ZN7rocprim17ROCPRIM_400000_NS6detail17trampoline_kernelINS0_14default_configENS1_21merge_config_selectorINS0_5tupleIJssEEENS0_10empty_typeEEEZNS1_10merge_implIS3_NS0_12zip_iteratorINS5_IJN6thrust23THRUST_200600_302600_NS6detail15normal_iteratorINSC_10device_ptrIKsEEEESI_EEEEESK_NSA_INS5_IJNSC_16discard_iteratorINSC_11use_defaultEEESN_EEEEEPS7_SQ_SQ_NSC_11hip_rocprim7__merge17predicate_wrapperIssNSC_4lessIsEEEEEE10hipError_tPvRmT0_T1_T2_T3_T4_T5_mmT6_P12ihipStream_tbEUlT_E_NS1_11comp_targetILNS1_3genE3ELNS1_11target_archE908ELNS1_3gpuE7ELNS1_3repE0EEENS1_30default_config_static_selectorELNS0_4arch9wavefront6targetE0EEEvS11_
	.globl	_ZN7rocprim17ROCPRIM_400000_NS6detail17trampoline_kernelINS0_14default_configENS1_21merge_config_selectorINS0_5tupleIJssEEENS0_10empty_typeEEEZNS1_10merge_implIS3_NS0_12zip_iteratorINS5_IJN6thrust23THRUST_200600_302600_NS6detail15normal_iteratorINSC_10device_ptrIKsEEEESI_EEEEESK_NSA_INS5_IJNSC_16discard_iteratorINSC_11use_defaultEEESN_EEEEEPS7_SQ_SQ_NSC_11hip_rocprim7__merge17predicate_wrapperIssNSC_4lessIsEEEEEE10hipError_tPvRmT0_T1_T2_T3_T4_T5_mmT6_P12ihipStream_tbEUlT_E_NS1_11comp_targetILNS1_3genE3ELNS1_11target_archE908ELNS1_3gpuE7ELNS1_3repE0EEENS1_30default_config_static_selectorELNS0_4arch9wavefront6targetE0EEEvS11_
	.p2align	8
	.type	_ZN7rocprim17ROCPRIM_400000_NS6detail17trampoline_kernelINS0_14default_configENS1_21merge_config_selectorINS0_5tupleIJssEEENS0_10empty_typeEEEZNS1_10merge_implIS3_NS0_12zip_iteratorINS5_IJN6thrust23THRUST_200600_302600_NS6detail15normal_iteratorINSC_10device_ptrIKsEEEESI_EEEEESK_NSA_INS5_IJNSC_16discard_iteratorINSC_11use_defaultEEESN_EEEEEPS7_SQ_SQ_NSC_11hip_rocprim7__merge17predicate_wrapperIssNSC_4lessIsEEEEEE10hipError_tPvRmT0_T1_T2_T3_T4_T5_mmT6_P12ihipStream_tbEUlT_E_NS1_11comp_targetILNS1_3genE3ELNS1_11target_archE908ELNS1_3gpuE7ELNS1_3repE0EEENS1_30default_config_static_selectorELNS0_4arch9wavefront6targetE0EEEvS11_,@function
_ZN7rocprim17ROCPRIM_400000_NS6detail17trampoline_kernelINS0_14default_configENS1_21merge_config_selectorINS0_5tupleIJssEEENS0_10empty_typeEEEZNS1_10merge_implIS3_NS0_12zip_iteratorINS5_IJN6thrust23THRUST_200600_302600_NS6detail15normal_iteratorINSC_10device_ptrIKsEEEESI_EEEEESK_NSA_INS5_IJNSC_16discard_iteratorINSC_11use_defaultEEESN_EEEEEPS7_SQ_SQ_NSC_11hip_rocprim7__merge17predicate_wrapperIssNSC_4lessIsEEEEEE10hipError_tPvRmT0_T1_T2_T3_T4_T5_mmT6_P12ihipStream_tbEUlT_E_NS1_11comp_targetILNS1_3genE3ELNS1_11target_archE908ELNS1_3gpuE7ELNS1_3repE0EEENS1_30default_config_static_selectorELNS0_4arch9wavefront6targetE0EEEvS11_: ; @_ZN7rocprim17ROCPRIM_400000_NS6detail17trampoline_kernelINS0_14default_configENS1_21merge_config_selectorINS0_5tupleIJssEEENS0_10empty_typeEEEZNS1_10merge_implIS3_NS0_12zip_iteratorINS5_IJN6thrust23THRUST_200600_302600_NS6detail15normal_iteratorINSC_10device_ptrIKsEEEESI_EEEEESK_NSA_INS5_IJNSC_16discard_iteratorINSC_11use_defaultEEESN_EEEEEPS7_SQ_SQ_NSC_11hip_rocprim7__merge17predicate_wrapperIssNSC_4lessIsEEEEEE10hipError_tPvRmT0_T1_T2_T3_T4_T5_mmT6_P12ihipStream_tbEUlT_E_NS1_11comp_targetILNS1_3genE3ELNS1_11target_archE908ELNS1_3gpuE7ELNS1_3repE0EEENS1_30default_config_static_selectorELNS0_4arch9wavefront6targetE0EEEvS11_
; %bb.0:
	.section	.rodata,"a",@progbits
	.p2align	6, 0x0
	.amdhsa_kernel _ZN7rocprim17ROCPRIM_400000_NS6detail17trampoline_kernelINS0_14default_configENS1_21merge_config_selectorINS0_5tupleIJssEEENS0_10empty_typeEEEZNS1_10merge_implIS3_NS0_12zip_iteratorINS5_IJN6thrust23THRUST_200600_302600_NS6detail15normal_iteratorINSC_10device_ptrIKsEEEESI_EEEEESK_NSA_INS5_IJNSC_16discard_iteratorINSC_11use_defaultEEESN_EEEEEPS7_SQ_SQ_NSC_11hip_rocprim7__merge17predicate_wrapperIssNSC_4lessIsEEEEEE10hipError_tPvRmT0_T1_T2_T3_T4_T5_mmT6_P12ihipStream_tbEUlT_E_NS1_11comp_targetILNS1_3genE3ELNS1_11target_archE908ELNS1_3gpuE7ELNS1_3repE0EEENS1_30default_config_static_selectorELNS0_4arch9wavefront6targetE0EEEvS11_
		.amdhsa_group_segment_fixed_size 0
		.amdhsa_private_segment_fixed_size 0
		.amdhsa_kernarg_size 64
		.amdhsa_user_sgpr_count 6
		.amdhsa_user_sgpr_private_segment_buffer 1
		.amdhsa_user_sgpr_dispatch_ptr 0
		.amdhsa_user_sgpr_queue_ptr 0
		.amdhsa_user_sgpr_kernarg_segment_ptr 1
		.amdhsa_user_sgpr_dispatch_id 0
		.amdhsa_user_sgpr_flat_scratch_init 0
		.amdhsa_user_sgpr_private_segment_size 0
		.amdhsa_wavefront_size32 1
		.amdhsa_uses_dynamic_stack 0
		.amdhsa_system_sgpr_private_segment_wavefront_offset 0
		.amdhsa_system_sgpr_workgroup_id_x 1
		.amdhsa_system_sgpr_workgroup_id_y 0
		.amdhsa_system_sgpr_workgroup_id_z 0
		.amdhsa_system_sgpr_workgroup_info 0
		.amdhsa_system_vgpr_workitem_id 0
		.amdhsa_next_free_vgpr 1
		.amdhsa_next_free_sgpr 1
		.amdhsa_reserve_vcc 0
		.amdhsa_reserve_flat_scratch 0
		.amdhsa_float_round_mode_32 0
		.amdhsa_float_round_mode_16_64 0
		.amdhsa_float_denorm_mode_32 3
		.amdhsa_float_denorm_mode_16_64 3
		.amdhsa_dx10_clamp 1
		.amdhsa_ieee_mode 1
		.amdhsa_fp16_overflow 0
		.amdhsa_workgroup_processor_mode 1
		.amdhsa_memory_ordered 1
		.amdhsa_forward_progress 1
		.amdhsa_shared_vgpr_count 0
		.amdhsa_exception_fp_ieee_invalid_op 0
		.amdhsa_exception_fp_denorm_src 0
		.amdhsa_exception_fp_ieee_div_zero 0
		.amdhsa_exception_fp_ieee_overflow 0
		.amdhsa_exception_fp_ieee_underflow 0
		.amdhsa_exception_fp_ieee_inexact 0
		.amdhsa_exception_int_div_zero 0
	.end_amdhsa_kernel
	.section	.text._ZN7rocprim17ROCPRIM_400000_NS6detail17trampoline_kernelINS0_14default_configENS1_21merge_config_selectorINS0_5tupleIJssEEENS0_10empty_typeEEEZNS1_10merge_implIS3_NS0_12zip_iteratorINS5_IJN6thrust23THRUST_200600_302600_NS6detail15normal_iteratorINSC_10device_ptrIKsEEEESI_EEEEESK_NSA_INS5_IJNSC_16discard_iteratorINSC_11use_defaultEEESN_EEEEEPS7_SQ_SQ_NSC_11hip_rocprim7__merge17predicate_wrapperIssNSC_4lessIsEEEEEE10hipError_tPvRmT0_T1_T2_T3_T4_T5_mmT6_P12ihipStream_tbEUlT_E_NS1_11comp_targetILNS1_3genE3ELNS1_11target_archE908ELNS1_3gpuE7ELNS1_3repE0EEENS1_30default_config_static_selectorELNS0_4arch9wavefront6targetE0EEEvS11_,"axG",@progbits,_ZN7rocprim17ROCPRIM_400000_NS6detail17trampoline_kernelINS0_14default_configENS1_21merge_config_selectorINS0_5tupleIJssEEENS0_10empty_typeEEEZNS1_10merge_implIS3_NS0_12zip_iteratorINS5_IJN6thrust23THRUST_200600_302600_NS6detail15normal_iteratorINSC_10device_ptrIKsEEEESI_EEEEESK_NSA_INS5_IJNSC_16discard_iteratorINSC_11use_defaultEEESN_EEEEEPS7_SQ_SQ_NSC_11hip_rocprim7__merge17predicate_wrapperIssNSC_4lessIsEEEEEE10hipError_tPvRmT0_T1_T2_T3_T4_T5_mmT6_P12ihipStream_tbEUlT_E_NS1_11comp_targetILNS1_3genE3ELNS1_11target_archE908ELNS1_3gpuE7ELNS1_3repE0EEENS1_30default_config_static_selectorELNS0_4arch9wavefront6targetE0EEEvS11_,comdat
.Lfunc_end608:
	.size	_ZN7rocprim17ROCPRIM_400000_NS6detail17trampoline_kernelINS0_14default_configENS1_21merge_config_selectorINS0_5tupleIJssEEENS0_10empty_typeEEEZNS1_10merge_implIS3_NS0_12zip_iteratorINS5_IJN6thrust23THRUST_200600_302600_NS6detail15normal_iteratorINSC_10device_ptrIKsEEEESI_EEEEESK_NSA_INS5_IJNSC_16discard_iteratorINSC_11use_defaultEEESN_EEEEEPS7_SQ_SQ_NSC_11hip_rocprim7__merge17predicate_wrapperIssNSC_4lessIsEEEEEE10hipError_tPvRmT0_T1_T2_T3_T4_T5_mmT6_P12ihipStream_tbEUlT_E_NS1_11comp_targetILNS1_3genE3ELNS1_11target_archE908ELNS1_3gpuE7ELNS1_3repE0EEENS1_30default_config_static_selectorELNS0_4arch9wavefront6targetE0EEEvS11_, .Lfunc_end608-_ZN7rocprim17ROCPRIM_400000_NS6detail17trampoline_kernelINS0_14default_configENS1_21merge_config_selectorINS0_5tupleIJssEEENS0_10empty_typeEEEZNS1_10merge_implIS3_NS0_12zip_iteratorINS5_IJN6thrust23THRUST_200600_302600_NS6detail15normal_iteratorINSC_10device_ptrIKsEEEESI_EEEEESK_NSA_INS5_IJNSC_16discard_iteratorINSC_11use_defaultEEESN_EEEEEPS7_SQ_SQ_NSC_11hip_rocprim7__merge17predicate_wrapperIssNSC_4lessIsEEEEEE10hipError_tPvRmT0_T1_T2_T3_T4_T5_mmT6_P12ihipStream_tbEUlT_E_NS1_11comp_targetILNS1_3genE3ELNS1_11target_archE908ELNS1_3gpuE7ELNS1_3repE0EEENS1_30default_config_static_selectorELNS0_4arch9wavefront6targetE0EEEvS11_
                                        ; -- End function
	.set _ZN7rocprim17ROCPRIM_400000_NS6detail17trampoline_kernelINS0_14default_configENS1_21merge_config_selectorINS0_5tupleIJssEEENS0_10empty_typeEEEZNS1_10merge_implIS3_NS0_12zip_iteratorINS5_IJN6thrust23THRUST_200600_302600_NS6detail15normal_iteratorINSC_10device_ptrIKsEEEESI_EEEEESK_NSA_INS5_IJNSC_16discard_iteratorINSC_11use_defaultEEESN_EEEEEPS7_SQ_SQ_NSC_11hip_rocprim7__merge17predicate_wrapperIssNSC_4lessIsEEEEEE10hipError_tPvRmT0_T1_T2_T3_T4_T5_mmT6_P12ihipStream_tbEUlT_E_NS1_11comp_targetILNS1_3genE3ELNS1_11target_archE908ELNS1_3gpuE7ELNS1_3repE0EEENS1_30default_config_static_selectorELNS0_4arch9wavefront6targetE0EEEvS11_.num_vgpr, 0
	.set _ZN7rocprim17ROCPRIM_400000_NS6detail17trampoline_kernelINS0_14default_configENS1_21merge_config_selectorINS0_5tupleIJssEEENS0_10empty_typeEEEZNS1_10merge_implIS3_NS0_12zip_iteratorINS5_IJN6thrust23THRUST_200600_302600_NS6detail15normal_iteratorINSC_10device_ptrIKsEEEESI_EEEEESK_NSA_INS5_IJNSC_16discard_iteratorINSC_11use_defaultEEESN_EEEEEPS7_SQ_SQ_NSC_11hip_rocprim7__merge17predicate_wrapperIssNSC_4lessIsEEEEEE10hipError_tPvRmT0_T1_T2_T3_T4_T5_mmT6_P12ihipStream_tbEUlT_E_NS1_11comp_targetILNS1_3genE3ELNS1_11target_archE908ELNS1_3gpuE7ELNS1_3repE0EEENS1_30default_config_static_selectorELNS0_4arch9wavefront6targetE0EEEvS11_.num_agpr, 0
	.set _ZN7rocprim17ROCPRIM_400000_NS6detail17trampoline_kernelINS0_14default_configENS1_21merge_config_selectorINS0_5tupleIJssEEENS0_10empty_typeEEEZNS1_10merge_implIS3_NS0_12zip_iteratorINS5_IJN6thrust23THRUST_200600_302600_NS6detail15normal_iteratorINSC_10device_ptrIKsEEEESI_EEEEESK_NSA_INS5_IJNSC_16discard_iteratorINSC_11use_defaultEEESN_EEEEEPS7_SQ_SQ_NSC_11hip_rocprim7__merge17predicate_wrapperIssNSC_4lessIsEEEEEE10hipError_tPvRmT0_T1_T2_T3_T4_T5_mmT6_P12ihipStream_tbEUlT_E_NS1_11comp_targetILNS1_3genE3ELNS1_11target_archE908ELNS1_3gpuE7ELNS1_3repE0EEENS1_30default_config_static_selectorELNS0_4arch9wavefront6targetE0EEEvS11_.numbered_sgpr, 0
	.set _ZN7rocprim17ROCPRIM_400000_NS6detail17trampoline_kernelINS0_14default_configENS1_21merge_config_selectorINS0_5tupleIJssEEENS0_10empty_typeEEEZNS1_10merge_implIS3_NS0_12zip_iteratorINS5_IJN6thrust23THRUST_200600_302600_NS6detail15normal_iteratorINSC_10device_ptrIKsEEEESI_EEEEESK_NSA_INS5_IJNSC_16discard_iteratorINSC_11use_defaultEEESN_EEEEEPS7_SQ_SQ_NSC_11hip_rocprim7__merge17predicate_wrapperIssNSC_4lessIsEEEEEE10hipError_tPvRmT0_T1_T2_T3_T4_T5_mmT6_P12ihipStream_tbEUlT_E_NS1_11comp_targetILNS1_3genE3ELNS1_11target_archE908ELNS1_3gpuE7ELNS1_3repE0EEENS1_30default_config_static_selectorELNS0_4arch9wavefront6targetE0EEEvS11_.num_named_barrier, 0
	.set _ZN7rocprim17ROCPRIM_400000_NS6detail17trampoline_kernelINS0_14default_configENS1_21merge_config_selectorINS0_5tupleIJssEEENS0_10empty_typeEEEZNS1_10merge_implIS3_NS0_12zip_iteratorINS5_IJN6thrust23THRUST_200600_302600_NS6detail15normal_iteratorINSC_10device_ptrIKsEEEESI_EEEEESK_NSA_INS5_IJNSC_16discard_iteratorINSC_11use_defaultEEESN_EEEEEPS7_SQ_SQ_NSC_11hip_rocprim7__merge17predicate_wrapperIssNSC_4lessIsEEEEEE10hipError_tPvRmT0_T1_T2_T3_T4_T5_mmT6_P12ihipStream_tbEUlT_E_NS1_11comp_targetILNS1_3genE3ELNS1_11target_archE908ELNS1_3gpuE7ELNS1_3repE0EEENS1_30default_config_static_selectorELNS0_4arch9wavefront6targetE0EEEvS11_.private_seg_size, 0
	.set _ZN7rocprim17ROCPRIM_400000_NS6detail17trampoline_kernelINS0_14default_configENS1_21merge_config_selectorINS0_5tupleIJssEEENS0_10empty_typeEEEZNS1_10merge_implIS3_NS0_12zip_iteratorINS5_IJN6thrust23THRUST_200600_302600_NS6detail15normal_iteratorINSC_10device_ptrIKsEEEESI_EEEEESK_NSA_INS5_IJNSC_16discard_iteratorINSC_11use_defaultEEESN_EEEEEPS7_SQ_SQ_NSC_11hip_rocprim7__merge17predicate_wrapperIssNSC_4lessIsEEEEEE10hipError_tPvRmT0_T1_T2_T3_T4_T5_mmT6_P12ihipStream_tbEUlT_E_NS1_11comp_targetILNS1_3genE3ELNS1_11target_archE908ELNS1_3gpuE7ELNS1_3repE0EEENS1_30default_config_static_selectorELNS0_4arch9wavefront6targetE0EEEvS11_.uses_vcc, 0
	.set _ZN7rocprim17ROCPRIM_400000_NS6detail17trampoline_kernelINS0_14default_configENS1_21merge_config_selectorINS0_5tupleIJssEEENS0_10empty_typeEEEZNS1_10merge_implIS3_NS0_12zip_iteratorINS5_IJN6thrust23THRUST_200600_302600_NS6detail15normal_iteratorINSC_10device_ptrIKsEEEESI_EEEEESK_NSA_INS5_IJNSC_16discard_iteratorINSC_11use_defaultEEESN_EEEEEPS7_SQ_SQ_NSC_11hip_rocprim7__merge17predicate_wrapperIssNSC_4lessIsEEEEEE10hipError_tPvRmT0_T1_T2_T3_T4_T5_mmT6_P12ihipStream_tbEUlT_E_NS1_11comp_targetILNS1_3genE3ELNS1_11target_archE908ELNS1_3gpuE7ELNS1_3repE0EEENS1_30default_config_static_selectorELNS0_4arch9wavefront6targetE0EEEvS11_.uses_flat_scratch, 0
	.set _ZN7rocprim17ROCPRIM_400000_NS6detail17trampoline_kernelINS0_14default_configENS1_21merge_config_selectorINS0_5tupleIJssEEENS0_10empty_typeEEEZNS1_10merge_implIS3_NS0_12zip_iteratorINS5_IJN6thrust23THRUST_200600_302600_NS6detail15normal_iteratorINSC_10device_ptrIKsEEEESI_EEEEESK_NSA_INS5_IJNSC_16discard_iteratorINSC_11use_defaultEEESN_EEEEEPS7_SQ_SQ_NSC_11hip_rocprim7__merge17predicate_wrapperIssNSC_4lessIsEEEEEE10hipError_tPvRmT0_T1_T2_T3_T4_T5_mmT6_P12ihipStream_tbEUlT_E_NS1_11comp_targetILNS1_3genE3ELNS1_11target_archE908ELNS1_3gpuE7ELNS1_3repE0EEENS1_30default_config_static_selectorELNS0_4arch9wavefront6targetE0EEEvS11_.has_dyn_sized_stack, 0
	.set _ZN7rocprim17ROCPRIM_400000_NS6detail17trampoline_kernelINS0_14default_configENS1_21merge_config_selectorINS0_5tupleIJssEEENS0_10empty_typeEEEZNS1_10merge_implIS3_NS0_12zip_iteratorINS5_IJN6thrust23THRUST_200600_302600_NS6detail15normal_iteratorINSC_10device_ptrIKsEEEESI_EEEEESK_NSA_INS5_IJNSC_16discard_iteratorINSC_11use_defaultEEESN_EEEEEPS7_SQ_SQ_NSC_11hip_rocprim7__merge17predicate_wrapperIssNSC_4lessIsEEEEEE10hipError_tPvRmT0_T1_T2_T3_T4_T5_mmT6_P12ihipStream_tbEUlT_E_NS1_11comp_targetILNS1_3genE3ELNS1_11target_archE908ELNS1_3gpuE7ELNS1_3repE0EEENS1_30default_config_static_selectorELNS0_4arch9wavefront6targetE0EEEvS11_.has_recursion, 0
	.set _ZN7rocprim17ROCPRIM_400000_NS6detail17trampoline_kernelINS0_14default_configENS1_21merge_config_selectorINS0_5tupleIJssEEENS0_10empty_typeEEEZNS1_10merge_implIS3_NS0_12zip_iteratorINS5_IJN6thrust23THRUST_200600_302600_NS6detail15normal_iteratorINSC_10device_ptrIKsEEEESI_EEEEESK_NSA_INS5_IJNSC_16discard_iteratorINSC_11use_defaultEEESN_EEEEEPS7_SQ_SQ_NSC_11hip_rocprim7__merge17predicate_wrapperIssNSC_4lessIsEEEEEE10hipError_tPvRmT0_T1_T2_T3_T4_T5_mmT6_P12ihipStream_tbEUlT_E_NS1_11comp_targetILNS1_3genE3ELNS1_11target_archE908ELNS1_3gpuE7ELNS1_3repE0EEENS1_30default_config_static_selectorELNS0_4arch9wavefront6targetE0EEEvS11_.has_indirect_call, 0
	.section	.AMDGPU.csdata,"",@progbits
; Kernel info:
; codeLenInByte = 0
; TotalNumSgprs: 0
; NumVgprs: 0
; ScratchSize: 0
; MemoryBound: 0
; FloatMode: 240
; IeeeMode: 1
; LDSByteSize: 0 bytes/workgroup (compile time only)
; SGPRBlocks: 0
; VGPRBlocks: 0
; NumSGPRsForWavesPerEU: 1
; NumVGPRsForWavesPerEU: 1
; Occupancy: 16
; WaveLimiterHint : 0
; COMPUTE_PGM_RSRC2:SCRATCH_EN: 0
; COMPUTE_PGM_RSRC2:USER_SGPR: 6
; COMPUTE_PGM_RSRC2:TRAP_HANDLER: 0
; COMPUTE_PGM_RSRC2:TGID_X_EN: 1
; COMPUTE_PGM_RSRC2:TGID_Y_EN: 0
; COMPUTE_PGM_RSRC2:TGID_Z_EN: 0
; COMPUTE_PGM_RSRC2:TIDIG_COMP_CNT: 0
	.section	.text._ZN7rocprim17ROCPRIM_400000_NS6detail17trampoline_kernelINS0_14default_configENS1_21merge_config_selectorINS0_5tupleIJssEEENS0_10empty_typeEEEZNS1_10merge_implIS3_NS0_12zip_iteratorINS5_IJN6thrust23THRUST_200600_302600_NS6detail15normal_iteratorINSC_10device_ptrIKsEEEESI_EEEEESK_NSA_INS5_IJNSC_16discard_iteratorINSC_11use_defaultEEESN_EEEEEPS7_SQ_SQ_NSC_11hip_rocprim7__merge17predicate_wrapperIssNSC_4lessIsEEEEEE10hipError_tPvRmT0_T1_T2_T3_T4_T5_mmT6_P12ihipStream_tbEUlT_E_NS1_11comp_targetILNS1_3genE2ELNS1_11target_archE906ELNS1_3gpuE6ELNS1_3repE0EEENS1_30default_config_static_selectorELNS0_4arch9wavefront6targetE0EEEvS11_,"axG",@progbits,_ZN7rocprim17ROCPRIM_400000_NS6detail17trampoline_kernelINS0_14default_configENS1_21merge_config_selectorINS0_5tupleIJssEEENS0_10empty_typeEEEZNS1_10merge_implIS3_NS0_12zip_iteratorINS5_IJN6thrust23THRUST_200600_302600_NS6detail15normal_iteratorINSC_10device_ptrIKsEEEESI_EEEEESK_NSA_INS5_IJNSC_16discard_iteratorINSC_11use_defaultEEESN_EEEEEPS7_SQ_SQ_NSC_11hip_rocprim7__merge17predicate_wrapperIssNSC_4lessIsEEEEEE10hipError_tPvRmT0_T1_T2_T3_T4_T5_mmT6_P12ihipStream_tbEUlT_E_NS1_11comp_targetILNS1_3genE2ELNS1_11target_archE906ELNS1_3gpuE6ELNS1_3repE0EEENS1_30default_config_static_selectorELNS0_4arch9wavefront6targetE0EEEvS11_,comdat
	.protected	_ZN7rocprim17ROCPRIM_400000_NS6detail17trampoline_kernelINS0_14default_configENS1_21merge_config_selectorINS0_5tupleIJssEEENS0_10empty_typeEEEZNS1_10merge_implIS3_NS0_12zip_iteratorINS5_IJN6thrust23THRUST_200600_302600_NS6detail15normal_iteratorINSC_10device_ptrIKsEEEESI_EEEEESK_NSA_INS5_IJNSC_16discard_iteratorINSC_11use_defaultEEESN_EEEEEPS7_SQ_SQ_NSC_11hip_rocprim7__merge17predicate_wrapperIssNSC_4lessIsEEEEEE10hipError_tPvRmT0_T1_T2_T3_T4_T5_mmT6_P12ihipStream_tbEUlT_E_NS1_11comp_targetILNS1_3genE2ELNS1_11target_archE906ELNS1_3gpuE6ELNS1_3repE0EEENS1_30default_config_static_selectorELNS0_4arch9wavefront6targetE0EEEvS11_ ; -- Begin function _ZN7rocprim17ROCPRIM_400000_NS6detail17trampoline_kernelINS0_14default_configENS1_21merge_config_selectorINS0_5tupleIJssEEENS0_10empty_typeEEEZNS1_10merge_implIS3_NS0_12zip_iteratorINS5_IJN6thrust23THRUST_200600_302600_NS6detail15normal_iteratorINSC_10device_ptrIKsEEEESI_EEEEESK_NSA_INS5_IJNSC_16discard_iteratorINSC_11use_defaultEEESN_EEEEEPS7_SQ_SQ_NSC_11hip_rocprim7__merge17predicate_wrapperIssNSC_4lessIsEEEEEE10hipError_tPvRmT0_T1_T2_T3_T4_T5_mmT6_P12ihipStream_tbEUlT_E_NS1_11comp_targetILNS1_3genE2ELNS1_11target_archE906ELNS1_3gpuE6ELNS1_3repE0EEENS1_30default_config_static_selectorELNS0_4arch9wavefront6targetE0EEEvS11_
	.globl	_ZN7rocprim17ROCPRIM_400000_NS6detail17trampoline_kernelINS0_14default_configENS1_21merge_config_selectorINS0_5tupleIJssEEENS0_10empty_typeEEEZNS1_10merge_implIS3_NS0_12zip_iteratorINS5_IJN6thrust23THRUST_200600_302600_NS6detail15normal_iteratorINSC_10device_ptrIKsEEEESI_EEEEESK_NSA_INS5_IJNSC_16discard_iteratorINSC_11use_defaultEEESN_EEEEEPS7_SQ_SQ_NSC_11hip_rocprim7__merge17predicate_wrapperIssNSC_4lessIsEEEEEE10hipError_tPvRmT0_T1_T2_T3_T4_T5_mmT6_P12ihipStream_tbEUlT_E_NS1_11comp_targetILNS1_3genE2ELNS1_11target_archE906ELNS1_3gpuE6ELNS1_3repE0EEENS1_30default_config_static_selectorELNS0_4arch9wavefront6targetE0EEEvS11_
	.p2align	8
	.type	_ZN7rocprim17ROCPRIM_400000_NS6detail17trampoline_kernelINS0_14default_configENS1_21merge_config_selectorINS0_5tupleIJssEEENS0_10empty_typeEEEZNS1_10merge_implIS3_NS0_12zip_iteratorINS5_IJN6thrust23THRUST_200600_302600_NS6detail15normal_iteratorINSC_10device_ptrIKsEEEESI_EEEEESK_NSA_INS5_IJNSC_16discard_iteratorINSC_11use_defaultEEESN_EEEEEPS7_SQ_SQ_NSC_11hip_rocprim7__merge17predicate_wrapperIssNSC_4lessIsEEEEEE10hipError_tPvRmT0_T1_T2_T3_T4_T5_mmT6_P12ihipStream_tbEUlT_E_NS1_11comp_targetILNS1_3genE2ELNS1_11target_archE906ELNS1_3gpuE6ELNS1_3repE0EEENS1_30default_config_static_selectorELNS0_4arch9wavefront6targetE0EEEvS11_,@function
_ZN7rocprim17ROCPRIM_400000_NS6detail17trampoline_kernelINS0_14default_configENS1_21merge_config_selectorINS0_5tupleIJssEEENS0_10empty_typeEEEZNS1_10merge_implIS3_NS0_12zip_iteratorINS5_IJN6thrust23THRUST_200600_302600_NS6detail15normal_iteratorINSC_10device_ptrIKsEEEESI_EEEEESK_NSA_INS5_IJNSC_16discard_iteratorINSC_11use_defaultEEESN_EEEEEPS7_SQ_SQ_NSC_11hip_rocprim7__merge17predicate_wrapperIssNSC_4lessIsEEEEEE10hipError_tPvRmT0_T1_T2_T3_T4_T5_mmT6_P12ihipStream_tbEUlT_E_NS1_11comp_targetILNS1_3genE2ELNS1_11target_archE906ELNS1_3gpuE6ELNS1_3repE0EEENS1_30default_config_static_selectorELNS0_4arch9wavefront6targetE0EEEvS11_: ; @_ZN7rocprim17ROCPRIM_400000_NS6detail17trampoline_kernelINS0_14default_configENS1_21merge_config_selectorINS0_5tupleIJssEEENS0_10empty_typeEEEZNS1_10merge_implIS3_NS0_12zip_iteratorINS5_IJN6thrust23THRUST_200600_302600_NS6detail15normal_iteratorINSC_10device_ptrIKsEEEESI_EEEEESK_NSA_INS5_IJNSC_16discard_iteratorINSC_11use_defaultEEESN_EEEEEPS7_SQ_SQ_NSC_11hip_rocprim7__merge17predicate_wrapperIssNSC_4lessIsEEEEEE10hipError_tPvRmT0_T1_T2_T3_T4_T5_mmT6_P12ihipStream_tbEUlT_E_NS1_11comp_targetILNS1_3genE2ELNS1_11target_archE906ELNS1_3gpuE6ELNS1_3repE0EEENS1_30default_config_static_selectorELNS0_4arch9wavefront6targetE0EEEvS11_
; %bb.0:
	.section	.rodata,"a",@progbits
	.p2align	6, 0x0
	.amdhsa_kernel _ZN7rocprim17ROCPRIM_400000_NS6detail17trampoline_kernelINS0_14default_configENS1_21merge_config_selectorINS0_5tupleIJssEEENS0_10empty_typeEEEZNS1_10merge_implIS3_NS0_12zip_iteratorINS5_IJN6thrust23THRUST_200600_302600_NS6detail15normal_iteratorINSC_10device_ptrIKsEEEESI_EEEEESK_NSA_INS5_IJNSC_16discard_iteratorINSC_11use_defaultEEESN_EEEEEPS7_SQ_SQ_NSC_11hip_rocprim7__merge17predicate_wrapperIssNSC_4lessIsEEEEEE10hipError_tPvRmT0_T1_T2_T3_T4_T5_mmT6_P12ihipStream_tbEUlT_E_NS1_11comp_targetILNS1_3genE2ELNS1_11target_archE906ELNS1_3gpuE6ELNS1_3repE0EEENS1_30default_config_static_selectorELNS0_4arch9wavefront6targetE0EEEvS11_
		.amdhsa_group_segment_fixed_size 0
		.amdhsa_private_segment_fixed_size 0
		.amdhsa_kernarg_size 64
		.amdhsa_user_sgpr_count 6
		.amdhsa_user_sgpr_private_segment_buffer 1
		.amdhsa_user_sgpr_dispatch_ptr 0
		.amdhsa_user_sgpr_queue_ptr 0
		.amdhsa_user_sgpr_kernarg_segment_ptr 1
		.amdhsa_user_sgpr_dispatch_id 0
		.amdhsa_user_sgpr_flat_scratch_init 0
		.amdhsa_user_sgpr_private_segment_size 0
		.amdhsa_wavefront_size32 1
		.amdhsa_uses_dynamic_stack 0
		.amdhsa_system_sgpr_private_segment_wavefront_offset 0
		.amdhsa_system_sgpr_workgroup_id_x 1
		.amdhsa_system_sgpr_workgroup_id_y 0
		.amdhsa_system_sgpr_workgroup_id_z 0
		.amdhsa_system_sgpr_workgroup_info 0
		.amdhsa_system_vgpr_workitem_id 0
		.amdhsa_next_free_vgpr 1
		.amdhsa_next_free_sgpr 1
		.amdhsa_reserve_vcc 0
		.amdhsa_reserve_flat_scratch 0
		.amdhsa_float_round_mode_32 0
		.amdhsa_float_round_mode_16_64 0
		.amdhsa_float_denorm_mode_32 3
		.amdhsa_float_denorm_mode_16_64 3
		.amdhsa_dx10_clamp 1
		.amdhsa_ieee_mode 1
		.amdhsa_fp16_overflow 0
		.amdhsa_workgroup_processor_mode 1
		.amdhsa_memory_ordered 1
		.amdhsa_forward_progress 1
		.amdhsa_shared_vgpr_count 0
		.amdhsa_exception_fp_ieee_invalid_op 0
		.amdhsa_exception_fp_denorm_src 0
		.amdhsa_exception_fp_ieee_div_zero 0
		.amdhsa_exception_fp_ieee_overflow 0
		.amdhsa_exception_fp_ieee_underflow 0
		.amdhsa_exception_fp_ieee_inexact 0
		.amdhsa_exception_int_div_zero 0
	.end_amdhsa_kernel
	.section	.text._ZN7rocprim17ROCPRIM_400000_NS6detail17trampoline_kernelINS0_14default_configENS1_21merge_config_selectorINS0_5tupleIJssEEENS0_10empty_typeEEEZNS1_10merge_implIS3_NS0_12zip_iteratorINS5_IJN6thrust23THRUST_200600_302600_NS6detail15normal_iteratorINSC_10device_ptrIKsEEEESI_EEEEESK_NSA_INS5_IJNSC_16discard_iteratorINSC_11use_defaultEEESN_EEEEEPS7_SQ_SQ_NSC_11hip_rocprim7__merge17predicate_wrapperIssNSC_4lessIsEEEEEE10hipError_tPvRmT0_T1_T2_T3_T4_T5_mmT6_P12ihipStream_tbEUlT_E_NS1_11comp_targetILNS1_3genE2ELNS1_11target_archE906ELNS1_3gpuE6ELNS1_3repE0EEENS1_30default_config_static_selectorELNS0_4arch9wavefront6targetE0EEEvS11_,"axG",@progbits,_ZN7rocprim17ROCPRIM_400000_NS6detail17trampoline_kernelINS0_14default_configENS1_21merge_config_selectorINS0_5tupleIJssEEENS0_10empty_typeEEEZNS1_10merge_implIS3_NS0_12zip_iteratorINS5_IJN6thrust23THRUST_200600_302600_NS6detail15normal_iteratorINSC_10device_ptrIKsEEEESI_EEEEESK_NSA_INS5_IJNSC_16discard_iteratorINSC_11use_defaultEEESN_EEEEEPS7_SQ_SQ_NSC_11hip_rocprim7__merge17predicate_wrapperIssNSC_4lessIsEEEEEE10hipError_tPvRmT0_T1_T2_T3_T4_T5_mmT6_P12ihipStream_tbEUlT_E_NS1_11comp_targetILNS1_3genE2ELNS1_11target_archE906ELNS1_3gpuE6ELNS1_3repE0EEENS1_30default_config_static_selectorELNS0_4arch9wavefront6targetE0EEEvS11_,comdat
.Lfunc_end609:
	.size	_ZN7rocprim17ROCPRIM_400000_NS6detail17trampoline_kernelINS0_14default_configENS1_21merge_config_selectorINS0_5tupleIJssEEENS0_10empty_typeEEEZNS1_10merge_implIS3_NS0_12zip_iteratorINS5_IJN6thrust23THRUST_200600_302600_NS6detail15normal_iteratorINSC_10device_ptrIKsEEEESI_EEEEESK_NSA_INS5_IJNSC_16discard_iteratorINSC_11use_defaultEEESN_EEEEEPS7_SQ_SQ_NSC_11hip_rocprim7__merge17predicate_wrapperIssNSC_4lessIsEEEEEE10hipError_tPvRmT0_T1_T2_T3_T4_T5_mmT6_P12ihipStream_tbEUlT_E_NS1_11comp_targetILNS1_3genE2ELNS1_11target_archE906ELNS1_3gpuE6ELNS1_3repE0EEENS1_30default_config_static_selectorELNS0_4arch9wavefront6targetE0EEEvS11_, .Lfunc_end609-_ZN7rocprim17ROCPRIM_400000_NS6detail17trampoline_kernelINS0_14default_configENS1_21merge_config_selectorINS0_5tupleIJssEEENS0_10empty_typeEEEZNS1_10merge_implIS3_NS0_12zip_iteratorINS5_IJN6thrust23THRUST_200600_302600_NS6detail15normal_iteratorINSC_10device_ptrIKsEEEESI_EEEEESK_NSA_INS5_IJNSC_16discard_iteratorINSC_11use_defaultEEESN_EEEEEPS7_SQ_SQ_NSC_11hip_rocprim7__merge17predicate_wrapperIssNSC_4lessIsEEEEEE10hipError_tPvRmT0_T1_T2_T3_T4_T5_mmT6_P12ihipStream_tbEUlT_E_NS1_11comp_targetILNS1_3genE2ELNS1_11target_archE906ELNS1_3gpuE6ELNS1_3repE0EEENS1_30default_config_static_selectorELNS0_4arch9wavefront6targetE0EEEvS11_
                                        ; -- End function
	.set _ZN7rocprim17ROCPRIM_400000_NS6detail17trampoline_kernelINS0_14default_configENS1_21merge_config_selectorINS0_5tupleIJssEEENS0_10empty_typeEEEZNS1_10merge_implIS3_NS0_12zip_iteratorINS5_IJN6thrust23THRUST_200600_302600_NS6detail15normal_iteratorINSC_10device_ptrIKsEEEESI_EEEEESK_NSA_INS5_IJNSC_16discard_iteratorINSC_11use_defaultEEESN_EEEEEPS7_SQ_SQ_NSC_11hip_rocprim7__merge17predicate_wrapperIssNSC_4lessIsEEEEEE10hipError_tPvRmT0_T1_T2_T3_T4_T5_mmT6_P12ihipStream_tbEUlT_E_NS1_11comp_targetILNS1_3genE2ELNS1_11target_archE906ELNS1_3gpuE6ELNS1_3repE0EEENS1_30default_config_static_selectorELNS0_4arch9wavefront6targetE0EEEvS11_.num_vgpr, 0
	.set _ZN7rocprim17ROCPRIM_400000_NS6detail17trampoline_kernelINS0_14default_configENS1_21merge_config_selectorINS0_5tupleIJssEEENS0_10empty_typeEEEZNS1_10merge_implIS3_NS0_12zip_iteratorINS5_IJN6thrust23THRUST_200600_302600_NS6detail15normal_iteratorINSC_10device_ptrIKsEEEESI_EEEEESK_NSA_INS5_IJNSC_16discard_iteratorINSC_11use_defaultEEESN_EEEEEPS7_SQ_SQ_NSC_11hip_rocprim7__merge17predicate_wrapperIssNSC_4lessIsEEEEEE10hipError_tPvRmT0_T1_T2_T3_T4_T5_mmT6_P12ihipStream_tbEUlT_E_NS1_11comp_targetILNS1_3genE2ELNS1_11target_archE906ELNS1_3gpuE6ELNS1_3repE0EEENS1_30default_config_static_selectorELNS0_4arch9wavefront6targetE0EEEvS11_.num_agpr, 0
	.set _ZN7rocprim17ROCPRIM_400000_NS6detail17trampoline_kernelINS0_14default_configENS1_21merge_config_selectorINS0_5tupleIJssEEENS0_10empty_typeEEEZNS1_10merge_implIS3_NS0_12zip_iteratorINS5_IJN6thrust23THRUST_200600_302600_NS6detail15normal_iteratorINSC_10device_ptrIKsEEEESI_EEEEESK_NSA_INS5_IJNSC_16discard_iteratorINSC_11use_defaultEEESN_EEEEEPS7_SQ_SQ_NSC_11hip_rocprim7__merge17predicate_wrapperIssNSC_4lessIsEEEEEE10hipError_tPvRmT0_T1_T2_T3_T4_T5_mmT6_P12ihipStream_tbEUlT_E_NS1_11comp_targetILNS1_3genE2ELNS1_11target_archE906ELNS1_3gpuE6ELNS1_3repE0EEENS1_30default_config_static_selectorELNS0_4arch9wavefront6targetE0EEEvS11_.numbered_sgpr, 0
	.set _ZN7rocprim17ROCPRIM_400000_NS6detail17trampoline_kernelINS0_14default_configENS1_21merge_config_selectorINS0_5tupleIJssEEENS0_10empty_typeEEEZNS1_10merge_implIS3_NS0_12zip_iteratorINS5_IJN6thrust23THRUST_200600_302600_NS6detail15normal_iteratorINSC_10device_ptrIKsEEEESI_EEEEESK_NSA_INS5_IJNSC_16discard_iteratorINSC_11use_defaultEEESN_EEEEEPS7_SQ_SQ_NSC_11hip_rocprim7__merge17predicate_wrapperIssNSC_4lessIsEEEEEE10hipError_tPvRmT0_T1_T2_T3_T4_T5_mmT6_P12ihipStream_tbEUlT_E_NS1_11comp_targetILNS1_3genE2ELNS1_11target_archE906ELNS1_3gpuE6ELNS1_3repE0EEENS1_30default_config_static_selectorELNS0_4arch9wavefront6targetE0EEEvS11_.num_named_barrier, 0
	.set _ZN7rocprim17ROCPRIM_400000_NS6detail17trampoline_kernelINS0_14default_configENS1_21merge_config_selectorINS0_5tupleIJssEEENS0_10empty_typeEEEZNS1_10merge_implIS3_NS0_12zip_iteratorINS5_IJN6thrust23THRUST_200600_302600_NS6detail15normal_iteratorINSC_10device_ptrIKsEEEESI_EEEEESK_NSA_INS5_IJNSC_16discard_iteratorINSC_11use_defaultEEESN_EEEEEPS7_SQ_SQ_NSC_11hip_rocprim7__merge17predicate_wrapperIssNSC_4lessIsEEEEEE10hipError_tPvRmT0_T1_T2_T3_T4_T5_mmT6_P12ihipStream_tbEUlT_E_NS1_11comp_targetILNS1_3genE2ELNS1_11target_archE906ELNS1_3gpuE6ELNS1_3repE0EEENS1_30default_config_static_selectorELNS0_4arch9wavefront6targetE0EEEvS11_.private_seg_size, 0
	.set _ZN7rocprim17ROCPRIM_400000_NS6detail17trampoline_kernelINS0_14default_configENS1_21merge_config_selectorINS0_5tupleIJssEEENS0_10empty_typeEEEZNS1_10merge_implIS3_NS0_12zip_iteratorINS5_IJN6thrust23THRUST_200600_302600_NS6detail15normal_iteratorINSC_10device_ptrIKsEEEESI_EEEEESK_NSA_INS5_IJNSC_16discard_iteratorINSC_11use_defaultEEESN_EEEEEPS7_SQ_SQ_NSC_11hip_rocprim7__merge17predicate_wrapperIssNSC_4lessIsEEEEEE10hipError_tPvRmT0_T1_T2_T3_T4_T5_mmT6_P12ihipStream_tbEUlT_E_NS1_11comp_targetILNS1_3genE2ELNS1_11target_archE906ELNS1_3gpuE6ELNS1_3repE0EEENS1_30default_config_static_selectorELNS0_4arch9wavefront6targetE0EEEvS11_.uses_vcc, 0
	.set _ZN7rocprim17ROCPRIM_400000_NS6detail17trampoline_kernelINS0_14default_configENS1_21merge_config_selectorINS0_5tupleIJssEEENS0_10empty_typeEEEZNS1_10merge_implIS3_NS0_12zip_iteratorINS5_IJN6thrust23THRUST_200600_302600_NS6detail15normal_iteratorINSC_10device_ptrIKsEEEESI_EEEEESK_NSA_INS5_IJNSC_16discard_iteratorINSC_11use_defaultEEESN_EEEEEPS7_SQ_SQ_NSC_11hip_rocprim7__merge17predicate_wrapperIssNSC_4lessIsEEEEEE10hipError_tPvRmT0_T1_T2_T3_T4_T5_mmT6_P12ihipStream_tbEUlT_E_NS1_11comp_targetILNS1_3genE2ELNS1_11target_archE906ELNS1_3gpuE6ELNS1_3repE0EEENS1_30default_config_static_selectorELNS0_4arch9wavefront6targetE0EEEvS11_.uses_flat_scratch, 0
	.set _ZN7rocprim17ROCPRIM_400000_NS6detail17trampoline_kernelINS0_14default_configENS1_21merge_config_selectorINS0_5tupleIJssEEENS0_10empty_typeEEEZNS1_10merge_implIS3_NS0_12zip_iteratorINS5_IJN6thrust23THRUST_200600_302600_NS6detail15normal_iteratorINSC_10device_ptrIKsEEEESI_EEEEESK_NSA_INS5_IJNSC_16discard_iteratorINSC_11use_defaultEEESN_EEEEEPS7_SQ_SQ_NSC_11hip_rocprim7__merge17predicate_wrapperIssNSC_4lessIsEEEEEE10hipError_tPvRmT0_T1_T2_T3_T4_T5_mmT6_P12ihipStream_tbEUlT_E_NS1_11comp_targetILNS1_3genE2ELNS1_11target_archE906ELNS1_3gpuE6ELNS1_3repE0EEENS1_30default_config_static_selectorELNS0_4arch9wavefront6targetE0EEEvS11_.has_dyn_sized_stack, 0
	.set _ZN7rocprim17ROCPRIM_400000_NS6detail17trampoline_kernelINS0_14default_configENS1_21merge_config_selectorINS0_5tupleIJssEEENS0_10empty_typeEEEZNS1_10merge_implIS3_NS0_12zip_iteratorINS5_IJN6thrust23THRUST_200600_302600_NS6detail15normal_iteratorINSC_10device_ptrIKsEEEESI_EEEEESK_NSA_INS5_IJNSC_16discard_iteratorINSC_11use_defaultEEESN_EEEEEPS7_SQ_SQ_NSC_11hip_rocprim7__merge17predicate_wrapperIssNSC_4lessIsEEEEEE10hipError_tPvRmT0_T1_T2_T3_T4_T5_mmT6_P12ihipStream_tbEUlT_E_NS1_11comp_targetILNS1_3genE2ELNS1_11target_archE906ELNS1_3gpuE6ELNS1_3repE0EEENS1_30default_config_static_selectorELNS0_4arch9wavefront6targetE0EEEvS11_.has_recursion, 0
	.set _ZN7rocprim17ROCPRIM_400000_NS6detail17trampoline_kernelINS0_14default_configENS1_21merge_config_selectorINS0_5tupleIJssEEENS0_10empty_typeEEEZNS1_10merge_implIS3_NS0_12zip_iteratorINS5_IJN6thrust23THRUST_200600_302600_NS6detail15normal_iteratorINSC_10device_ptrIKsEEEESI_EEEEESK_NSA_INS5_IJNSC_16discard_iteratorINSC_11use_defaultEEESN_EEEEEPS7_SQ_SQ_NSC_11hip_rocprim7__merge17predicate_wrapperIssNSC_4lessIsEEEEEE10hipError_tPvRmT0_T1_T2_T3_T4_T5_mmT6_P12ihipStream_tbEUlT_E_NS1_11comp_targetILNS1_3genE2ELNS1_11target_archE906ELNS1_3gpuE6ELNS1_3repE0EEENS1_30default_config_static_selectorELNS0_4arch9wavefront6targetE0EEEvS11_.has_indirect_call, 0
	.section	.AMDGPU.csdata,"",@progbits
; Kernel info:
; codeLenInByte = 0
; TotalNumSgprs: 0
; NumVgprs: 0
; ScratchSize: 0
; MemoryBound: 0
; FloatMode: 240
; IeeeMode: 1
; LDSByteSize: 0 bytes/workgroup (compile time only)
; SGPRBlocks: 0
; VGPRBlocks: 0
; NumSGPRsForWavesPerEU: 1
; NumVGPRsForWavesPerEU: 1
; Occupancy: 16
; WaveLimiterHint : 0
; COMPUTE_PGM_RSRC2:SCRATCH_EN: 0
; COMPUTE_PGM_RSRC2:USER_SGPR: 6
; COMPUTE_PGM_RSRC2:TRAP_HANDLER: 0
; COMPUTE_PGM_RSRC2:TGID_X_EN: 1
; COMPUTE_PGM_RSRC2:TGID_Y_EN: 0
; COMPUTE_PGM_RSRC2:TGID_Z_EN: 0
; COMPUTE_PGM_RSRC2:TIDIG_COMP_CNT: 0
	.section	.text._ZN7rocprim17ROCPRIM_400000_NS6detail17trampoline_kernelINS0_14default_configENS1_21merge_config_selectorINS0_5tupleIJssEEENS0_10empty_typeEEEZNS1_10merge_implIS3_NS0_12zip_iteratorINS5_IJN6thrust23THRUST_200600_302600_NS6detail15normal_iteratorINSC_10device_ptrIKsEEEESI_EEEEESK_NSA_INS5_IJNSC_16discard_iteratorINSC_11use_defaultEEESN_EEEEEPS7_SQ_SQ_NSC_11hip_rocprim7__merge17predicate_wrapperIssNSC_4lessIsEEEEEE10hipError_tPvRmT0_T1_T2_T3_T4_T5_mmT6_P12ihipStream_tbEUlT_E_NS1_11comp_targetILNS1_3genE10ELNS1_11target_archE1201ELNS1_3gpuE5ELNS1_3repE0EEENS1_30default_config_static_selectorELNS0_4arch9wavefront6targetE0EEEvS11_,"axG",@progbits,_ZN7rocprim17ROCPRIM_400000_NS6detail17trampoline_kernelINS0_14default_configENS1_21merge_config_selectorINS0_5tupleIJssEEENS0_10empty_typeEEEZNS1_10merge_implIS3_NS0_12zip_iteratorINS5_IJN6thrust23THRUST_200600_302600_NS6detail15normal_iteratorINSC_10device_ptrIKsEEEESI_EEEEESK_NSA_INS5_IJNSC_16discard_iteratorINSC_11use_defaultEEESN_EEEEEPS7_SQ_SQ_NSC_11hip_rocprim7__merge17predicate_wrapperIssNSC_4lessIsEEEEEE10hipError_tPvRmT0_T1_T2_T3_T4_T5_mmT6_P12ihipStream_tbEUlT_E_NS1_11comp_targetILNS1_3genE10ELNS1_11target_archE1201ELNS1_3gpuE5ELNS1_3repE0EEENS1_30default_config_static_selectorELNS0_4arch9wavefront6targetE0EEEvS11_,comdat
	.protected	_ZN7rocprim17ROCPRIM_400000_NS6detail17trampoline_kernelINS0_14default_configENS1_21merge_config_selectorINS0_5tupleIJssEEENS0_10empty_typeEEEZNS1_10merge_implIS3_NS0_12zip_iteratorINS5_IJN6thrust23THRUST_200600_302600_NS6detail15normal_iteratorINSC_10device_ptrIKsEEEESI_EEEEESK_NSA_INS5_IJNSC_16discard_iteratorINSC_11use_defaultEEESN_EEEEEPS7_SQ_SQ_NSC_11hip_rocprim7__merge17predicate_wrapperIssNSC_4lessIsEEEEEE10hipError_tPvRmT0_T1_T2_T3_T4_T5_mmT6_P12ihipStream_tbEUlT_E_NS1_11comp_targetILNS1_3genE10ELNS1_11target_archE1201ELNS1_3gpuE5ELNS1_3repE0EEENS1_30default_config_static_selectorELNS0_4arch9wavefront6targetE0EEEvS11_ ; -- Begin function _ZN7rocprim17ROCPRIM_400000_NS6detail17trampoline_kernelINS0_14default_configENS1_21merge_config_selectorINS0_5tupleIJssEEENS0_10empty_typeEEEZNS1_10merge_implIS3_NS0_12zip_iteratorINS5_IJN6thrust23THRUST_200600_302600_NS6detail15normal_iteratorINSC_10device_ptrIKsEEEESI_EEEEESK_NSA_INS5_IJNSC_16discard_iteratorINSC_11use_defaultEEESN_EEEEEPS7_SQ_SQ_NSC_11hip_rocprim7__merge17predicate_wrapperIssNSC_4lessIsEEEEEE10hipError_tPvRmT0_T1_T2_T3_T4_T5_mmT6_P12ihipStream_tbEUlT_E_NS1_11comp_targetILNS1_3genE10ELNS1_11target_archE1201ELNS1_3gpuE5ELNS1_3repE0EEENS1_30default_config_static_selectorELNS0_4arch9wavefront6targetE0EEEvS11_
	.globl	_ZN7rocprim17ROCPRIM_400000_NS6detail17trampoline_kernelINS0_14default_configENS1_21merge_config_selectorINS0_5tupleIJssEEENS0_10empty_typeEEEZNS1_10merge_implIS3_NS0_12zip_iteratorINS5_IJN6thrust23THRUST_200600_302600_NS6detail15normal_iteratorINSC_10device_ptrIKsEEEESI_EEEEESK_NSA_INS5_IJNSC_16discard_iteratorINSC_11use_defaultEEESN_EEEEEPS7_SQ_SQ_NSC_11hip_rocprim7__merge17predicate_wrapperIssNSC_4lessIsEEEEEE10hipError_tPvRmT0_T1_T2_T3_T4_T5_mmT6_P12ihipStream_tbEUlT_E_NS1_11comp_targetILNS1_3genE10ELNS1_11target_archE1201ELNS1_3gpuE5ELNS1_3repE0EEENS1_30default_config_static_selectorELNS0_4arch9wavefront6targetE0EEEvS11_
	.p2align	8
	.type	_ZN7rocprim17ROCPRIM_400000_NS6detail17trampoline_kernelINS0_14default_configENS1_21merge_config_selectorINS0_5tupleIJssEEENS0_10empty_typeEEEZNS1_10merge_implIS3_NS0_12zip_iteratorINS5_IJN6thrust23THRUST_200600_302600_NS6detail15normal_iteratorINSC_10device_ptrIKsEEEESI_EEEEESK_NSA_INS5_IJNSC_16discard_iteratorINSC_11use_defaultEEESN_EEEEEPS7_SQ_SQ_NSC_11hip_rocprim7__merge17predicate_wrapperIssNSC_4lessIsEEEEEE10hipError_tPvRmT0_T1_T2_T3_T4_T5_mmT6_P12ihipStream_tbEUlT_E_NS1_11comp_targetILNS1_3genE10ELNS1_11target_archE1201ELNS1_3gpuE5ELNS1_3repE0EEENS1_30default_config_static_selectorELNS0_4arch9wavefront6targetE0EEEvS11_,@function
_ZN7rocprim17ROCPRIM_400000_NS6detail17trampoline_kernelINS0_14default_configENS1_21merge_config_selectorINS0_5tupleIJssEEENS0_10empty_typeEEEZNS1_10merge_implIS3_NS0_12zip_iteratorINS5_IJN6thrust23THRUST_200600_302600_NS6detail15normal_iteratorINSC_10device_ptrIKsEEEESI_EEEEESK_NSA_INS5_IJNSC_16discard_iteratorINSC_11use_defaultEEESN_EEEEEPS7_SQ_SQ_NSC_11hip_rocprim7__merge17predicate_wrapperIssNSC_4lessIsEEEEEE10hipError_tPvRmT0_T1_T2_T3_T4_T5_mmT6_P12ihipStream_tbEUlT_E_NS1_11comp_targetILNS1_3genE10ELNS1_11target_archE1201ELNS1_3gpuE5ELNS1_3repE0EEENS1_30default_config_static_selectorELNS0_4arch9wavefront6targetE0EEEvS11_: ; @_ZN7rocprim17ROCPRIM_400000_NS6detail17trampoline_kernelINS0_14default_configENS1_21merge_config_selectorINS0_5tupleIJssEEENS0_10empty_typeEEEZNS1_10merge_implIS3_NS0_12zip_iteratorINS5_IJN6thrust23THRUST_200600_302600_NS6detail15normal_iteratorINSC_10device_ptrIKsEEEESI_EEEEESK_NSA_INS5_IJNSC_16discard_iteratorINSC_11use_defaultEEESN_EEEEEPS7_SQ_SQ_NSC_11hip_rocprim7__merge17predicate_wrapperIssNSC_4lessIsEEEEEE10hipError_tPvRmT0_T1_T2_T3_T4_T5_mmT6_P12ihipStream_tbEUlT_E_NS1_11comp_targetILNS1_3genE10ELNS1_11target_archE1201ELNS1_3gpuE5ELNS1_3repE0EEENS1_30default_config_static_selectorELNS0_4arch9wavefront6targetE0EEEvS11_
; %bb.0:
	.section	.rodata,"a",@progbits
	.p2align	6, 0x0
	.amdhsa_kernel _ZN7rocprim17ROCPRIM_400000_NS6detail17trampoline_kernelINS0_14default_configENS1_21merge_config_selectorINS0_5tupleIJssEEENS0_10empty_typeEEEZNS1_10merge_implIS3_NS0_12zip_iteratorINS5_IJN6thrust23THRUST_200600_302600_NS6detail15normal_iteratorINSC_10device_ptrIKsEEEESI_EEEEESK_NSA_INS5_IJNSC_16discard_iteratorINSC_11use_defaultEEESN_EEEEEPS7_SQ_SQ_NSC_11hip_rocprim7__merge17predicate_wrapperIssNSC_4lessIsEEEEEE10hipError_tPvRmT0_T1_T2_T3_T4_T5_mmT6_P12ihipStream_tbEUlT_E_NS1_11comp_targetILNS1_3genE10ELNS1_11target_archE1201ELNS1_3gpuE5ELNS1_3repE0EEENS1_30default_config_static_selectorELNS0_4arch9wavefront6targetE0EEEvS11_
		.amdhsa_group_segment_fixed_size 0
		.amdhsa_private_segment_fixed_size 0
		.amdhsa_kernarg_size 64
		.amdhsa_user_sgpr_count 6
		.amdhsa_user_sgpr_private_segment_buffer 1
		.amdhsa_user_sgpr_dispatch_ptr 0
		.amdhsa_user_sgpr_queue_ptr 0
		.amdhsa_user_sgpr_kernarg_segment_ptr 1
		.amdhsa_user_sgpr_dispatch_id 0
		.amdhsa_user_sgpr_flat_scratch_init 0
		.amdhsa_user_sgpr_private_segment_size 0
		.amdhsa_wavefront_size32 1
		.amdhsa_uses_dynamic_stack 0
		.amdhsa_system_sgpr_private_segment_wavefront_offset 0
		.amdhsa_system_sgpr_workgroup_id_x 1
		.amdhsa_system_sgpr_workgroup_id_y 0
		.amdhsa_system_sgpr_workgroup_id_z 0
		.amdhsa_system_sgpr_workgroup_info 0
		.amdhsa_system_vgpr_workitem_id 0
		.amdhsa_next_free_vgpr 1
		.amdhsa_next_free_sgpr 1
		.amdhsa_reserve_vcc 0
		.amdhsa_reserve_flat_scratch 0
		.amdhsa_float_round_mode_32 0
		.amdhsa_float_round_mode_16_64 0
		.amdhsa_float_denorm_mode_32 3
		.amdhsa_float_denorm_mode_16_64 3
		.amdhsa_dx10_clamp 1
		.amdhsa_ieee_mode 1
		.amdhsa_fp16_overflow 0
		.amdhsa_workgroup_processor_mode 1
		.amdhsa_memory_ordered 1
		.amdhsa_forward_progress 1
		.amdhsa_shared_vgpr_count 0
		.amdhsa_exception_fp_ieee_invalid_op 0
		.amdhsa_exception_fp_denorm_src 0
		.amdhsa_exception_fp_ieee_div_zero 0
		.amdhsa_exception_fp_ieee_overflow 0
		.amdhsa_exception_fp_ieee_underflow 0
		.amdhsa_exception_fp_ieee_inexact 0
		.amdhsa_exception_int_div_zero 0
	.end_amdhsa_kernel
	.section	.text._ZN7rocprim17ROCPRIM_400000_NS6detail17trampoline_kernelINS0_14default_configENS1_21merge_config_selectorINS0_5tupleIJssEEENS0_10empty_typeEEEZNS1_10merge_implIS3_NS0_12zip_iteratorINS5_IJN6thrust23THRUST_200600_302600_NS6detail15normal_iteratorINSC_10device_ptrIKsEEEESI_EEEEESK_NSA_INS5_IJNSC_16discard_iteratorINSC_11use_defaultEEESN_EEEEEPS7_SQ_SQ_NSC_11hip_rocprim7__merge17predicate_wrapperIssNSC_4lessIsEEEEEE10hipError_tPvRmT0_T1_T2_T3_T4_T5_mmT6_P12ihipStream_tbEUlT_E_NS1_11comp_targetILNS1_3genE10ELNS1_11target_archE1201ELNS1_3gpuE5ELNS1_3repE0EEENS1_30default_config_static_selectorELNS0_4arch9wavefront6targetE0EEEvS11_,"axG",@progbits,_ZN7rocprim17ROCPRIM_400000_NS6detail17trampoline_kernelINS0_14default_configENS1_21merge_config_selectorINS0_5tupleIJssEEENS0_10empty_typeEEEZNS1_10merge_implIS3_NS0_12zip_iteratorINS5_IJN6thrust23THRUST_200600_302600_NS6detail15normal_iteratorINSC_10device_ptrIKsEEEESI_EEEEESK_NSA_INS5_IJNSC_16discard_iteratorINSC_11use_defaultEEESN_EEEEEPS7_SQ_SQ_NSC_11hip_rocprim7__merge17predicate_wrapperIssNSC_4lessIsEEEEEE10hipError_tPvRmT0_T1_T2_T3_T4_T5_mmT6_P12ihipStream_tbEUlT_E_NS1_11comp_targetILNS1_3genE10ELNS1_11target_archE1201ELNS1_3gpuE5ELNS1_3repE0EEENS1_30default_config_static_selectorELNS0_4arch9wavefront6targetE0EEEvS11_,comdat
.Lfunc_end610:
	.size	_ZN7rocprim17ROCPRIM_400000_NS6detail17trampoline_kernelINS0_14default_configENS1_21merge_config_selectorINS0_5tupleIJssEEENS0_10empty_typeEEEZNS1_10merge_implIS3_NS0_12zip_iteratorINS5_IJN6thrust23THRUST_200600_302600_NS6detail15normal_iteratorINSC_10device_ptrIKsEEEESI_EEEEESK_NSA_INS5_IJNSC_16discard_iteratorINSC_11use_defaultEEESN_EEEEEPS7_SQ_SQ_NSC_11hip_rocprim7__merge17predicate_wrapperIssNSC_4lessIsEEEEEE10hipError_tPvRmT0_T1_T2_T3_T4_T5_mmT6_P12ihipStream_tbEUlT_E_NS1_11comp_targetILNS1_3genE10ELNS1_11target_archE1201ELNS1_3gpuE5ELNS1_3repE0EEENS1_30default_config_static_selectorELNS0_4arch9wavefront6targetE0EEEvS11_, .Lfunc_end610-_ZN7rocprim17ROCPRIM_400000_NS6detail17trampoline_kernelINS0_14default_configENS1_21merge_config_selectorINS0_5tupleIJssEEENS0_10empty_typeEEEZNS1_10merge_implIS3_NS0_12zip_iteratorINS5_IJN6thrust23THRUST_200600_302600_NS6detail15normal_iteratorINSC_10device_ptrIKsEEEESI_EEEEESK_NSA_INS5_IJNSC_16discard_iteratorINSC_11use_defaultEEESN_EEEEEPS7_SQ_SQ_NSC_11hip_rocprim7__merge17predicate_wrapperIssNSC_4lessIsEEEEEE10hipError_tPvRmT0_T1_T2_T3_T4_T5_mmT6_P12ihipStream_tbEUlT_E_NS1_11comp_targetILNS1_3genE10ELNS1_11target_archE1201ELNS1_3gpuE5ELNS1_3repE0EEENS1_30default_config_static_selectorELNS0_4arch9wavefront6targetE0EEEvS11_
                                        ; -- End function
	.set _ZN7rocprim17ROCPRIM_400000_NS6detail17trampoline_kernelINS0_14default_configENS1_21merge_config_selectorINS0_5tupleIJssEEENS0_10empty_typeEEEZNS1_10merge_implIS3_NS0_12zip_iteratorINS5_IJN6thrust23THRUST_200600_302600_NS6detail15normal_iteratorINSC_10device_ptrIKsEEEESI_EEEEESK_NSA_INS5_IJNSC_16discard_iteratorINSC_11use_defaultEEESN_EEEEEPS7_SQ_SQ_NSC_11hip_rocprim7__merge17predicate_wrapperIssNSC_4lessIsEEEEEE10hipError_tPvRmT0_T1_T2_T3_T4_T5_mmT6_P12ihipStream_tbEUlT_E_NS1_11comp_targetILNS1_3genE10ELNS1_11target_archE1201ELNS1_3gpuE5ELNS1_3repE0EEENS1_30default_config_static_selectorELNS0_4arch9wavefront6targetE0EEEvS11_.num_vgpr, 0
	.set _ZN7rocprim17ROCPRIM_400000_NS6detail17trampoline_kernelINS0_14default_configENS1_21merge_config_selectorINS0_5tupleIJssEEENS0_10empty_typeEEEZNS1_10merge_implIS3_NS0_12zip_iteratorINS5_IJN6thrust23THRUST_200600_302600_NS6detail15normal_iteratorINSC_10device_ptrIKsEEEESI_EEEEESK_NSA_INS5_IJNSC_16discard_iteratorINSC_11use_defaultEEESN_EEEEEPS7_SQ_SQ_NSC_11hip_rocprim7__merge17predicate_wrapperIssNSC_4lessIsEEEEEE10hipError_tPvRmT0_T1_T2_T3_T4_T5_mmT6_P12ihipStream_tbEUlT_E_NS1_11comp_targetILNS1_3genE10ELNS1_11target_archE1201ELNS1_3gpuE5ELNS1_3repE0EEENS1_30default_config_static_selectorELNS0_4arch9wavefront6targetE0EEEvS11_.num_agpr, 0
	.set _ZN7rocprim17ROCPRIM_400000_NS6detail17trampoline_kernelINS0_14default_configENS1_21merge_config_selectorINS0_5tupleIJssEEENS0_10empty_typeEEEZNS1_10merge_implIS3_NS0_12zip_iteratorINS5_IJN6thrust23THRUST_200600_302600_NS6detail15normal_iteratorINSC_10device_ptrIKsEEEESI_EEEEESK_NSA_INS5_IJNSC_16discard_iteratorINSC_11use_defaultEEESN_EEEEEPS7_SQ_SQ_NSC_11hip_rocprim7__merge17predicate_wrapperIssNSC_4lessIsEEEEEE10hipError_tPvRmT0_T1_T2_T3_T4_T5_mmT6_P12ihipStream_tbEUlT_E_NS1_11comp_targetILNS1_3genE10ELNS1_11target_archE1201ELNS1_3gpuE5ELNS1_3repE0EEENS1_30default_config_static_selectorELNS0_4arch9wavefront6targetE0EEEvS11_.numbered_sgpr, 0
	.set _ZN7rocprim17ROCPRIM_400000_NS6detail17trampoline_kernelINS0_14default_configENS1_21merge_config_selectorINS0_5tupleIJssEEENS0_10empty_typeEEEZNS1_10merge_implIS3_NS0_12zip_iteratorINS5_IJN6thrust23THRUST_200600_302600_NS6detail15normal_iteratorINSC_10device_ptrIKsEEEESI_EEEEESK_NSA_INS5_IJNSC_16discard_iteratorINSC_11use_defaultEEESN_EEEEEPS7_SQ_SQ_NSC_11hip_rocprim7__merge17predicate_wrapperIssNSC_4lessIsEEEEEE10hipError_tPvRmT0_T1_T2_T3_T4_T5_mmT6_P12ihipStream_tbEUlT_E_NS1_11comp_targetILNS1_3genE10ELNS1_11target_archE1201ELNS1_3gpuE5ELNS1_3repE0EEENS1_30default_config_static_selectorELNS0_4arch9wavefront6targetE0EEEvS11_.num_named_barrier, 0
	.set _ZN7rocprim17ROCPRIM_400000_NS6detail17trampoline_kernelINS0_14default_configENS1_21merge_config_selectorINS0_5tupleIJssEEENS0_10empty_typeEEEZNS1_10merge_implIS3_NS0_12zip_iteratorINS5_IJN6thrust23THRUST_200600_302600_NS6detail15normal_iteratorINSC_10device_ptrIKsEEEESI_EEEEESK_NSA_INS5_IJNSC_16discard_iteratorINSC_11use_defaultEEESN_EEEEEPS7_SQ_SQ_NSC_11hip_rocprim7__merge17predicate_wrapperIssNSC_4lessIsEEEEEE10hipError_tPvRmT0_T1_T2_T3_T4_T5_mmT6_P12ihipStream_tbEUlT_E_NS1_11comp_targetILNS1_3genE10ELNS1_11target_archE1201ELNS1_3gpuE5ELNS1_3repE0EEENS1_30default_config_static_selectorELNS0_4arch9wavefront6targetE0EEEvS11_.private_seg_size, 0
	.set _ZN7rocprim17ROCPRIM_400000_NS6detail17trampoline_kernelINS0_14default_configENS1_21merge_config_selectorINS0_5tupleIJssEEENS0_10empty_typeEEEZNS1_10merge_implIS3_NS0_12zip_iteratorINS5_IJN6thrust23THRUST_200600_302600_NS6detail15normal_iteratorINSC_10device_ptrIKsEEEESI_EEEEESK_NSA_INS5_IJNSC_16discard_iteratorINSC_11use_defaultEEESN_EEEEEPS7_SQ_SQ_NSC_11hip_rocprim7__merge17predicate_wrapperIssNSC_4lessIsEEEEEE10hipError_tPvRmT0_T1_T2_T3_T4_T5_mmT6_P12ihipStream_tbEUlT_E_NS1_11comp_targetILNS1_3genE10ELNS1_11target_archE1201ELNS1_3gpuE5ELNS1_3repE0EEENS1_30default_config_static_selectorELNS0_4arch9wavefront6targetE0EEEvS11_.uses_vcc, 0
	.set _ZN7rocprim17ROCPRIM_400000_NS6detail17trampoline_kernelINS0_14default_configENS1_21merge_config_selectorINS0_5tupleIJssEEENS0_10empty_typeEEEZNS1_10merge_implIS3_NS0_12zip_iteratorINS5_IJN6thrust23THRUST_200600_302600_NS6detail15normal_iteratorINSC_10device_ptrIKsEEEESI_EEEEESK_NSA_INS5_IJNSC_16discard_iteratorINSC_11use_defaultEEESN_EEEEEPS7_SQ_SQ_NSC_11hip_rocprim7__merge17predicate_wrapperIssNSC_4lessIsEEEEEE10hipError_tPvRmT0_T1_T2_T3_T4_T5_mmT6_P12ihipStream_tbEUlT_E_NS1_11comp_targetILNS1_3genE10ELNS1_11target_archE1201ELNS1_3gpuE5ELNS1_3repE0EEENS1_30default_config_static_selectorELNS0_4arch9wavefront6targetE0EEEvS11_.uses_flat_scratch, 0
	.set _ZN7rocprim17ROCPRIM_400000_NS6detail17trampoline_kernelINS0_14default_configENS1_21merge_config_selectorINS0_5tupleIJssEEENS0_10empty_typeEEEZNS1_10merge_implIS3_NS0_12zip_iteratorINS5_IJN6thrust23THRUST_200600_302600_NS6detail15normal_iteratorINSC_10device_ptrIKsEEEESI_EEEEESK_NSA_INS5_IJNSC_16discard_iteratorINSC_11use_defaultEEESN_EEEEEPS7_SQ_SQ_NSC_11hip_rocprim7__merge17predicate_wrapperIssNSC_4lessIsEEEEEE10hipError_tPvRmT0_T1_T2_T3_T4_T5_mmT6_P12ihipStream_tbEUlT_E_NS1_11comp_targetILNS1_3genE10ELNS1_11target_archE1201ELNS1_3gpuE5ELNS1_3repE0EEENS1_30default_config_static_selectorELNS0_4arch9wavefront6targetE0EEEvS11_.has_dyn_sized_stack, 0
	.set _ZN7rocprim17ROCPRIM_400000_NS6detail17trampoline_kernelINS0_14default_configENS1_21merge_config_selectorINS0_5tupleIJssEEENS0_10empty_typeEEEZNS1_10merge_implIS3_NS0_12zip_iteratorINS5_IJN6thrust23THRUST_200600_302600_NS6detail15normal_iteratorINSC_10device_ptrIKsEEEESI_EEEEESK_NSA_INS5_IJNSC_16discard_iteratorINSC_11use_defaultEEESN_EEEEEPS7_SQ_SQ_NSC_11hip_rocprim7__merge17predicate_wrapperIssNSC_4lessIsEEEEEE10hipError_tPvRmT0_T1_T2_T3_T4_T5_mmT6_P12ihipStream_tbEUlT_E_NS1_11comp_targetILNS1_3genE10ELNS1_11target_archE1201ELNS1_3gpuE5ELNS1_3repE0EEENS1_30default_config_static_selectorELNS0_4arch9wavefront6targetE0EEEvS11_.has_recursion, 0
	.set _ZN7rocprim17ROCPRIM_400000_NS6detail17trampoline_kernelINS0_14default_configENS1_21merge_config_selectorINS0_5tupleIJssEEENS0_10empty_typeEEEZNS1_10merge_implIS3_NS0_12zip_iteratorINS5_IJN6thrust23THRUST_200600_302600_NS6detail15normal_iteratorINSC_10device_ptrIKsEEEESI_EEEEESK_NSA_INS5_IJNSC_16discard_iteratorINSC_11use_defaultEEESN_EEEEEPS7_SQ_SQ_NSC_11hip_rocprim7__merge17predicate_wrapperIssNSC_4lessIsEEEEEE10hipError_tPvRmT0_T1_T2_T3_T4_T5_mmT6_P12ihipStream_tbEUlT_E_NS1_11comp_targetILNS1_3genE10ELNS1_11target_archE1201ELNS1_3gpuE5ELNS1_3repE0EEENS1_30default_config_static_selectorELNS0_4arch9wavefront6targetE0EEEvS11_.has_indirect_call, 0
	.section	.AMDGPU.csdata,"",@progbits
; Kernel info:
; codeLenInByte = 0
; TotalNumSgprs: 0
; NumVgprs: 0
; ScratchSize: 0
; MemoryBound: 0
; FloatMode: 240
; IeeeMode: 1
; LDSByteSize: 0 bytes/workgroup (compile time only)
; SGPRBlocks: 0
; VGPRBlocks: 0
; NumSGPRsForWavesPerEU: 1
; NumVGPRsForWavesPerEU: 1
; Occupancy: 16
; WaveLimiterHint : 0
; COMPUTE_PGM_RSRC2:SCRATCH_EN: 0
; COMPUTE_PGM_RSRC2:USER_SGPR: 6
; COMPUTE_PGM_RSRC2:TRAP_HANDLER: 0
; COMPUTE_PGM_RSRC2:TGID_X_EN: 1
; COMPUTE_PGM_RSRC2:TGID_Y_EN: 0
; COMPUTE_PGM_RSRC2:TGID_Z_EN: 0
; COMPUTE_PGM_RSRC2:TIDIG_COMP_CNT: 0
	.section	.text._ZN7rocprim17ROCPRIM_400000_NS6detail17trampoline_kernelINS0_14default_configENS1_21merge_config_selectorINS0_5tupleIJssEEENS0_10empty_typeEEEZNS1_10merge_implIS3_NS0_12zip_iteratorINS5_IJN6thrust23THRUST_200600_302600_NS6detail15normal_iteratorINSC_10device_ptrIKsEEEESI_EEEEESK_NSA_INS5_IJNSC_16discard_iteratorINSC_11use_defaultEEESN_EEEEEPS7_SQ_SQ_NSC_11hip_rocprim7__merge17predicate_wrapperIssNSC_4lessIsEEEEEE10hipError_tPvRmT0_T1_T2_T3_T4_T5_mmT6_P12ihipStream_tbEUlT_E_NS1_11comp_targetILNS1_3genE10ELNS1_11target_archE1200ELNS1_3gpuE4ELNS1_3repE0EEENS1_30default_config_static_selectorELNS0_4arch9wavefront6targetE0EEEvS11_,"axG",@progbits,_ZN7rocprim17ROCPRIM_400000_NS6detail17trampoline_kernelINS0_14default_configENS1_21merge_config_selectorINS0_5tupleIJssEEENS0_10empty_typeEEEZNS1_10merge_implIS3_NS0_12zip_iteratorINS5_IJN6thrust23THRUST_200600_302600_NS6detail15normal_iteratorINSC_10device_ptrIKsEEEESI_EEEEESK_NSA_INS5_IJNSC_16discard_iteratorINSC_11use_defaultEEESN_EEEEEPS7_SQ_SQ_NSC_11hip_rocprim7__merge17predicate_wrapperIssNSC_4lessIsEEEEEE10hipError_tPvRmT0_T1_T2_T3_T4_T5_mmT6_P12ihipStream_tbEUlT_E_NS1_11comp_targetILNS1_3genE10ELNS1_11target_archE1200ELNS1_3gpuE4ELNS1_3repE0EEENS1_30default_config_static_selectorELNS0_4arch9wavefront6targetE0EEEvS11_,comdat
	.protected	_ZN7rocprim17ROCPRIM_400000_NS6detail17trampoline_kernelINS0_14default_configENS1_21merge_config_selectorINS0_5tupleIJssEEENS0_10empty_typeEEEZNS1_10merge_implIS3_NS0_12zip_iteratorINS5_IJN6thrust23THRUST_200600_302600_NS6detail15normal_iteratorINSC_10device_ptrIKsEEEESI_EEEEESK_NSA_INS5_IJNSC_16discard_iteratorINSC_11use_defaultEEESN_EEEEEPS7_SQ_SQ_NSC_11hip_rocprim7__merge17predicate_wrapperIssNSC_4lessIsEEEEEE10hipError_tPvRmT0_T1_T2_T3_T4_T5_mmT6_P12ihipStream_tbEUlT_E_NS1_11comp_targetILNS1_3genE10ELNS1_11target_archE1200ELNS1_3gpuE4ELNS1_3repE0EEENS1_30default_config_static_selectorELNS0_4arch9wavefront6targetE0EEEvS11_ ; -- Begin function _ZN7rocprim17ROCPRIM_400000_NS6detail17trampoline_kernelINS0_14default_configENS1_21merge_config_selectorINS0_5tupleIJssEEENS0_10empty_typeEEEZNS1_10merge_implIS3_NS0_12zip_iteratorINS5_IJN6thrust23THRUST_200600_302600_NS6detail15normal_iteratorINSC_10device_ptrIKsEEEESI_EEEEESK_NSA_INS5_IJNSC_16discard_iteratorINSC_11use_defaultEEESN_EEEEEPS7_SQ_SQ_NSC_11hip_rocprim7__merge17predicate_wrapperIssNSC_4lessIsEEEEEE10hipError_tPvRmT0_T1_T2_T3_T4_T5_mmT6_P12ihipStream_tbEUlT_E_NS1_11comp_targetILNS1_3genE10ELNS1_11target_archE1200ELNS1_3gpuE4ELNS1_3repE0EEENS1_30default_config_static_selectorELNS0_4arch9wavefront6targetE0EEEvS11_
	.globl	_ZN7rocprim17ROCPRIM_400000_NS6detail17trampoline_kernelINS0_14default_configENS1_21merge_config_selectorINS0_5tupleIJssEEENS0_10empty_typeEEEZNS1_10merge_implIS3_NS0_12zip_iteratorINS5_IJN6thrust23THRUST_200600_302600_NS6detail15normal_iteratorINSC_10device_ptrIKsEEEESI_EEEEESK_NSA_INS5_IJNSC_16discard_iteratorINSC_11use_defaultEEESN_EEEEEPS7_SQ_SQ_NSC_11hip_rocprim7__merge17predicate_wrapperIssNSC_4lessIsEEEEEE10hipError_tPvRmT0_T1_T2_T3_T4_T5_mmT6_P12ihipStream_tbEUlT_E_NS1_11comp_targetILNS1_3genE10ELNS1_11target_archE1200ELNS1_3gpuE4ELNS1_3repE0EEENS1_30default_config_static_selectorELNS0_4arch9wavefront6targetE0EEEvS11_
	.p2align	8
	.type	_ZN7rocprim17ROCPRIM_400000_NS6detail17trampoline_kernelINS0_14default_configENS1_21merge_config_selectorINS0_5tupleIJssEEENS0_10empty_typeEEEZNS1_10merge_implIS3_NS0_12zip_iteratorINS5_IJN6thrust23THRUST_200600_302600_NS6detail15normal_iteratorINSC_10device_ptrIKsEEEESI_EEEEESK_NSA_INS5_IJNSC_16discard_iteratorINSC_11use_defaultEEESN_EEEEEPS7_SQ_SQ_NSC_11hip_rocprim7__merge17predicate_wrapperIssNSC_4lessIsEEEEEE10hipError_tPvRmT0_T1_T2_T3_T4_T5_mmT6_P12ihipStream_tbEUlT_E_NS1_11comp_targetILNS1_3genE10ELNS1_11target_archE1200ELNS1_3gpuE4ELNS1_3repE0EEENS1_30default_config_static_selectorELNS0_4arch9wavefront6targetE0EEEvS11_,@function
_ZN7rocprim17ROCPRIM_400000_NS6detail17trampoline_kernelINS0_14default_configENS1_21merge_config_selectorINS0_5tupleIJssEEENS0_10empty_typeEEEZNS1_10merge_implIS3_NS0_12zip_iteratorINS5_IJN6thrust23THRUST_200600_302600_NS6detail15normal_iteratorINSC_10device_ptrIKsEEEESI_EEEEESK_NSA_INS5_IJNSC_16discard_iteratorINSC_11use_defaultEEESN_EEEEEPS7_SQ_SQ_NSC_11hip_rocprim7__merge17predicate_wrapperIssNSC_4lessIsEEEEEE10hipError_tPvRmT0_T1_T2_T3_T4_T5_mmT6_P12ihipStream_tbEUlT_E_NS1_11comp_targetILNS1_3genE10ELNS1_11target_archE1200ELNS1_3gpuE4ELNS1_3repE0EEENS1_30default_config_static_selectorELNS0_4arch9wavefront6targetE0EEEvS11_: ; @_ZN7rocprim17ROCPRIM_400000_NS6detail17trampoline_kernelINS0_14default_configENS1_21merge_config_selectorINS0_5tupleIJssEEENS0_10empty_typeEEEZNS1_10merge_implIS3_NS0_12zip_iteratorINS5_IJN6thrust23THRUST_200600_302600_NS6detail15normal_iteratorINSC_10device_ptrIKsEEEESI_EEEEESK_NSA_INS5_IJNSC_16discard_iteratorINSC_11use_defaultEEESN_EEEEEPS7_SQ_SQ_NSC_11hip_rocprim7__merge17predicate_wrapperIssNSC_4lessIsEEEEEE10hipError_tPvRmT0_T1_T2_T3_T4_T5_mmT6_P12ihipStream_tbEUlT_E_NS1_11comp_targetILNS1_3genE10ELNS1_11target_archE1200ELNS1_3gpuE4ELNS1_3repE0EEENS1_30default_config_static_selectorELNS0_4arch9wavefront6targetE0EEEvS11_
; %bb.0:
	.section	.rodata,"a",@progbits
	.p2align	6, 0x0
	.amdhsa_kernel _ZN7rocprim17ROCPRIM_400000_NS6detail17trampoline_kernelINS0_14default_configENS1_21merge_config_selectorINS0_5tupleIJssEEENS0_10empty_typeEEEZNS1_10merge_implIS3_NS0_12zip_iteratorINS5_IJN6thrust23THRUST_200600_302600_NS6detail15normal_iteratorINSC_10device_ptrIKsEEEESI_EEEEESK_NSA_INS5_IJNSC_16discard_iteratorINSC_11use_defaultEEESN_EEEEEPS7_SQ_SQ_NSC_11hip_rocprim7__merge17predicate_wrapperIssNSC_4lessIsEEEEEE10hipError_tPvRmT0_T1_T2_T3_T4_T5_mmT6_P12ihipStream_tbEUlT_E_NS1_11comp_targetILNS1_3genE10ELNS1_11target_archE1200ELNS1_3gpuE4ELNS1_3repE0EEENS1_30default_config_static_selectorELNS0_4arch9wavefront6targetE0EEEvS11_
		.amdhsa_group_segment_fixed_size 0
		.amdhsa_private_segment_fixed_size 0
		.amdhsa_kernarg_size 64
		.amdhsa_user_sgpr_count 6
		.amdhsa_user_sgpr_private_segment_buffer 1
		.amdhsa_user_sgpr_dispatch_ptr 0
		.amdhsa_user_sgpr_queue_ptr 0
		.amdhsa_user_sgpr_kernarg_segment_ptr 1
		.amdhsa_user_sgpr_dispatch_id 0
		.amdhsa_user_sgpr_flat_scratch_init 0
		.amdhsa_user_sgpr_private_segment_size 0
		.amdhsa_wavefront_size32 1
		.amdhsa_uses_dynamic_stack 0
		.amdhsa_system_sgpr_private_segment_wavefront_offset 0
		.amdhsa_system_sgpr_workgroup_id_x 1
		.amdhsa_system_sgpr_workgroup_id_y 0
		.amdhsa_system_sgpr_workgroup_id_z 0
		.amdhsa_system_sgpr_workgroup_info 0
		.amdhsa_system_vgpr_workitem_id 0
		.amdhsa_next_free_vgpr 1
		.amdhsa_next_free_sgpr 1
		.amdhsa_reserve_vcc 0
		.amdhsa_reserve_flat_scratch 0
		.amdhsa_float_round_mode_32 0
		.amdhsa_float_round_mode_16_64 0
		.amdhsa_float_denorm_mode_32 3
		.amdhsa_float_denorm_mode_16_64 3
		.amdhsa_dx10_clamp 1
		.amdhsa_ieee_mode 1
		.amdhsa_fp16_overflow 0
		.amdhsa_workgroup_processor_mode 1
		.amdhsa_memory_ordered 1
		.amdhsa_forward_progress 1
		.amdhsa_shared_vgpr_count 0
		.amdhsa_exception_fp_ieee_invalid_op 0
		.amdhsa_exception_fp_denorm_src 0
		.amdhsa_exception_fp_ieee_div_zero 0
		.amdhsa_exception_fp_ieee_overflow 0
		.amdhsa_exception_fp_ieee_underflow 0
		.amdhsa_exception_fp_ieee_inexact 0
		.amdhsa_exception_int_div_zero 0
	.end_amdhsa_kernel
	.section	.text._ZN7rocprim17ROCPRIM_400000_NS6detail17trampoline_kernelINS0_14default_configENS1_21merge_config_selectorINS0_5tupleIJssEEENS0_10empty_typeEEEZNS1_10merge_implIS3_NS0_12zip_iteratorINS5_IJN6thrust23THRUST_200600_302600_NS6detail15normal_iteratorINSC_10device_ptrIKsEEEESI_EEEEESK_NSA_INS5_IJNSC_16discard_iteratorINSC_11use_defaultEEESN_EEEEEPS7_SQ_SQ_NSC_11hip_rocprim7__merge17predicate_wrapperIssNSC_4lessIsEEEEEE10hipError_tPvRmT0_T1_T2_T3_T4_T5_mmT6_P12ihipStream_tbEUlT_E_NS1_11comp_targetILNS1_3genE10ELNS1_11target_archE1200ELNS1_3gpuE4ELNS1_3repE0EEENS1_30default_config_static_selectorELNS0_4arch9wavefront6targetE0EEEvS11_,"axG",@progbits,_ZN7rocprim17ROCPRIM_400000_NS6detail17trampoline_kernelINS0_14default_configENS1_21merge_config_selectorINS0_5tupleIJssEEENS0_10empty_typeEEEZNS1_10merge_implIS3_NS0_12zip_iteratorINS5_IJN6thrust23THRUST_200600_302600_NS6detail15normal_iteratorINSC_10device_ptrIKsEEEESI_EEEEESK_NSA_INS5_IJNSC_16discard_iteratorINSC_11use_defaultEEESN_EEEEEPS7_SQ_SQ_NSC_11hip_rocprim7__merge17predicate_wrapperIssNSC_4lessIsEEEEEE10hipError_tPvRmT0_T1_T2_T3_T4_T5_mmT6_P12ihipStream_tbEUlT_E_NS1_11comp_targetILNS1_3genE10ELNS1_11target_archE1200ELNS1_3gpuE4ELNS1_3repE0EEENS1_30default_config_static_selectorELNS0_4arch9wavefront6targetE0EEEvS11_,comdat
.Lfunc_end611:
	.size	_ZN7rocprim17ROCPRIM_400000_NS6detail17trampoline_kernelINS0_14default_configENS1_21merge_config_selectorINS0_5tupleIJssEEENS0_10empty_typeEEEZNS1_10merge_implIS3_NS0_12zip_iteratorINS5_IJN6thrust23THRUST_200600_302600_NS6detail15normal_iteratorINSC_10device_ptrIKsEEEESI_EEEEESK_NSA_INS5_IJNSC_16discard_iteratorINSC_11use_defaultEEESN_EEEEEPS7_SQ_SQ_NSC_11hip_rocprim7__merge17predicate_wrapperIssNSC_4lessIsEEEEEE10hipError_tPvRmT0_T1_T2_T3_T4_T5_mmT6_P12ihipStream_tbEUlT_E_NS1_11comp_targetILNS1_3genE10ELNS1_11target_archE1200ELNS1_3gpuE4ELNS1_3repE0EEENS1_30default_config_static_selectorELNS0_4arch9wavefront6targetE0EEEvS11_, .Lfunc_end611-_ZN7rocprim17ROCPRIM_400000_NS6detail17trampoline_kernelINS0_14default_configENS1_21merge_config_selectorINS0_5tupleIJssEEENS0_10empty_typeEEEZNS1_10merge_implIS3_NS0_12zip_iteratorINS5_IJN6thrust23THRUST_200600_302600_NS6detail15normal_iteratorINSC_10device_ptrIKsEEEESI_EEEEESK_NSA_INS5_IJNSC_16discard_iteratorINSC_11use_defaultEEESN_EEEEEPS7_SQ_SQ_NSC_11hip_rocprim7__merge17predicate_wrapperIssNSC_4lessIsEEEEEE10hipError_tPvRmT0_T1_T2_T3_T4_T5_mmT6_P12ihipStream_tbEUlT_E_NS1_11comp_targetILNS1_3genE10ELNS1_11target_archE1200ELNS1_3gpuE4ELNS1_3repE0EEENS1_30default_config_static_selectorELNS0_4arch9wavefront6targetE0EEEvS11_
                                        ; -- End function
	.set _ZN7rocprim17ROCPRIM_400000_NS6detail17trampoline_kernelINS0_14default_configENS1_21merge_config_selectorINS0_5tupleIJssEEENS0_10empty_typeEEEZNS1_10merge_implIS3_NS0_12zip_iteratorINS5_IJN6thrust23THRUST_200600_302600_NS6detail15normal_iteratorINSC_10device_ptrIKsEEEESI_EEEEESK_NSA_INS5_IJNSC_16discard_iteratorINSC_11use_defaultEEESN_EEEEEPS7_SQ_SQ_NSC_11hip_rocprim7__merge17predicate_wrapperIssNSC_4lessIsEEEEEE10hipError_tPvRmT0_T1_T2_T3_T4_T5_mmT6_P12ihipStream_tbEUlT_E_NS1_11comp_targetILNS1_3genE10ELNS1_11target_archE1200ELNS1_3gpuE4ELNS1_3repE0EEENS1_30default_config_static_selectorELNS0_4arch9wavefront6targetE0EEEvS11_.num_vgpr, 0
	.set _ZN7rocprim17ROCPRIM_400000_NS6detail17trampoline_kernelINS0_14default_configENS1_21merge_config_selectorINS0_5tupleIJssEEENS0_10empty_typeEEEZNS1_10merge_implIS3_NS0_12zip_iteratorINS5_IJN6thrust23THRUST_200600_302600_NS6detail15normal_iteratorINSC_10device_ptrIKsEEEESI_EEEEESK_NSA_INS5_IJNSC_16discard_iteratorINSC_11use_defaultEEESN_EEEEEPS7_SQ_SQ_NSC_11hip_rocprim7__merge17predicate_wrapperIssNSC_4lessIsEEEEEE10hipError_tPvRmT0_T1_T2_T3_T4_T5_mmT6_P12ihipStream_tbEUlT_E_NS1_11comp_targetILNS1_3genE10ELNS1_11target_archE1200ELNS1_3gpuE4ELNS1_3repE0EEENS1_30default_config_static_selectorELNS0_4arch9wavefront6targetE0EEEvS11_.num_agpr, 0
	.set _ZN7rocprim17ROCPRIM_400000_NS6detail17trampoline_kernelINS0_14default_configENS1_21merge_config_selectorINS0_5tupleIJssEEENS0_10empty_typeEEEZNS1_10merge_implIS3_NS0_12zip_iteratorINS5_IJN6thrust23THRUST_200600_302600_NS6detail15normal_iteratorINSC_10device_ptrIKsEEEESI_EEEEESK_NSA_INS5_IJNSC_16discard_iteratorINSC_11use_defaultEEESN_EEEEEPS7_SQ_SQ_NSC_11hip_rocprim7__merge17predicate_wrapperIssNSC_4lessIsEEEEEE10hipError_tPvRmT0_T1_T2_T3_T4_T5_mmT6_P12ihipStream_tbEUlT_E_NS1_11comp_targetILNS1_3genE10ELNS1_11target_archE1200ELNS1_3gpuE4ELNS1_3repE0EEENS1_30default_config_static_selectorELNS0_4arch9wavefront6targetE0EEEvS11_.numbered_sgpr, 0
	.set _ZN7rocprim17ROCPRIM_400000_NS6detail17trampoline_kernelINS0_14default_configENS1_21merge_config_selectorINS0_5tupleIJssEEENS0_10empty_typeEEEZNS1_10merge_implIS3_NS0_12zip_iteratorINS5_IJN6thrust23THRUST_200600_302600_NS6detail15normal_iteratorINSC_10device_ptrIKsEEEESI_EEEEESK_NSA_INS5_IJNSC_16discard_iteratorINSC_11use_defaultEEESN_EEEEEPS7_SQ_SQ_NSC_11hip_rocprim7__merge17predicate_wrapperIssNSC_4lessIsEEEEEE10hipError_tPvRmT0_T1_T2_T3_T4_T5_mmT6_P12ihipStream_tbEUlT_E_NS1_11comp_targetILNS1_3genE10ELNS1_11target_archE1200ELNS1_3gpuE4ELNS1_3repE0EEENS1_30default_config_static_selectorELNS0_4arch9wavefront6targetE0EEEvS11_.num_named_barrier, 0
	.set _ZN7rocprim17ROCPRIM_400000_NS6detail17trampoline_kernelINS0_14default_configENS1_21merge_config_selectorINS0_5tupleIJssEEENS0_10empty_typeEEEZNS1_10merge_implIS3_NS0_12zip_iteratorINS5_IJN6thrust23THRUST_200600_302600_NS6detail15normal_iteratorINSC_10device_ptrIKsEEEESI_EEEEESK_NSA_INS5_IJNSC_16discard_iteratorINSC_11use_defaultEEESN_EEEEEPS7_SQ_SQ_NSC_11hip_rocprim7__merge17predicate_wrapperIssNSC_4lessIsEEEEEE10hipError_tPvRmT0_T1_T2_T3_T4_T5_mmT6_P12ihipStream_tbEUlT_E_NS1_11comp_targetILNS1_3genE10ELNS1_11target_archE1200ELNS1_3gpuE4ELNS1_3repE0EEENS1_30default_config_static_selectorELNS0_4arch9wavefront6targetE0EEEvS11_.private_seg_size, 0
	.set _ZN7rocprim17ROCPRIM_400000_NS6detail17trampoline_kernelINS0_14default_configENS1_21merge_config_selectorINS0_5tupleIJssEEENS0_10empty_typeEEEZNS1_10merge_implIS3_NS0_12zip_iteratorINS5_IJN6thrust23THRUST_200600_302600_NS6detail15normal_iteratorINSC_10device_ptrIKsEEEESI_EEEEESK_NSA_INS5_IJNSC_16discard_iteratorINSC_11use_defaultEEESN_EEEEEPS7_SQ_SQ_NSC_11hip_rocprim7__merge17predicate_wrapperIssNSC_4lessIsEEEEEE10hipError_tPvRmT0_T1_T2_T3_T4_T5_mmT6_P12ihipStream_tbEUlT_E_NS1_11comp_targetILNS1_3genE10ELNS1_11target_archE1200ELNS1_3gpuE4ELNS1_3repE0EEENS1_30default_config_static_selectorELNS0_4arch9wavefront6targetE0EEEvS11_.uses_vcc, 0
	.set _ZN7rocprim17ROCPRIM_400000_NS6detail17trampoline_kernelINS0_14default_configENS1_21merge_config_selectorINS0_5tupleIJssEEENS0_10empty_typeEEEZNS1_10merge_implIS3_NS0_12zip_iteratorINS5_IJN6thrust23THRUST_200600_302600_NS6detail15normal_iteratorINSC_10device_ptrIKsEEEESI_EEEEESK_NSA_INS5_IJNSC_16discard_iteratorINSC_11use_defaultEEESN_EEEEEPS7_SQ_SQ_NSC_11hip_rocprim7__merge17predicate_wrapperIssNSC_4lessIsEEEEEE10hipError_tPvRmT0_T1_T2_T3_T4_T5_mmT6_P12ihipStream_tbEUlT_E_NS1_11comp_targetILNS1_3genE10ELNS1_11target_archE1200ELNS1_3gpuE4ELNS1_3repE0EEENS1_30default_config_static_selectorELNS0_4arch9wavefront6targetE0EEEvS11_.uses_flat_scratch, 0
	.set _ZN7rocprim17ROCPRIM_400000_NS6detail17trampoline_kernelINS0_14default_configENS1_21merge_config_selectorINS0_5tupleIJssEEENS0_10empty_typeEEEZNS1_10merge_implIS3_NS0_12zip_iteratorINS5_IJN6thrust23THRUST_200600_302600_NS6detail15normal_iteratorINSC_10device_ptrIKsEEEESI_EEEEESK_NSA_INS5_IJNSC_16discard_iteratorINSC_11use_defaultEEESN_EEEEEPS7_SQ_SQ_NSC_11hip_rocprim7__merge17predicate_wrapperIssNSC_4lessIsEEEEEE10hipError_tPvRmT0_T1_T2_T3_T4_T5_mmT6_P12ihipStream_tbEUlT_E_NS1_11comp_targetILNS1_3genE10ELNS1_11target_archE1200ELNS1_3gpuE4ELNS1_3repE0EEENS1_30default_config_static_selectorELNS0_4arch9wavefront6targetE0EEEvS11_.has_dyn_sized_stack, 0
	.set _ZN7rocprim17ROCPRIM_400000_NS6detail17trampoline_kernelINS0_14default_configENS1_21merge_config_selectorINS0_5tupleIJssEEENS0_10empty_typeEEEZNS1_10merge_implIS3_NS0_12zip_iteratorINS5_IJN6thrust23THRUST_200600_302600_NS6detail15normal_iteratorINSC_10device_ptrIKsEEEESI_EEEEESK_NSA_INS5_IJNSC_16discard_iteratorINSC_11use_defaultEEESN_EEEEEPS7_SQ_SQ_NSC_11hip_rocprim7__merge17predicate_wrapperIssNSC_4lessIsEEEEEE10hipError_tPvRmT0_T1_T2_T3_T4_T5_mmT6_P12ihipStream_tbEUlT_E_NS1_11comp_targetILNS1_3genE10ELNS1_11target_archE1200ELNS1_3gpuE4ELNS1_3repE0EEENS1_30default_config_static_selectorELNS0_4arch9wavefront6targetE0EEEvS11_.has_recursion, 0
	.set _ZN7rocprim17ROCPRIM_400000_NS6detail17trampoline_kernelINS0_14default_configENS1_21merge_config_selectorINS0_5tupleIJssEEENS0_10empty_typeEEEZNS1_10merge_implIS3_NS0_12zip_iteratorINS5_IJN6thrust23THRUST_200600_302600_NS6detail15normal_iteratorINSC_10device_ptrIKsEEEESI_EEEEESK_NSA_INS5_IJNSC_16discard_iteratorINSC_11use_defaultEEESN_EEEEEPS7_SQ_SQ_NSC_11hip_rocprim7__merge17predicate_wrapperIssNSC_4lessIsEEEEEE10hipError_tPvRmT0_T1_T2_T3_T4_T5_mmT6_P12ihipStream_tbEUlT_E_NS1_11comp_targetILNS1_3genE10ELNS1_11target_archE1200ELNS1_3gpuE4ELNS1_3repE0EEENS1_30default_config_static_selectorELNS0_4arch9wavefront6targetE0EEEvS11_.has_indirect_call, 0
	.section	.AMDGPU.csdata,"",@progbits
; Kernel info:
; codeLenInByte = 0
; TotalNumSgprs: 0
; NumVgprs: 0
; ScratchSize: 0
; MemoryBound: 0
; FloatMode: 240
; IeeeMode: 1
; LDSByteSize: 0 bytes/workgroup (compile time only)
; SGPRBlocks: 0
; VGPRBlocks: 0
; NumSGPRsForWavesPerEU: 1
; NumVGPRsForWavesPerEU: 1
; Occupancy: 16
; WaveLimiterHint : 0
; COMPUTE_PGM_RSRC2:SCRATCH_EN: 0
; COMPUTE_PGM_RSRC2:USER_SGPR: 6
; COMPUTE_PGM_RSRC2:TRAP_HANDLER: 0
; COMPUTE_PGM_RSRC2:TGID_X_EN: 1
; COMPUTE_PGM_RSRC2:TGID_Y_EN: 0
; COMPUTE_PGM_RSRC2:TGID_Z_EN: 0
; COMPUTE_PGM_RSRC2:TIDIG_COMP_CNT: 0
	.section	.text._ZN7rocprim17ROCPRIM_400000_NS6detail17trampoline_kernelINS0_14default_configENS1_21merge_config_selectorINS0_5tupleIJssEEENS0_10empty_typeEEEZNS1_10merge_implIS3_NS0_12zip_iteratorINS5_IJN6thrust23THRUST_200600_302600_NS6detail15normal_iteratorINSC_10device_ptrIKsEEEESI_EEEEESK_NSA_INS5_IJNSC_16discard_iteratorINSC_11use_defaultEEESN_EEEEEPS7_SQ_SQ_NSC_11hip_rocprim7__merge17predicate_wrapperIssNSC_4lessIsEEEEEE10hipError_tPvRmT0_T1_T2_T3_T4_T5_mmT6_P12ihipStream_tbEUlT_E_NS1_11comp_targetILNS1_3genE9ELNS1_11target_archE1100ELNS1_3gpuE3ELNS1_3repE0EEENS1_30default_config_static_selectorELNS0_4arch9wavefront6targetE0EEEvS11_,"axG",@progbits,_ZN7rocprim17ROCPRIM_400000_NS6detail17trampoline_kernelINS0_14default_configENS1_21merge_config_selectorINS0_5tupleIJssEEENS0_10empty_typeEEEZNS1_10merge_implIS3_NS0_12zip_iteratorINS5_IJN6thrust23THRUST_200600_302600_NS6detail15normal_iteratorINSC_10device_ptrIKsEEEESI_EEEEESK_NSA_INS5_IJNSC_16discard_iteratorINSC_11use_defaultEEESN_EEEEEPS7_SQ_SQ_NSC_11hip_rocprim7__merge17predicate_wrapperIssNSC_4lessIsEEEEEE10hipError_tPvRmT0_T1_T2_T3_T4_T5_mmT6_P12ihipStream_tbEUlT_E_NS1_11comp_targetILNS1_3genE9ELNS1_11target_archE1100ELNS1_3gpuE3ELNS1_3repE0EEENS1_30default_config_static_selectorELNS0_4arch9wavefront6targetE0EEEvS11_,comdat
	.protected	_ZN7rocprim17ROCPRIM_400000_NS6detail17trampoline_kernelINS0_14default_configENS1_21merge_config_selectorINS0_5tupleIJssEEENS0_10empty_typeEEEZNS1_10merge_implIS3_NS0_12zip_iteratorINS5_IJN6thrust23THRUST_200600_302600_NS6detail15normal_iteratorINSC_10device_ptrIKsEEEESI_EEEEESK_NSA_INS5_IJNSC_16discard_iteratorINSC_11use_defaultEEESN_EEEEEPS7_SQ_SQ_NSC_11hip_rocprim7__merge17predicate_wrapperIssNSC_4lessIsEEEEEE10hipError_tPvRmT0_T1_T2_T3_T4_T5_mmT6_P12ihipStream_tbEUlT_E_NS1_11comp_targetILNS1_3genE9ELNS1_11target_archE1100ELNS1_3gpuE3ELNS1_3repE0EEENS1_30default_config_static_selectorELNS0_4arch9wavefront6targetE0EEEvS11_ ; -- Begin function _ZN7rocprim17ROCPRIM_400000_NS6detail17trampoline_kernelINS0_14default_configENS1_21merge_config_selectorINS0_5tupleIJssEEENS0_10empty_typeEEEZNS1_10merge_implIS3_NS0_12zip_iteratorINS5_IJN6thrust23THRUST_200600_302600_NS6detail15normal_iteratorINSC_10device_ptrIKsEEEESI_EEEEESK_NSA_INS5_IJNSC_16discard_iteratorINSC_11use_defaultEEESN_EEEEEPS7_SQ_SQ_NSC_11hip_rocprim7__merge17predicate_wrapperIssNSC_4lessIsEEEEEE10hipError_tPvRmT0_T1_T2_T3_T4_T5_mmT6_P12ihipStream_tbEUlT_E_NS1_11comp_targetILNS1_3genE9ELNS1_11target_archE1100ELNS1_3gpuE3ELNS1_3repE0EEENS1_30default_config_static_selectorELNS0_4arch9wavefront6targetE0EEEvS11_
	.globl	_ZN7rocprim17ROCPRIM_400000_NS6detail17trampoline_kernelINS0_14default_configENS1_21merge_config_selectorINS0_5tupleIJssEEENS0_10empty_typeEEEZNS1_10merge_implIS3_NS0_12zip_iteratorINS5_IJN6thrust23THRUST_200600_302600_NS6detail15normal_iteratorINSC_10device_ptrIKsEEEESI_EEEEESK_NSA_INS5_IJNSC_16discard_iteratorINSC_11use_defaultEEESN_EEEEEPS7_SQ_SQ_NSC_11hip_rocprim7__merge17predicate_wrapperIssNSC_4lessIsEEEEEE10hipError_tPvRmT0_T1_T2_T3_T4_T5_mmT6_P12ihipStream_tbEUlT_E_NS1_11comp_targetILNS1_3genE9ELNS1_11target_archE1100ELNS1_3gpuE3ELNS1_3repE0EEENS1_30default_config_static_selectorELNS0_4arch9wavefront6targetE0EEEvS11_
	.p2align	8
	.type	_ZN7rocprim17ROCPRIM_400000_NS6detail17trampoline_kernelINS0_14default_configENS1_21merge_config_selectorINS0_5tupleIJssEEENS0_10empty_typeEEEZNS1_10merge_implIS3_NS0_12zip_iteratorINS5_IJN6thrust23THRUST_200600_302600_NS6detail15normal_iteratorINSC_10device_ptrIKsEEEESI_EEEEESK_NSA_INS5_IJNSC_16discard_iteratorINSC_11use_defaultEEESN_EEEEEPS7_SQ_SQ_NSC_11hip_rocprim7__merge17predicate_wrapperIssNSC_4lessIsEEEEEE10hipError_tPvRmT0_T1_T2_T3_T4_T5_mmT6_P12ihipStream_tbEUlT_E_NS1_11comp_targetILNS1_3genE9ELNS1_11target_archE1100ELNS1_3gpuE3ELNS1_3repE0EEENS1_30default_config_static_selectorELNS0_4arch9wavefront6targetE0EEEvS11_,@function
_ZN7rocprim17ROCPRIM_400000_NS6detail17trampoline_kernelINS0_14default_configENS1_21merge_config_selectorINS0_5tupleIJssEEENS0_10empty_typeEEEZNS1_10merge_implIS3_NS0_12zip_iteratorINS5_IJN6thrust23THRUST_200600_302600_NS6detail15normal_iteratorINSC_10device_ptrIKsEEEESI_EEEEESK_NSA_INS5_IJNSC_16discard_iteratorINSC_11use_defaultEEESN_EEEEEPS7_SQ_SQ_NSC_11hip_rocprim7__merge17predicate_wrapperIssNSC_4lessIsEEEEEE10hipError_tPvRmT0_T1_T2_T3_T4_T5_mmT6_P12ihipStream_tbEUlT_E_NS1_11comp_targetILNS1_3genE9ELNS1_11target_archE1100ELNS1_3gpuE3ELNS1_3repE0EEENS1_30default_config_static_selectorELNS0_4arch9wavefront6targetE0EEEvS11_: ; @_ZN7rocprim17ROCPRIM_400000_NS6detail17trampoline_kernelINS0_14default_configENS1_21merge_config_selectorINS0_5tupleIJssEEENS0_10empty_typeEEEZNS1_10merge_implIS3_NS0_12zip_iteratorINS5_IJN6thrust23THRUST_200600_302600_NS6detail15normal_iteratorINSC_10device_ptrIKsEEEESI_EEEEESK_NSA_INS5_IJNSC_16discard_iteratorINSC_11use_defaultEEESN_EEEEEPS7_SQ_SQ_NSC_11hip_rocprim7__merge17predicate_wrapperIssNSC_4lessIsEEEEEE10hipError_tPvRmT0_T1_T2_T3_T4_T5_mmT6_P12ihipStream_tbEUlT_E_NS1_11comp_targetILNS1_3genE9ELNS1_11target_archE1100ELNS1_3gpuE3ELNS1_3repE0EEENS1_30default_config_static_selectorELNS0_4arch9wavefront6targetE0EEEvS11_
; %bb.0:
	.section	.rodata,"a",@progbits
	.p2align	6, 0x0
	.amdhsa_kernel _ZN7rocprim17ROCPRIM_400000_NS6detail17trampoline_kernelINS0_14default_configENS1_21merge_config_selectorINS0_5tupleIJssEEENS0_10empty_typeEEEZNS1_10merge_implIS3_NS0_12zip_iteratorINS5_IJN6thrust23THRUST_200600_302600_NS6detail15normal_iteratorINSC_10device_ptrIKsEEEESI_EEEEESK_NSA_INS5_IJNSC_16discard_iteratorINSC_11use_defaultEEESN_EEEEEPS7_SQ_SQ_NSC_11hip_rocprim7__merge17predicate_wrapperIssNSC_4lessIsEEEEEE10hipError_tPvRmT0_T1_T2_T3_T4_T5_mmT6_P12ihipStream_tbEUlT_E_NS1_11comp_targetILNS1_3genE9ELNS1_11target_archE1100ELNS1_3gpuE3ELNS1_3repE0EEENS1_30default_config_static_selectorELNS0_4arch9wavefront6targetE0EEEvS11_
		.amdhsa_group_segment_fixed_size 0
		.amdhsa_private_segment_fixed_size 0
		.amdhsa_kernarg_size 64
		.amdhsa_user_sgpr_count 6
		.amdhsa_user_sgpr_private_segment_buffer 1
		.amdhsa_user_sgpr_dispatch_ptr 0
		.amdhsa_user_sgpr_queue_ptr 0
		.amdhsa_user_sgpr_kernarg_segment_ptr 1
		.amdhsa_user_sgpr_dispatch_id 0
		.amdhsa_user_sgpr_flat_scratch_init 0
		.amdhsa_user_sgpr_private_segment_size 0
		.amdhsa_wavefront_size32 1
		.amdhsa_uses_dynamic_stack 0
		.amdhsa_system_sgpr_private_segment_wavefront_offset 0
		.amdhsa_system_sgpr_workgroup_id_x 1
		.amdhsa_system_sgpr_workgroup_id_y 0
		.amdhsa_system_sgpr_workgroup_id_z 0
		.amdhsa_system_sgpr_workgroup_info 0
		.amdhsa_system_vgpr_workitem_id 0
		.amdhsa_next_free_vgpr 1
		.amdhsa_next_free_sgpr 1
		.amdhsa_reserve_vcc 0
		.amdhsa_reserve_flat_scratch 0
		.amdhsa_float_round_mode_32 0
		.amdhsa_float_round_mode_16_64 0
		.amdhsa_float_denorm_mode_32 3
		.amdhsa_float_denorm_mode_16_64 3
		.amdhsa_dx10_clamp 1
		.amdhsa_ieee_mode 1
		.amdhsa_fp16_overflow 0
		.amdhsa_workgroup_processor_mode 1
		.amdhsa_memory_ordered 1
		.amdhsa_forward_progress 1
		.amdhsa_shared_vgpr_count 0
		.amdhsa_exception_fp_ieee_invalid_op 0
		.amdhsa_exception_fp_denorm_src 0
		.amdhsa_exception_fp_ieee_div_zero 0
		.amdhsa_exception_fp_ieee_overflow 0
		.amdhsa_exception_fp_ieee_underflow 0
		.amdhsa_exception_fp_ieee_inexact 0
		.amdhsa_exception_int_div_zero 0
	.end_amdhsa_kernel
	.section	.text._ZN7rocprim17ROCPRIM_400000_NS6detail17trampoline_kernelINS0_14default_configENS1_21merge_config_selectorINS0_5tupleIJssEEENS0_10empty_typeEEEZNS1_10merge_implIS3_NS0_12zip_iteratorINS5_IJN6thrust23THRUST_200600_302600_NS6detail15normal_iteratorINSC_10device_ptrIKsEEEESI_EEEEESK_NSA_INS5_IJNSC_16discard_iteratorINSC_11use_defaultEEESN_EEEEEPS7_SQ_SQ_NSC_11hip_rocprim7__merge17predicate_wrapperIssNSC_4lessIsEEEEEE10hipError_tPvRmT0_T1_T2_T3_T4_T5_mmT6_P12ihipStream_tbEUlT_E_NS1_11comp_targetILNS1_3genE9ELNS1_11target_archE1100ELNS1_3gpuE3ELNS1_3repE0EEENS1_30default_config_static_selectorELNS0_4arch9wavefront6targetE0EEEvS11_,"axG",@progbits,_ZN7rocprim17ROCPRIM_400000_NS6detail17trampoline_kernelINS0_14default_configENS1_21merge_config_selectorINS0_5tupleIJssEEENS0_10empty_typeEEEZNS1_10merge_implIS3_NS0_12zip_iteratorINS5_IJN6thrust23THRUST_200600_302600_NS6detail15normal_iteratorINSC_10device_ptrIKsEEEESI_EEEEESK_NSA_INS5_IJNSC_16discard_iteratorINSC_11use_defaultEEESN_EEEEEPS7_SQ_SQ_NSC_11hip_rocprim7__merge17predicate_wrapperIssNSC_4lessIsEEEEEE10hipError_tPvRmT0_T1_T2_T3_T4_T5_mmT6_P12ihipStream_tbEUlT_E_NS1_11comp_targetILNS1_3genE9ELNS1_11target_archE1100ELNS1_3gpuE3ELNS1_3repE0EEENS1_30default_config_static_selectorELNS0_4arch9wavefront6targetE0EEEvS11_,comdat
.Lfunc_end612:
	.size	_ZN7rocprim17ROCPRIM_400000_NS6detail17trampoline_kernelINS0_14default_configENS1_21merge_config_selectorINS0_5tupleIJssEEENS0_10empty_typeEEEZNS1_10merge_implIS3_NS0_12zip_iteratorINS5_IJN6thrust23THRUST_200600_302600_NS6detail15normal_iteratorINSC_10device_ptrIKsEEEESI_EEEEESK_NSA_INS5_IJNSC_16discard_iteratorINSC_11use_defaultEEESN_EEEEEPS7_SQ_SQ_NSC_11hip_rocprim7__merge17predicate_wrapperIssNSC_4lessIsEEEEEE10hipError_tPvRmT0_T1_T2_T3_T4_T5_mmT6_P12ihipStream_tbEUlT_E_NS1_11comp_targetILNS1_3genE9ELNS1_11target_archE1100ELNS1_3gpuE3ELNS1_3repE0EEENS1_30default_config_static_selectorELNS0_4arch9wavefront6targetE0EEEvS11_, .Lfunc_end612-_ZN7rocprim17ROCPRIM_400000_NS6detail17trampoline_kernelINS0_14default_configENS1_21merge_config_selectorINS0_5tupleIJssEEENS0_10empty_typeEEEZNS1_10merge_implIS3_NS0_12zip_iteratorINS5_IJN6thrust23THRUST_200600_302600_NS6detail15normal_iteratorINSC_10device_ptrIKsEEEESI_EEEEESK_NSA_INS5_IJNSC_16discard_iteratorINSC_11use_defaultEEESN_EEEEEPS7_SQ_SQ_NSC_11hip_rocprim7__merge17predicate_wrapperIssNSC_4lessIsEEEEEE10hipError_tPvRmT0_T1_T2_T3_T4_T5_mmT6_P12ihipStream_tbEUlT_E_NS1_11comp_targetILNS1_3genE9ELNS1_11target_archE1100ELNS1_3gpuE3ELNS1_3repE0EEENS1_30default_config_static_selectorELNS0_4arch9wavefront6targetE0EEEvS11_
                                        ; -- End function
	.set _ZN7rocprim17ROCPRIM_400000_NS6detail17trampoline_kernelINS0_14default_configENS1_21merge_config_selectorINS0_5tupleIJssEEENS0_10empty_typeEEEZNS1_10merge_implIS3_NS0_12zip_iteratorINS5_IJN6thrust23THRUST_200600_302600_NS6detail15normal_iteratorINSC_10device_ptrIKsEEEESI_EEEEESK_NSA_INS5_IJNSC_16discard_iteratorINSC_11use_defaultEEESN_EEEEEPS7_SQ_SQ_NSC_11hip_rocprim7__merge17predicate_wrapperIssNSC_4lessIsEEEEEE10hipError_tPvRmT0_T1_T2_T3_T4_T5_mmT6_P12ihipStream_tbEUlT_E_NS1_11comp_targetILNS1_3genE9ELNS1_11target_archE1100ELNS1_3gpuE3ELNS1_3repE0EEENS1_30default_config_static_selectorELNS0_4arch9wavefront6targetE0EEEvS11_.num_vgpr, 0
	.set _ZN7rocprim17ROCPRIM_400000_NS6detail17trampoline_kernelINS0_14default_configENS1_21merge_config_selectorINS0_5tupleIJssEEENS0_10empty_typeEEEZNS1_10merge_implIS3_NS0_12zip_iteratorINS5_IJN6thrust23THRUST_200600_302600_NS6detail15normal_iteratorINSC_10device_ptrIKsEEEESI_EEEEESK_NSA_INS5_IJNSC_16discard_iteratorINSC_11use_defaultEEESN_EEEEEPS7_SQ_SQ_NSC_11hip_rocprim7__merge17predicate_wrapperIssNSC_4lessIsEEEEEE10hipError_tPvRmT0_T1_T2_T3_T4_T5_mmT6_P12ihipStream_tbEUlT_E_NS1_11comp_targetILNS1_3genE9ELNS1_11target_archE1100ELNS1_3gpuE3ELNS1_3repE0EEENS1_30default_config_static_selectorELNS0_4arch9wavefront6targetE0EEEvS11_.num_agpr, 0
	.set _ZN7rocprim17ROCPRIM_400000_NS6detail17trampoline_kernelINS0_14default_configENS1_21merge_config_selectorINS0_5tupleIJssEEENS0_10empty_typeEEEZNS1_10merge_implIS3_NS0_12zip_iteratorINS5_IJN6thrust23THRUST_200600_302600_NS6detail15normal_iteratorINSC_10device_ptrIKsEEEESI_EEEEESK_NSA_INS5_IJNSC_16discard_iteratorINSC_11use_defaultEEESN_EEEEEPS7_SQ_SQ_NSC_11hip_rocprim7__merge17predicate_wrapperIssNSC_4lessIsEEEEEE10hipError_tPvRmT0_T1_T2_T3_T4_T5_mmT6_P12ihipStream_tbEUlT_E_NS1_11comp_targetILNS1_3genE9ELNS1_11target_archE1100ELNS1_3gpuE3ELNS1_3repE0EEENS1_30default_config_static_selectorELNS0_4arch9wavefront6targetE0EEEvS11_.numbered_sgpr, 0
	.set _ZN7rocprim17ROCPRIM_400000_NS6detail17trampoline_kernelINS0_14default_configENS1_21merge_config_selectorINS0_5tupleIJssEEENS0_10empty_typeEEEZNS1_10merge_implIS3_NS0_12zip_iteratorINS5_IJN6thrust23THRUST_200600_302600_NS6detail15normal_iteratorINSC_10device_ptrIKsEEEESI_EEEEESK_NSA_INS5_IJNSC_16discard_iteratorINSC_11use_defaultEEESN_EEEEEPS7_SQ_SQ_NSC_11hip_rocprim7__merge17predicate_wrapperIssNSC_4lessIsEEEEEE10hipError_tPvRmT0_T1_T2_T3_T4_T5_mmT6_P12ihipStream_tbEUlT_E_NS1_11comp_targetILNS1_3genE9ELNS1_11target_archE1100ELNS1_3gpuE3ELNS1_3repE0EEENS1_30default_config_static_selectorELNS0_4arch9wavefront6targetE0EEEvS11_.num_named_barrier, 0
	.set _ZN7rocprim17ROCPRIM_400000_NS6detail17trampoline_kernelINS0_14default_configENS1_21merge_config_selectorINS0_5tupleIJssEEENS0_10empty_typeEEEZNS1_10merge_implIS3_NS0_12zip_iteratorINS5_IJN6thrust23THRUST_200600_302600_NS6detail15normal_iteratorINSC_10device_ptrIKsEEEESI_EEEEESK_NSA_INS5_IJNSC_16discard_iteratorINSC_11use_defaultEEESN_EEEEEPS7_SQ_SQ_NSC_11hip_rocprim7__merge17predicate_wrapperIssNSC_4lessIsEEEEEE10hipError_tPvRmT0_T1_T2_T3_T4_T5_mmT6_P12ihipStream_tbEUlT_E_NS1_11comp_targetILNS1_3genE9ELNS1_11target_archE1100ELNS1_3gpuE3ELNS1_3repE0EEENS1_30default_config_static_selectorELNS0_4arch9wavefront6targetE0EEEvS11_.private_seg_size, 0
	.set _ZN7rocprim17ROCPRIM_400000_NS6detail17trampoline_kernelINS0_14default_configENS1_21merge_config_selectorINS0_5tupleIJssEEENS0_10empty_typeEEEZNS1_10merge_implIS3_NS0_12zip_iteratorINS5_IJN6thrust23THRUST_200600_302600_NS6detail15normal_iteratorINSC_10device_ptrIKsEEEESI_EEEEESK_NSA_INS5_IJNSC_16discard_iteratorINSC_11use_defaultEEESN_EEEEEPS7_SQ_SQ_NSC_11hip_rocprim7__merge17predicate_wrapperIssNSC_4lessIsEEEEEE10hipError_tPvRmT0_T1_T2_T3_T4_T5_mmT6_P12ihipStream_tbEUlT_E_NS1_11comp_targetILNS1_3genE9ELNS1_11target_archE1100ELNS1_3gpuE3ELNS1_3repE0EEENS1_30default_config_static_selectorELNS0_4arch9wavefront6targetE0EEEvS11_.uses_vcc, 0
	.set _ZN7rocprim17ROCPRIM_400000_NS6detail17trampoline_kernelINS0_14default_configENS1_21merge_config_selectorINS0_5tupleIJssEEENS0_10empty_typeEEEZNS1_10merge_implIS3_NS0_12zip_iteratorINS5_IJN6thrust23THRUST_200600_302600_NS6detail15normal_iteratorINSC_10device_ptrIKsEEEESI_EEEEESK_NSA_INS5_IJNSC_16discard_iteratorINSC_11use_defaultEEESN_EEEEEPS7_SQ_SQ_NSC_11hip_rocprim7__merge17predicate_wrapperIssNSC_4lessIsEEEEEE10hipError_tPvRmT0_T1_T2_T3_T4_T5_mmT6_P12ihipStream_tbEUlT_E_NS1_11comp_targetILNS1_3genE9ELNS1_11target_archE1100ELNS1_3gpuE3ELNS1_3repE0EEENS1_30default_config_static_selectorELNS0_4arch9wavefront6targetE0EEEvS11_.uses_flat_scratch, 0
	.set _ZN7rocprim17ROCPRIM_400000_NS6detail17trampoline_kernelINS0_14default_configENS1_21merge_config_selectorINS0_5tupleIJssEEENS0_10empty_typeEEEZNS1_10merge_implIS3_NS0_12zip_iteratorINS5_IJN6thrust23THRUST_200600_302600_NS6detail15normal_iteratorINSC_10device_ptrIKsEEEESI_EEEEESK_NSA_INS5_IJNSC_16discard_iteratorINSC_11use_defaultEEESN_EEEEEPS7_SQ_SQ_NSC_11hip_rocprim7__merge17predicate_wrapperIssNSC_4lessIsEEEEEE10hipError_tPvRmT0_T1_T2_T3_T4_T5_mmT6_P12ihipStream_tbEUlT_E_NS1_11comp_targetILNS1_3genE9ELNS1_11target_archE1100ELNS1_3gpuE3ELNS1_3repE0EEENS1_30default_config_static_selectorELNS0_4arch9wavefront6targetE0EEEvS11_.has_dyn_sized_stack, 0
	.set _ZN7rocprim17ROCPRIM_400000_NS6detail17trampoline_kernelINS0_14default_configENS1_21merge_config_selectorINS0_5tupleIJssEEENS0_10empty_typeEEEZNS1_10merge_implIS3_NS0_12zip_iteratorINS5_IJN6thrust23THRUST_200600_302600_NS6detail15normal_iteratorINSC_10device_ptrIKsEEEESI_EEEEESK_NSA_INS5_IJNSC_16discard_iteratorINSC_11use_defaultEEESN_EEEEEPS7_SQ_SQ_NSC_11hip_rocprim7__merge17predicate_wrapperIssNSC_4lessIsEEEEEE10hipError_tPvRmT0_T1_T2_T3_T4_T5_mmT6_P12ihipStream_tbEUlT_E_NS1_11comp_targetILNS1_3genE9ELNS1_11target_archE1100ELNS1_3gpuE3ELNS1_3repE0EEENS1_30default_config_static_selectorELNS0_4arch9wavefront6targetE0EEEvS11_.has_recursion, 0
	.set _ZN7rocprim17ROCPRIM_400000_NS6detail17trampoline_kernelINS0_14default_configENS1_21merge_config_selectorINS0_5tupleIJssEEENS0_10empty_typeEEEZNS1_10merge_implIS3_NS0_12zip_iteratorINS5_IJN6thrust23THRUST_200600_302600_NS6detail15normal_iteratorINSC_10device_ptrIKsEEEESI_EEEEESK_NSA_INS5_IJNSC_16discard_iteratorINSC_11use_defaultEEESN_EEEEEPS7_SQ_SQ_NSC_11hip_rocprim7__merge17predicate_wrapperIssNSC_4lessIsEEEEEE10hipError_tPvRmT0_T1_T2_T3_T4_T5_mmT6_P12ihipStream_tbEUlT_E_NS1_11comp_targetILNS1_3genE9ELNS1_11target_archE1100ELNS1_3gpuE3ELNS1_3repE0EEENS1_30default_config_static_selectorELNS0_4arch9wavefront6targetE0EEEvS11_.has_indirect_call, 0
	.section	.AMDGPU.csdata,"",@progbits
; Kernel info:
; codeLenInByte = 0
; TotalNumSgprs: 0
; NumVgprs: 0
; ScratchSize: 0
; MemoryBound: 0
; FloatMode: 240
; IeeeMode: 1
; LDSByteSize: 0 bytes/workgroup (compile time only)
; SGPRBlocks: 0
; VGPRBlocks: 0
; NumSGPRsForWavesPerEU: 1
; NumVGPRsForWavesPerEU: 1
; Occupancy: 16
; WaveLimiterHint : 0
; COMPUTE_PGM_RSRC2:SCRATCH_EN: 0
; COMPUTE_PGM_RSRC2:USER_SGPR: 6
; COMPUTE_PGM_RSRC2:TRAP_HANDLER: 0
; COMPUTE_PGM_RSRC2:TGID_X_EN: 1
; COMPUTE_PGM_RSRC2:TGID_Y_EN: 0
; COMPUTE_PGM_RSRC2:TGID_Z_EN: 0
; COMPUTE_PGM_RSRC2:TIDIG_COMP_CNT: 0
	.section	.text._ZN7rocprim17ROCPRIM_400000_NS6detail17trampoline_kernelINS0_14default_configENS1_21merge_config_selectorINS0_5tupleIJssEEENS0_10empty_typeEEEZNS1_10merge_implIS3_NS0_12zip_iteratorINS5_IJN6thrust23THRUST_200600_302600_NS6detail15normal_iteratorINSC_10device_ptrIKsEEEESI_EEEEESK_NSA_INS5_IJNSC_16discard_iteratorINSC_11use_defaultEEESN_EEEEEPS7_SQ_SQ_NSC_11hip_rocprim7__merge17predicate_wrapperIssNSC_4lessIsEEEEEE10hipError_tPvRmT0_T1_T2_T3_T4_T5_mmT6_P12ihipStream_tbEUlT_E_NS1_11comp_targetILNS1_3genE8ELNS1_11target_archE1030ELNS1_3gpuE2ELNS1_3repE0EEENS1_30default_config_static_selectorELNS0_4arch9wavefront6targetE0EEEvS11_,"axG",@progbits,_ZN7rocprim17ROCPRIM_400000_NS6detail17trampoline_kernelINS0_14default_configENS1_21merge_config_selectorINS0_5tupleIJssEEENS0_10empty_typeEEEZNS1_10merge_implIS3_NS0_12zip_iteratorINS5_IJN6thrust23THRUST_200600_302600_NS6detail15normal_iteratorINSC_10device_ptrIKsEEEESI_EEEEESK_NSA_INS5_IJNSC_16discard_iteratorINSC_11use_defaultEEESN_EEEEEPS7_SQ_SQ_NSC_11hip_rocprim7__merge17predicate_wrapperIssNSC_4lessIsEEEEEE10hipError_tPvRmT0_T1_T2_T3_T4_T5_mmT6_P12ihipStream_tbEUlT_E_NS1_11comp_targetILNS1_3genE8ELNS1_11target_archE1030ELNS1_3gpuE2ELNS1_3repE0EEENS1_30default_config_static_selectorELNS0_4arch9wavefront6targetE0EEEvS11_,comdat
	.protected	_ZN7rocprim17ROCPRIM_400000_NS6detail17trampoline_kernelINS0_14default_configENS1_21merge_config_selectorINS0_5tupleIJssEEENS0_10empty_typeEEEZNS1_10merge_implIS3_NS0_12zip_iteratorINS5_IJN6thrust23THRUST_200600_302600_NS6detail15normal_iteratorINSC_10device_ptrIKsEEEESI_EEEEESK_NSA_INS5_IJNSC_16discard_iteratorINSC_11use_defaultEEESN_EEEEEPS7_SQ_SQ_NSC_11hip_rocprim7__merge17predicate_wrapperIssNSC_4lessIsEEEEEE10hipError_tPvRmT0_T1_T2_T3_T4_T5_mmT6_P12ihipStream_tbEUlT_E_NS1_11comp_targetILNS1_3genE8ELNS1_11target_archE1030ELNS1_3gpuE2ELNS1_3repE0EEENS1_30default_config_static_selectorELNS0_4arch9wavefront6targetE0EEEvS11_ ; -- Begin function _ZN7rocprim17ROCPRIM_400000_NS6detail17trampoline_kernelINS0_14default_configENS1_21merge_config_selectorINS0_5tupleIJssEEENS0_10empty_typeEEEZNS1_10merge_implIS3_NS0_12zip_iteratorINS5_IJN6thrust23THRUST_200600_302600_NS6detail15normal_iteratorINSC_10device_ptrIKsEEEESI_EEEEESK_NSA_INS5_IJNSC_16discard_iteratorINSC_11use_defaultEEESN_EEEEEPS7_SQ_SQ_NSC_11hip_rocprim7__merge17predicate_wrapperIssNSC_4lessIsEEEEEE10hipError_tPvRmT0_T1_T2_T3_T4_T5_mmT6_P12ihipStream_tbEUlT_E_NS1_11comp_targetILNS1_3genE8ELNS1_11target_archE1030ELNS1_3gpuE2ELNS1_3repE0EEENS1_30default_config_static_selectorELNS0_4arch9wavefront6targetE0EEEvS11_
	.globl	_ZN7rocprim17ROCPRIM_400000_NS6detail17trampoline_kernelINS0_14default_configENS1_21merge_config_selectorINS0_5tupleIJssEEENS0_10empty_typeEEEZNS1_10merge_implIS3_NS0_12zip_iteratorINS5_IJN6thrust23THRUST_200600_302600_NS6detail15normal_iteratorINSC_10device_ptrIKsEEEESI_EEEEESK_NSA_INS5_IJNSC_16discard_iteratorINSC_11use_defaultEEESN_EEEEEPS7_SQ_SQ_NSC_11hip_rocprim7__merge17predicate_wrapperIssNSC_4lessIsEEEEEE10hipError_tPvRmT0_T1_T2_T3_T4_T5_mmT6_P12ihipStream_tbEUlT_E_NS1_11comp_targetILNS1_3genE8ELNS1_11target_archE1030ELNS1_3gpuE2ELNS1_3repE0EEENS1_30default_config_static_selectorELNS0_4arch9wavefront6targetE0EEEvS11_
	.p2align	8
	.type	_ZN7rocprim17ROCPRIM_400000_NS6detail17trampoline_kernelINS0_14default_configENS1_21merge_config_selectorINS0_5tupleIJssEEENS0_10empty_typeEEEZNS1_10merge_implIS3_NS0_12zip_iteratorINS5_IJN6thrust23THRUST_200600_302600_NS6detail15normal_iteratorINSC_10device_ptrIKsEEEESI_EEEEESK_NSA_INS5_IJNSC_16discard_iteratorINSC_11use_defaultEEESN_EEEEEPS7_SQ_SQ_NSC_11hip_rocprim7__merge17predicate_wrapperIssNSC_4lessIsEEEEEE10hipError_tPvRmT0_T1_T2_T3_T4_T5_mmT6_P12ihipStream_tbEUlT_E_NS1_11comp_targetILNS1_3genE8ELNS1_11target_archE1030ELNS1_3gpuE2ELNS1_3repE0EEENS1_30default_config_static_selectorELNS0_4arch9wavefront6targetE0EEEvS11_,@function
_ZN7rocprim17ROCPRIM_400000_NS6detail17trampoline_kernelINS0_14default_configENS1_21merge_config_selectorINS0_5tupleIJssEEENS0_10empty_typeEEEZNS1_10merge_implIS3_NS0_12zip_iteratorINS5_IJN6thrust23THRUST_200600_302600_NS6detail15normal_iteratorINSC_10device_ptrIKsEEEESI_EEEEESK_NSA_INS5_IJNSC_16discard_iteratorINSC_11use_defaultEEESN_EEEEEPS7_SQ_SQ_NSC_11hip_rocprim7__merge17predicate_wrapperIssNSC_4lessIsEEEEEE10hipError_tPvRmT0_T1_T2_T3_T4_T5_mmT6_P12ihipStream_tbEUlT_E_NS1_11comp_targetILNS1_3genE8ELNS1_11target_archE1030ELNS1_3gpuE2ELNS1_3repE0EEENS1_30default_config_static_selectorELNS0_4arch9wavefront6targetE0EEEvS11_: ; @_ZN7rocprim17ROCPRIM_400000_NS6detail17trampoline_kernelINS0_14default_configENS1_21merge_config_selectorINS0_5tupleIJssEEENS0_10empty_typeEEEZNS1_10merge_implIS3_NS0_12zip_iteratorINS5_IJN6thrust23THRUST_200600_302600_NS6detail15normal_iteratorINSC_10device_ptrIKsEEEESI_EEEEESK_NSA_INS5_IJNSC_16discard_iteratorINSC_11use_defaultEEESN_EEEEEPS7_SQ_SQ_NSC_11hip_rocprim7__merge17predicate_wrapperIssNSC_4lessIsEEEEEE10hipError_tPvRmT0_T1_T2_T3_T4_T5_mmT6_P12ihipStream_tbEUlT_E_NS1_11comp_targetILNS1_3genE8ELNS1_11target_archE1030ELNS1_3gpuE2ELNS1_3repE0EEENS1_30default_config_static_selectorELNS0_4arch9wavefront6targetE0EEEvS11_
; %bb.0:
	s_clause 0x2
	s_load_dword s2, s[4:5], 0x38
	s_load_dword s0, s[4:5], 0x4c
	s_load_dwordx4 s[12:15], s[4:5], 0x28
	s_waitcnt lgkmcnt(0)
	v_cvt_f32_u32_e32 v1, s2
	s_and_b32 s3, s0, 0xffff
	s_add_u32 s0, s14, s12
	s_addc_u32 s1, s15, s13
	s_sub_i32 s8, 0, s2
	v_rcp_iflag_f32_e32 v1, v1
	s_add_i32 s9, s2, s0
	s_add_i32 s9, s9, -1
	v_mul_f32_e32 v1, 0x4f7ffffe, v1
	v_cvt_u32_f32_e32 v1, v1
	v_readfirstlane_b32 s7, v1
	v_mad_u64_u32 v[0:1], null, s6, s3, v[0:1]
	s_mul_i32 s8, s8, s7
	s_mul_hi_u32 s8, s7, s8
	s_add_i32 s7, s7, s8
	s_mul_hi_u32 s7, s9, s7
	s_mul_i32 s8, s7, s2
	s_sub_i32 s8, s9, s8
	s_add_i32 s9, s7, 1
	s_sub_i32 s10, s8, s2
	s_cmp_ge_u32 s8, s2
	s_cselect_b32 s3, s9, s7
	s_cselect_b32 s6, s10, s8
	s_add_i32 s7, s3, 1
	s_cmp_ge_u32 s6, s2
	s_cselect_b32 s3, s7, s3
	v_cmp_ge_u32_e32 vcc_lo, s3, v0
	s_and_saveexec_b32 s3, vcc_lo
	s_cbranch_execz .LBB613_6
; %bb.1:
	v_mul_lo_u32 v1, v0, s2
	v_mov_b32_e32 v2, 0
	s_load_dwordx4 s[8:11], s[4:5], 0x0
	v_cmp_gt_u64_e32 vcc_lo, s[0:1], v[1:2]
	v_cndmask_b32_e32 v6, s0, v1, vcc_lo
	v_cndmask_b32_e64 v7, s1, 0, vcc_lo
	v_sub_co_u32 v1, vcc_lo, v6, s14
	v_subrev_co_ci_u32_e64 v2, null, s15, v7, vcc_lo
	v_cmp_gt_u64_e64 s0, s[12:13], v[6:7]
	v_cmp_gt_u64_e32 vcc_lo, v[1:2], v[6:7]
	v_cndmask_b32_e64 v5, s13, v7, s0
	v_cndmask_b32_e64 v4, s12, v6, s0
	s_mov_b32 s0, exec_lo
	v_cndmask_b32_e64 v3, v2, 0, vcc_lo
	v_cndmask_b32_e64 v2, v1, 0, vcc_lo
	v_cmpx_lt_u64_e64 v[2:3], v[4:5]
	s_cbranch_execz .LBB613_5
; %bb.2:
	s_load_dwordx2 s[2:3], s[4:5], 0x18
	v_lshlrev_b64 v[6:7], 1, v[6:7]
	s_mov_b32 s1, 0
	s_waitcnt lgkmcnt(0)
	v_add_co_u32 v1, vcc_lo, s2, v6
	v_add_co_ci_u32_e64 v6, null, s3, v7, vcc_lo
	s_inst_prefetch 0x1
	.p2align	6
.LBB613_3:                              ; =>This Inner Loop Header: Depth=1
	v_add_co_u32 v7, vcc_lo, v4, v2
	v_add_co_ci_u32_e64 v8, null, v5, v3, vcc_lo
	v_and_b32_e32 v9, -2, v7
	v_xor_b32_e32 v12, -1, v8
	v_xor_b32_e32 v11, -2, v9
	v_add_co_u32 v9, vcc_lo, s10, v9
	v_add_co_ci_u32_e64 v10, null, s11, v8, vcc_lo
	v_add_co_u32 v11, vcc_lo, v1, v11
	v_add_co_ci_u32_e64 v12, null, v6, v12, vcc_lo
	v_lshrrev_b64 v[7:8], 1, v[7:8]
	global_load_ushort v9, v[9:10], off
	global_load_ushort v10, v[11:12], off
	v_add_co_u32 v11, vcc_lo, v7, 1
	v_add_co_ci_u32_e64 v12, null, 0, v8, vcc_lo
	s_waitcnt vmcnt(0)
	v_cmp_lt_i16_e32 vcc_lo, v10, v9
	v_cndmask_b32_e32 v5, v5, v8, vcc_lo
	v_cndmask_b32_e32 v4, v4, v7, vcc_lo
	;; [unrolled: 1-line block ×4, first 2 shown]
	v_cmp_ge_u64_e32 vcc_lo, v[2:3], v[4:5]
	s_or_b32 s1, vcc_lo, s1
	s_andn2_b32 exec_lo, exec_lo, s1
	s_cbranch_execnz .LBB613_3
; %bb.4:
	s_inst_prefetch 0x2
	s_or_b32 exec_lo, exec_lo, s1
.LBB613_5:
	s_or_b32 exec_lo, exec_lo, s0
	v_mov_b32_e32 v1, 0
	v_lshlrev_b64 v[0:1], 2, v[0:1]
	s_waitcnt lgkmcnt(0)
	v_add_co_u32 v0, vcc_lo, s8, v0
	v_add_co_ci_u32_e64 v1, null, s9, v1, vcc_lo
	global_store_dword v[0:1], v2, off
.LBB613_6:
	s_endpgm
	.section	.rodata,"a",@progbits
	.p2align	6, 0x0
	.amdhsa_kernel _ZN7rocprim17ROCPRIM_400000_NS6detail17trampoline_kernelINS0_14default_configENS1_21merge_config_selectorINS0_5tupleIJssEEENS0_10empty_typeEEEZNS1_10merge_implIS3_NS0_12zip_iteratorINS5_IJN6thrust23THRUST_200600_302600_NS6detail15normal_iteratorINSC_10device_ptrIKsEEEESI_EEEEESK_NSA_INS5_IJNSC_16discard_iteratorINSC_11use_defaultEEESN_EEEEEPS7_SQ_SQ_NSC_11hip_rocprim7__merge17predicate_wrapperIssNSC_4lessIsEEEEEE10hipError_tPvRmT0_T1_T2_T3_T4_T5_mmT6_P12ihipStream_tbEUlT_E_NS1_11comp_targetILNS1_3genE8ELNS1_11target_archE1030ELNS1_3gpuE2ELNS1_3repE0EEENS1_30default_config_static_selectorELNS0_4arch9wavefront6targetE0EEEvS11_
		.amdhsa_group_segment_fixed_size 0
		.amdhsa_private_segment_fixed_size 0
		.amdhsa_kernarg_size 320
		.amdhsa_user_sgpr_count 6
		.amdhsa_user_sgpr_private_segment_buffer 1
		.amdhsa_user_sgpr_dispatch_ptr 0
		.amdhsa_user_sgpr_queue_ptr 0
		.amdhsa_user_sgpr_kernarg_segment_ptr 1
		.amdhsa_user_sgpr_dispatch_id 0
		.amdhsa_user_sgpr_flat_scratch_init 0
		.amdhsa_user_sgpr_private_segment_size 0
		.amdhsa_wavefront_size32 1
		.amdhsa_uses_dynamic_stack 0
		.amdhsa_system_sgpr_private_segment_wavefront_offset 0
		.amdhsa_system_sgpr_workgroup_id_x 1
		.amdhsa_system_sgpr_workgroup_id_y 0
		.amdhsa_system_sgpr_workgroup_id_z 0
		.amdhsa_system_sgpr_workgroup_info 0
		.amdhsa_system_vgpr_workitem_id 0
		.amdhsa_next_free_vgpr 13
		.amdhsa_next_free_sgpr 16
		.amdhsa_reserve_vcc 1
		.amdhsa_reserve_flat_scratch 0
		.amdhsa_float_round_mode_32 0
		.amdhsa_float_round_mode_16_64 0
		.amdhsa_float_denorm_mode_32 3
		.amdhsa_float_denorm_mode_16_64 3
		.amdhsa_dx10_clamp 1
		.amdhsa_ieee_mode 1
		.amdhsa_fp16_overflow 0
		.amdhsa_workgroup_processor_mode 1
		.amdhsa_memory_ordered 1
		.amdhsa_forward_progress 1
		.amdhsa_shared_vgpr_count 0
		.amdhsa_exception_fp_ieee_invalid_op 0
		.amdhsa_exception_fp_denorm_src 0
		.amdhsa_exception_fp_ieee_div_zero 0
		.amdhsa_exception_fp_ieee_overflow 0
		.amdhsa_exception_fp_ieee_underflow 0
		.amdhsa_exception_fp_ieee_inexact 0
		.amdhsa_exception_int_div_zero 0
	.end_amdhsa_kernel
	.section	.text._ZN7rocprim17ROCPRIM_400000_NS6detail17trampoline_kernelINS0_14default_configENS1_21merge_config_selectorINS0_5tupleIJssEEENS0_10empty_typeEEEZNS1_10merge_implIS3_NS0_12zip_iteratorINS5_IJN6thrust23THRUST_200600_302600_NS6detail15normal_iteratorINSC_10device_ptrIKsEEEESI_EEEEESK_NSA_INS5_IJNSC_16discard_iteratorINSC_11use_defaultEEESN_EEEEEPS7_SQ_SQ_NSC_11hip_rocprim7__merge17predicate_wrapperIssNSC_4lessIsEEEEEE10hipError_tPvRmT0_T1_T2_T3_T4_T5_mmT6_P12ihipStream_tbEUlT_E_NS1_11comp_targetILNS1_3genE8ELNS1_11target_archE1030ELNS1_3gpuE2ELNS1_3repE0EEENS1_30default_config_static_selectorELNS0_4arch9wavefront6targetE0EEEvS11_,"axG",@progbits,_ZN7rocprim17ROCPRIM_400000_NS6detail17trampoline_kernelINS0_14default_configENS1_21merge_config_selectorINS0_5tupleIJssEEENS0_10empty_typeEEEZNS1_10merge_implIS3_NS0_12zip_iteratorINS5_IJN6thrust23THRUST_200600_302600_NS6detail15normal_iteratorINSC_10device_ptrIKsEEEESI_EEEEESK_NSA_INS5_IJNSC_16discard_iteratorINSC_11use_defaultEEESN_EEEEEPS7_SQ_SQ_NSC_11hip_rocprim7__merge17predicate_wrapperIssNSC_4lessIsEEEEEE10hipError_tPvRmT0_T1_T2_T3_T4_T5_mmT6_P12ihipStream_tbEUlT_E_NS1_11comp_targetILNS1_3genE8ELNS1_11target_archE1030ELNS1_3gpuE2ELNS1_3repE0EEENS1_30default_config_static_selectorELNS0_4arch9wavefront6targetE0EEEvS11_,comdat
.Lfunc_end613:
	.size	_ZN7rocprim17ROCPRIM_400000_NS6detail17trampoline_kernelINS0_14default_configENS1_21merge_config_selectorINS0_5tupleIJssEEENS0_10empty_typeEEEZNS1_10merge_implIS3_NS0_12zip_iteratorINS5_IJN6thrust23THRUST_200600_302600_NS6detail15normal_iteratorINSC_10device_ptrIKsEEEESI_EEEEESK_NSA_INS5_IJNSC_16discard_iteratorINSC_11use_defaultEEESN_EEEEEPS7_SQ_SQ_NSC_11hip_rocprim7__merge17predicate_wrapperIssNSC_4lessIsEEEEEE10hipError_tPvRmT0_T1_T2_T3_T4_T5_mmT6_P12ihipStream_tbEUlT_E_NS1_11comp_targetILNS1_3genE8ELNS1_11target_archE1030ELNS1_3gpuE2ELNS1_3repE0EEENS1_30default_config_static_selectorELNS0_4arch9wavefront6targetE0EEEvS11_, .Lfunc_end613-_ZN7rocprim17ROCPRIM_400000_NS6detail17trampoline_kernelINS0_14default_configENS1_21merge_config_selectorINS0_5tupleIJssEEENS0_10empty_typeEEEZNS1_10merge_implIS3_NS0_12zip_iteratorINS5_IJN6thrust23THRUST_200600_302600_NS6detail15normal_iteratorINSC_10device_ptrIKsEEEESI_EEEEESK_NSA_INS5_IJNSC_16discard_iteratorINSC_11use_defaultEEESN_EEEEEPS7_SQ_SQ_NSC_11hip_rocprim7__merge17predicate_wrapperIssNSC_4lessIsEEEEEE10hipError_tPvRmT0_T1_T2_T3_T4_T5_mmT6_P12ihipStream_tbEUlT_E_NS1_11comp_targetILNS1_3genE8ELNS1_11target_archE1030ELNS1_3gpuE2ELNS1_3repE0EEENS1_30default_config_static_selectorELNS0_4arch9wavefront6targetE0EEEvS11_
                                        ; -- End function
	.set _ZN7rocprim17ROCPRIM_400000_NS6detail17trampoline_kernelINS0_14default_configENS1_21merge_config_selectorINS0_5tupleIJssEEENS0_10empty_typeEEEZNS1_10merge_implIS3_NS0_12zip_iteratorINS5_IJN6thrust23THRUST_200600_302600_NS6detail15normal_iteratorINSC_10device_ptrIKsEEEESI_EEEEESK_NSA_INS5_IJNSC_16discard_iteratorINSC_11use_defaultEEESN_EEEEEPS7_SQ_SQ_NSC_11hip_rocprim7__merge17predicate_wrapperIssNSC_4lessIsEEEEEE10hipError_tPvRmT0_T1_T2_T3_T4_T5_mmT6_P12ihipStream_tbEUlT_E_NS1_11comp_targetILNS1_3genE8ELNS1_11target_archE1030ELNS1_3gpuE2ELNS1_3repE0EEENS1_30default_config_static_selectorELNS0_4arch9wavefront6targetE0EEEvS11_.num_vgpr, 13
	.set _ZN7rocprim17ROCPRIM_400000_NS6detail17trampoline_kernelINS0_14default_configENS1_21merge_config_selectorINS0_5tupleIJssEEENS0_10empty_typeEEEZNS1_10merge_implIS3_NS0_12zip_iteratorINS5_IJN6thrust23THRUST_200600_302600_NS6detail15normal_iteratorINSC_10device_ptrIKsEEEESI_EEEEESK_NSA_INS5_IJNSC_16discard_iteratorINSC_11use_defaultEEESN_EEEEEPS7_SQ_SQ_NSC_11hip_rocprim7__merge17predicate_wrapperIssNSC_4lessIsEEEEEE10hipError_tPvRmT0_T1_T2_T3_T4_T5_mmT6_P12ihipStream_tbEUlT_E_NS1_11comp_targetILNS1_3genE8ELNS1_11target_archE1030ELNS1_3gpuE2ELNS1_3repE0EEENS1_30default_config_static_selectorELNS0_4arch9wavefront6targetE0EEEvS11_.num_agpr, 0
	.set _ZN7rocprim17ROCPRIM_400000_NS6detail17trampoline_kernelINS0_14default_configENS1_21merge_config_selectorINS0_5tupleIJssEEENS0_10empty_typeEEEZNS1_10merge_implIS3_NS0_12zip_iteratorINS5_IJN6thrust23THRUST_200600_302600_NS6detail15normal_iteratorINSC_10device_ptrIKsEEEESI_EEEEESK_NSA_INS5_IJNSC_16discard_iteratorINSC_11use_defaultEEESN_EEEEEPS7_SQ_SQ_NSC_11hip_rocprim7__merge17predicate_wrapperIssNSC_4lessIsEEEEEE10hipError_tPvRmT0_T1_T2_T3_T4_T5_mmT6_P12ihipStream_tbEUlT_E_NS1_11comp_targetILNS1_3genE8ELNS1_11target_archE1030ELNS1_3gpuE2ELNS1_3repE0EEENS1_30default_config_static_selectorELNS0_4arch9wavefront6targetE0EEEvS11_.numbered_sgpr, 16
	.set _ZN7rocprim17ROCPRIM_400000_NS6detail17trampoline_kernelINS0_14default_configENS1_21merge_config_selectorINS0_5tupleIJssEEENS0_10empty_typeEEEZNS1_10merge_implIS3_NS0_12zip_iteratorINS5_IJN6thrust23THRUST_200600_302600_NS6detail15normal_iteratorINSC_10device_ptrIKsEEEESI_EEEEESK_NSA_INS5_IJNSC_16discard_iteratorINSC_11use_defaultEEESN_EEEEEPS7_SQ_SQ_NSC_11hip_rocprim7__merge17predicate_wrapperIssNSC_4lessIsEEEEEE10hipError_tPvRmT0_T1_T2_T3_T4_T5_mmT6_P12ihipStream_tbEUlT_E_NS1_11comp_targetILNS1_3genE8ELNS1_11target_archE1030ELNS1_3gpuE2ELNS1_3repE0EEENS1_30default_config_static_selectorELNS0_4arch9wavefront6targetE0EEEvS11_.num_named_barrier, 0
	.set _ZN7rocprim17ROCPRIM_400000_NS6detail17trampoline_kernelINS0_14default_configENS1_21merge_config_selectorINS0_5tupleIJssEEENS0_10empty_typeEEEZNS1_10merge_implIS3_NS0_12zip_iteratorINS5_IJN6thrust23THRUST_200600_302600_NS6detail15normal_iteratorINSC_10device_ptrIKsEEEESI_EEEEESK_NSA_INS5_IJNSC_16discard_iteratorINSC_11use_defaultEEESN_EEEEEPS7_SQ_SQ_NSC_11hip_rocprim7__merge17predicate_wrapperIssNSC_4lessIsEEEEEE10hipError_tPvRmT0_T1_T2_T3_T4_T5_mmT6_P12ihipStream_tbEUlT_E_NS1_11comp_targetILNS1_3genE8ELNS1_11target_archE1030ELNS1_3gpuE2ELNS1_3repE0EEENS1_30default_config_static_selectorELNS0_4arch9wavefront6targetE0EEEvS11_.private_seg_size, 0
	.set _ZN7rocprim17ROCPRIM_400000_NS6detail17trampoline_kernelINS0_14default_configENS1_21merge_config_selectorINS0_5tupleIJssEEENS0_10empty_typeEEEZNS1_10merge_implIS3_NS0_12zip_iteratorINS5_IJN6thrust23THRUST_200600_302600_NS6detail15normal_iteratorINSC_10device_ptrIKsEEEESI_EEEEESK_NSA_INS5_IJNSC_16discard_iteratorINSC_11use_defaultEEESN_EEEEEPS7_SQ_SQ_NSC_11hip_rocprim7__merge17predicate_wrapperIssNSC_4lessIsEEEEEE10hipError_tPvRmT0_T1_T2_T3_T4_T5_mmT6_P12ihipStream_tbEUlT_E_NS1_11comp_targetILNS1_3genE8ELNS1_11target_archE1030ELNS1_3gpuE2ELNS1_3repE0EEENS1_30default_config_static_selectorELNS0_4arch9wavefront6targetE0EEEvS11_.uses_vcc, 1
	.set _ZN7rocprim17ROCPRIM_400000_NS6detail17trampoline_kernelINS0_14default_configENS1_21merge_config_selectorINS0_5tupleIJssEEENS0_10empty_typeEEEZNS1_10merge_implIS3_NS0_12zip_iteratorINS5_IJN6thrust23THRUST_200600_302600_NS6detail15normal_iteratorINSC_10device_ptrIKsEEEESI_EEEEESK_NSA_INS5_IJNSC_16discard_iteratorINSC_11use_defaultEEESN_EEEEEPS7_SQ_SQ_NSC_11hip_rocprim7__merge17predicate_wrapperIssNSC_4lessIsEEEEEE10hipError_tPvRmT0_T1_T2_T3_T4_T5_mmT6_P12ihipStream_tbEUlT_E_NS1_11comp_targetILNS1_3genE8ELNS1_11target_archE1030ELNS1_3gpuE2ELNS1_3repE0EEENS1_30default_config_static_selectorELNS0_4arch9wavefront6targetE0EEEvS11_.uses_flat_scratch, 0
	.set _ZN7rocprim17ROCPRIM_400000_NS6detail17trampoline_kernelINS0_14default_configENS1_21merge_config_selectorINS0_5tupleIJssEEENS0_10empty_typeEEEZNS1_10merge_implIS3_NS0_12zip_iteratorINS5_IJN6thrust23THRUST_200600_302600_NS6detail15normal_iteratorINSC_10device_ptrIKsEEEESI_EEEEESK_NSA_INS5_IJNSC_16discard_iteratorINSC_11use_defaultEEESN_EEEEEPS7_SQ_SQ_NSC_11hip_rocprim7__merge17predicate_wrapperIssNSC_4lessIsEEEEEE10hipError_tPvRmT0_T1_T2_T3_T4_T5_mmT6_P12ihipStream_tbEUlT_E_NS1_11comp_targetILNS1_3genE8ELNS1_11target_archE1030ELNS1_3gpuE2ELNS1_3repE0EEENS1_30default_config_static_selectorELNS0_4arch9wavefront6targetE0EEEvS11_.has_dyn_sized_stack, 0
	.set _ZN7rocprim17ROCPRIM_400000_NS6detail17trampoline_kernelINS0_14default_configENS1_21merge_config_selectorINS0_5tupleIJssEEENS0_10empty_typeEEEZNS1_10merge_implIS3_NS0_12zip_iteratorINS5_IJN6thrust23THRUST_200600_302600_NS6detail15normal_iteratorINSC_10device_ptrIKsEEEESI_EEEEESK_NSA_INS5_IJNSC_16discard_iteratorINSC_11use_defaultEEESN_EEEEEPS7_SQ_SQ_NSC_11hip_rocprim7__merge17predicate_wrapperIssNSC_4lessIsEEEEEE10hipError_tPvRmT0_T1_T2_T3_T4_T5_mmT6_P12ihipStream_tbEUlT_E_NS1_11comp_targetILNS1_3genE8ELNS1_11target_archE1030ELNS1_3gpuE2ELNS1_3repE0EEENS1_30default_config_static_selectorELNS0_4arch9wavefront6targetE0EEEvS11_.has_recursion, 0
	.set _ZN7rocprim17ROCPRIM_400000_NS6detail17trampoline_kernelINS0_14default_configENS1_21merge_config_selectorINS0_5tupleIJssEEENS0_10empty_typeEEEZNS1_10merge_implIS3_NS0_12zip_iteratorINS5_IJN6thrust23THRUST_200600_302600_NS6detail15normal_iteratorINSC_10device_ptrIKsEEEESI_EEEEESK_NSA_INS5_IJNSC_16discard_iteratorINSC_11use_defaultEEESN_EEEEEPS7_SQ_SQ_NSC_11hip_rocprim7__merge17predicate_wrapperIssNSC_4lessIsEEEEEE10hipError_tPvRmT0_T1_T2_T3_T4_T5_mmT6_P12ihipStream_tbEUlT_E_NS1_11comp_targetILNS1_3genE8ELNS1_11target_archE1030ELNS1_3gpuE2ELNS1_3repE0EEENS1_30default_config_static_selectorELNS0_4arch9wavefront6targetE0EEEvS11_.has_indirect_call, 0
	.section	.AMDGPU.csdata,"",@progbits
; Kernel info:
; codeLenInByte = 516
; TotalNumSgprs: 18
; NumVgprs: 13
; ScratchSize: 0
; MemoryBound: 0
; FloatMode: 240
; IeeeMode: 1
; LDSByteSize: 0 bytes/workgroup (compile time only)
; SGPRBlocks: 0
; VGPRBlocks: 1
; NumSGPRsForWavesPerEU: 18
; NumVGPRsForWavesPerEU: 13
; Occupancy: 16
; WaveLimiterHint : 0
; COMPUTE_PGM_RSRC2:SCRATCH_EN: 0
; COMPUTE_PGM_RSRC2:USER_SGPR: 6
; COMPUTE_PGM_RSRC2:TRAP_HANDLER: 0
; COMPUTE_PGM_RSRC2:TGID_X_EN: 1
; COMPUTE_PGM_RSRC2:TGID_Y_EN: 0
; COMPUTE_PGM_RSRC2:TGID_Z_EN: 0
; COMPUTE_PGM_RSRC2:TIDIG_COMP_CNT: 0
	.section	.text._ZN7rocprim17ROCPRIM_400000_NS6detail17trampoline_kernelINS0_14default_configENS1_21merge_config_selectorINS0_5tupleIJssEEENS0_10empty_typeEEEZNS1_10merge_implIS3_NS0_12zip_iteratorINS5_IJN6thrust23THRUST_200600_302600_NS6detail15normal_iteratorINSC_10device_ptrIKsEEEESI_EEEEESK_NSA_INS5_IJNSC_16discard_iteratorINSC_11use_defaultEEESN_EEEEEPS7_SQ_SQ_NSC_11hip_rocprim7__merge17predicate_wrapperIssNSC_4lessIsEEEEEE10hipError_tPvRmT0_T1_T2_T3_T4_T5_mmT6_P12ihipStream_tbEUlT_E0_NS1_11comp_targetILNS1_3genE0ELNS1_11target_archE4294967295ELNS1_3gpuE0ELNS1_3repE0EEENS1_30default_config_static_selectorELNS0_4arch9wavefront6targetE0EEEvS11_,"axG",@progbits,_ZN7rocprim17ROCPRIM_400000_NS6detail17trampoline_kernelINS0_14default_configENS1_21merge_config_selectorINS0_5tupleIJssEEENS0_10empty_typeEEEZNS1_10merge_implIS3_NS0_12zip_iteratorINS5_IJN6thrust23THRUST_200600_302600_NS6detail15normal_iteratorINSC_10device_ptrIKsEEEESI_EEEEESK_NSA_INS5_IJNSC_16discard_iteratorINSC_11use_defaultEEESN_EEEEEPS7_SQ_SQ_NSC_11hip_rocprim7__merge17predicate_wrapperIssNSC_4lessIsEEEEEE10hipError_tPvRmT0_T1_T2_T3_T4_T5_mmT6_P12ihipStream_tbEUlT_E0_NS1_11comp_targetILNS1_3genE0ELNS1_11target_archE4294967295ELNS1_3gpuE0ELNS1_3repE0EEENS1_30default_config_static_selectorELNS0_4arch9wavefront6targetE0EEEvS11_,comdat
	.protected	_ZN7rocprim17ROCPRIM_400000_NS6detail17trampoline_kernelINS0_14default_configENS1_21merge_config_selectorINS0_5tupleIJssEEENS0_10empty_typeEEEZNS1_10merge_implIS3_NS0_12zip_iteratorINS5_IJN6thrust23THRUST_200600_302600_NS6detail15normal_iteratorINSC_10device_ptrIKsEEEESI_EEEEESK_NSA_INS5_IJNSC_16discard_iteratorINSC_11use_defaultEEESN_EEEEEPS7_SQ_SQ_NSC_11hip_rocprim7__merge17predicate_wrapperIssNSC_4lessIsEEEEEE10hipError_tPvRmT0_T1_T2_T3_T4_T5_mmT6_P12ihipStream_tbEUlT_E0_NS1_11comp_targetILNS1_3genE0ELNS1_11target_archE4294967295ELNS1_3gpuE0ELNS1_3repE0EEENS1_30default_config_static_selectorELNS0_4arch9wavefront6targetE0EEEvS11_ ; -- Begin function _ZN7rocprim17ROCPRIM_400000_NS6detail17trampoline_kernelINS0_14default_configENS1_21merge_config_selectorINS0_5tupleIJssEEENS0_10empty_typeEEEZNS1_10merge_implIS3_NS0_12zip_iteratorINS5_IJN6thrust23THRUST_200600_302600_NS6detail15normal_iteratorINSC_10device_ptrIKsEEEESI_EEEEESK_NSA_INS5_IJNSC_16discard_iteratorINSC_11use_defaultEEESN_EEEEEPS7_SQ_SQ_NSC_11hip_rocprim7__merge17predicate_wrapperIssNSC_4lessIsEEEEEE10hipError_tPvRmT0_T1_T2_T3_T4_T5_mmT6_P12ihipStream_tbEUlT_E0_NS1_11comp_targetILNS1_3genE0ELNS1_11target_archE4294967295ELNS1_3gpuE0ELNS1_3repE0EEENS1_30default_config_static_selectorELNS0_4arch9wavefront6targetE0EEEvS11_
	.globl	_ZN7rocprim17ROCPRIM_400000_NS6detail17trampoline_kernelINS0_14default_configENS1_21merge_config_selectorINS0_5tupleIJssEEENS0_10empty_typeEEEZNS1_10merge_implIS3_NS0_12zip_iteratorINS5_IJN6thrust23THRUST_200600_302600_NS6detail15normal_iteratorINSC_10device_ptrIKsEEEESI_EEEEESK_NSA_INS5_IJNSC_16discard_iteratorINSC_11use_defaultEEESN_EEEEEPS7_SQ_SQ_NSC_11hip_rocprim7__merge17predicate_wrapperIssNSC_4lessIsEEEEEE10hipError_tPvRmT0_T1_T2_T3_T4_T5_mmT6_P12ihipStream_tbEUlT_E0_NS1_11comp_targetILNS1_3genE0ELNS1_11target_archE4294967295ELNS1_3gpuE0ELNS1_3repE0EEENS1_30default_config_static_selectorELNS0_4arch9wavefront6targetE0EEEvS11_
	.p2align	8
	.type	_ZN7rocprim17ROCPRIM_400000_NS6detail17trampoline_kernelINS0_14default_configENS1_21merge_config_selectorINS0_5tupleIJssEEENS0_10empty_typeEEEZNS1_10merge_implIS3_NS0_12zip_iteratorINS5_IJN6thrust23THRUST_200600_302600_NS6detail15normal_iteratorINSC_10device_ptrIKsEEEESI_EEEEESK_NSA_INS5_IJNSC_16discard_iteratorINSC_11use_defaultEEESN_EEEEEPS7_SQ_SQ_NSC_11hip_rocprim7__merge17predicate_wrapperIssNSC_4lessIsEEEEEE10hipError_tPvRmT0_T1_T2_T3_T4_T5_mmT6_P12ihipStream_tbEUlT_E0_NS1_11comp_targetILNS1_3genE0ELNS1_11target_archE4294967295ELNS1_3gpuE0ELNS1_3repE0EEENS1_30default_config_static_selectorELNS0_4arch9wavefront6targetE0EEEvS11_,@function
_ZN7rocprim17ROCPRIM_400000_NS6detail17trampoline_kernelINS0_14default_configENS1_21merge_config_selectorINS0_5tupleIJssEEENS0_10empty_typeEEEZNS1_10merge_implIS3_NS0_12zip_iteratorINS5_IJN6thrust23THRUST_200600_302600_NS6detail15normal_iteratorINSC_10device_ptrIKsEEEESI_EEEEESK_NSA_INS5_IJNSC_16discard_iteratorINSC_11use_defaultEEESN_EEEEEPS7_SQ_SQ_NSC_11hip_rocprim7__merge17predicate_wrapperIssNSC_4lessIsEEEEEE10hipError_tPvRmT0_T1_T2_T3_T4_T5_mmT6_P12ihipStream_tbEUlT_E0_NS1_11comp_targetILNS1_3genE0ELNS1_11target_archE4294967295ELNS1_3gpuE0ELNS1_3repE0EEENS1_30default_config_static_selectorELNS0_4arch9wavefront6targetE0EEEvS11_: ; @_ZN7rocprim17ROCPRIM_400000_NS6detail17trampoline_kernelINS0_14default_configENS1_21merge_config_selectorINS0_5tupleIJssEEENS0_10empty_typeEEEZNS1_10merge_implIS3_NS0_12zip_iteratorINS5_IJN6thrust23THRUST_200600_302600_NS6detail15normal_iteratorINSC_10device_ptrIKsEEEESI_EEEEESK_NSA_INS5_IJNSC_16discard_iteratorINSC_11use_defaultEEESN_EEEEEPS7_SQ_SQ_NSC_11hip_rocprim7__merge17predicate_wrapperIssNSC_4lessIsEEEEEE10hipError_tPvRmT0_T1_T2_T3_T4_T5_mmT6_P12ihipStream_tbEUlT_E0_NS1_11comp_targetILNS1_3genE0ELNS1_11target_archE4294967295ELNS1_3gpuE0ELNS1_3repE0EEENS1_30default_config_static_selectorELNS0_4arch9wavefront6targetE0EEEvS11_
; %bb.0:
	.section	.rodata,"a",@progbits
	.p2align	6, 0x0
	.amdhsa_kernel _ZN7rocprim17ROCPRIM_400000_NS6detail17trampoline_kernelINS0_14default_configENS1_21merge_config_selectorINS0_5tupleIJssEEENS0_10empty_typeEEEZNS1_10merge_implIS3_NS0_12zip_iteratorINS5_IJN6thrust23THRUST_200600_302600_NS6detail15normal_iteratorINSC_10device_ptrIKsEEEESI_EEEEESK_NSA_INS5_IJNSC_16discard_iteratorINSC_11use_defaultEEESN_EEEEEPS7_SQ_SQ_NSC_11hip_rocprim7__merge17predicate_wrapperIssNSC_4lessIsEEEEEE10hipError_tPvRmT0_T1_T2_T3_T4_T5_mmT6_P12ihipStream_tbEUlT_E0_NS1_11comp_targetILNS1_3genE0ELNS1_11target_archE4294967295ELNS1_3gpuE0ELNS1_3repE0EEENS1_30default_config_static_selectorELNS0_4arch9wavefront6targetE0EEEvS11_
		.amdhsa_group_segment_fixed_size 0
		.amdhsa_private_segment_fixed_size 0
		.amdhsa_kernarg_size 128
		.amdhsa_user_sgpr_count 6
		.amdhsa_user_sgpr_private_segment_buffer 1
		.amdhsa_user_sgpr_dispatch_ptr 0
		.amdhsa_user_sgpr_queue_ptr 0
		.amdhsa_user_sgpr_kernarg_segment_ptr 1
		.amdhsa_user_sgpr_dispatch_id 0
		.amdhsa_user_sgpr_flat_scratch_init 0
		.amdhsa_user_sgpr_private_segment_size 0
		.amdhsa_wavefront_size32 1
		.amdhsa_uses_dynamic_stack 0
		.amdhsa_system_sgpr_private_segment_wavefront_offset 0
		.amdhsa_system_sgpr_workgroup_id_x 1
		.amdhsa_system_sgpr_workgroup_id_y 0
		.amdhsa_system_sgpr_workgroup_id_z 0
		.amdhsa_system_sgpr_workgroup_info 0
		.amdhsa_system_vgpr_workitem_id 0
		.amdhsa_next_free_vgpr 1
		.amdhsa_next_free_sgpr 1
		.amdhsa_reserve_vcc 0
		.amdhsa_reserve_flat_scratch 0
		.amdhsa_float_round_mode_32 0
		.amdhsa_float_round_mode_16_64 0
		.amdhsa_float_denorm_mode_32 3
		.amdhsa_float_denorm_mode_16_64 3
		.amdhsa_dx10_clamp 1
		.amdhsa_ieee_mode 1
		.amdhsa_fp16_overflow 0
		.amdhsa_workgroup_processor_mode 1
		.amdhsa_memory_ordered 1
		.amdhsa_forward_progress 1
		.amdhsa_shared_vgpr_count 0
		.amdhsa_exception_fp_ieee_invalid_op 0
		.amdhsa_exception_fp_denorm_src 0
		.amdhsa_exception_fp_ieee_div_zero 0
		.amdhsa_exception_fp_ieee_overflow 0
		.amdhsa_exception_fp_ieee_underflow 0
		.amdhsa_exception_fp_ieee_inexact 0
		.amdhsa_exception_int_div_zero 0
	.end_amdhsa_kernel
	.section	.text._ZN7rocprim17ROCPRIM_400000_NS6detail17trampoline_kernelINS0_14default_configENS1_21merge_config_selectorINS0_5tupleIJssEEENS0_10empty_typeEEEZNS1_10merge_implIS3_NS0_12zip_iteratorINS5_IJN6thrust23THRUST_200600_302600_NS6detail15normal_iteratorINSC_10device_ptrIKsEEEESI_EEEEESK_NSA_INS5_IJNSC_16discard_iteratorINSC_11use_defaultEEESN_EEEEEPS7_SQ_SQ_NSC_11hip_rocprim7__merge17predicate_wrapperIssNSC_4lessIsEEEEEE10hipError_tPvRmT0_T1_T2_T3_T4_T5_mmT6_P12ihipStream_tbEUlT_E0_NS1_11comp_targetILNS1_3genE0ELNS1_11target_archE4294967295ELNS1_3gpuE0ELNS1_3repE0EEENS1_30default_config_static_selectorELNS0_4arch9wavefront6targetE0EEEvS11_,"axG",@progbits,_ZN7rocprim17ROCPRIM_400000_NS6detail17trampoline_kernelINS0_14default_configENS1_21merge_config_selectorINS0_5tupleIJssEEENS0_10empty_typeEEEZNS1_10merge_implIS3_NS0_12zip_iteratorINS5_IJN6thrust23THRUST_200600_302600_NS6detail15normal_iteratorINSC_10device_ptrIKsEEEESI_EEEEESK_NSA_INS5_IJNSC_16discard_iteratorINSC_11use_defaultEEESN_EEEEEPS7_SQ_SQ_NSC_11hip_rocprim7__merge17predicate_wrapperIssNSC_4lessIsEEEEEE10hipError_tPvRmT0_T1_T2_T3_T4_T5_mmT6_P12ihipStream_tbEUlT_E0_NS1_11comp_targetILNS1_3genE0ELNS1_11target_archE4294967295ELNS1_3gpuE0ELNS1_3repE0EEENS1_30default_config_static_selectorELNS0_4arch9wavefront6targetE0EEEvS11_,comdat
.Lfunc_end614:
	.size	_ZN7rocprim17ROCPRIM_400000_NS6detail17trampoline_kernelINS0_14default_configENS1_21merge_config_selectorINS0_5tupleIJssEEENS0_10empty_typeEEEZNS1_10merge_implIS3_NS0_12zip_iteratorINS5_IJN6thrust23THRUST_200600_302600_NS6detail15normal_iteratorINSC_10device_ptrIKsEEEESI_EEEEESK_NSA_INS5_IJNSC_16discard_iteratorINSC_11use_defaultEEESN_EEEEEPS7_SQ_SQ_NSC_11hip_rocprim7__merge17predicate_wrapperIssNSC_4lessIsEEEEEE10hipError_tPvRmT0_T1_T2_T3_T4_T5_mmT6_P12ihipStream_tbEUlT_E0_NS1_11comp_targetILNS1_3genE0ELNS1_11target_archE4294967295ELNS1_3gpuE0ELNS1_3repE0EEENS1_30default_config_static_selectorELNS0_4arch9wavefront6targetE0EEEvS11_, .Lfunc_end614-_ZN7rocprim17ROCPRIM_400000_NS6detail17trampoline_kernelINS0_14default_configENS1_21merge_config_selectorINS0_5tupleIJssEEENS0_10empty_typeEEEZNS1_10merge_implIS3_NS0_12zip_iteratorINS5_IJN6thrust23THRUST_200600_302600_NS6detail15normal_iteratorINSC_10device_ptrIKsEEEESI_EEEEESK_NSA_INS5_IJNSC_16discard_iteratorINSC_11use_defaultEEESN_EEEEEPS7_SQ_SQ_NSC_11hip_rocprim7__merge17predicate_wrapperIssNSC_4lessIsEEEEEE10hipError_tPvRmT0_T1_T2_T3_T4_T5_mmT6_P12ihipStream_tbEUlT_E0_NS1_11comp_targetILNS1_3genE0ELNS1_11target_archE4294967295ELNS1_3gpuE0ELNS1_3repE0EEENS1_30default_config_static_selectorELNS0_4arch9wavefront6targetE0EEEvS11_
                                        ; -- End function
	.set _ZN7rocprim17ROCPRIM_400000_NS6detail17trampoline_kernelINS0_14default_configENS1_21merge_config_selectorINS0_5tupleIJssEEENS0_10empty_typeEEEZNS1_10merge_implIS3_NS0_12zip_iteratorINS5_IJN6thrust23THRUST_200600_302600_NS6detail15normal_iteratorINSC_10device_ptrIKsEEEESI_EEEEESK_NSA_INS5_IJNSC_16discard_iteratorINSC_11use_defaultEEESN_EEEEEPS7_SQ_SQ_NSC_11hip_rocprim7__merge17predicate_wrapperIssNSC_4lessIsEEEEEE10hipError_tPvRmT0_T1_T2_T3_T4_T5_mmT6_P12ihipStream_tbEUlT_E0_NS1_11comp_targetILNS1_3genE0ELNS1_11target_archE4294967295ELNS1_3gpuE0ELNS1_3repE0EEENS1_30default_config_static_selectorELNS0_4arch9wavefront6targetE0EEEvS11_.num_vgpr, 0
	.set _ZN7rocprim17ROCPRIM_400000_NS6detail17trampoline_kernelINS0_14default_configENS1_21merge_config_selectorINS0_5tupleIJssEEENS0_10empty_typeEEEZNS1_10merge_implIS3_NS0_12zip_iteratorINS5_IJN6thrust23THRUST_200600_302600_NS6detail15normal_iteratorINSC_10device_ptrIKsEEEESI_EEEEESK_NSA_INS5_IJNSC_16discard_iteratorINSC_11use_defaultEEESN_EEEEEPS7_SQ_SQ_NSC_11hip_rocprim7__merge17predicate_wrapperIssNSC_4lessIsEEEEEE10hipError_tPvRmT0_T1_T2_T3_T4_T5_mmT6_P12ihipStream_tbEUlT_E0_NS1_11comp_targetILNS1_3genE0ELNS1_11target_archE4294967295ELNS1_3gpuE0ELNS1_3repE0EEENS1_30default_config_static_selectorELNS0_4arch9wavefront6targetE0EEEvS11_.num_agpr, 0
	.set _ZN7rocprim17ROCPRIM_400000_NS6detail17trampoline_kernelINS0_14default_configENS1_21merge_config_selectorINS0_5tupleIJssEEENS0_10empty_typeEEEZNS1_10merge_implIS3_NS0_12zip_iteratorINS5_IJN6thrust23THRUST_200600_302600_NS6detail15normal_iteratorINSC_10device_ptrIKsEEEESI_EEEEESK_NSA_INS5_IJNSC_16discard_iteratorINSC_11use_defaultEEESN_EEEEEPS7_SQ_SQ_NSC_11hip_rocprim7__merge17predicate_wrapperIssNSC_4lessIsEEEEEE10hipError_tPvRmT0_T1_T2_T3_T4_T5_mmT6_P12ihipStream_tbEUlT_E0_NS1_11comp_targetILNS1_3genE0ELNS1_11target_archE4294967295ELNS1_3gpuE0ELNS1_3repE0EEENS1_30default_config_static_selectorELNS0_4arch9wavefront6targetE0EEEvS11_.numbered_sgpr, 0
	.set _ZN7rocprim17ROCPRIM_400000_NS6detail17trampoline_kernelINS0_14default_configENS1_21merge_config_selectorINS0_5tupleIJssEEENS0_10empty_typeEEEZNS1_10merge_implIS3_NS0_12zip_iteratorINS5_IJN6thrust23THRUST_200600_302600_NS6detail15normal_iteratorINSC_10device_ptrIKsEEEESI_EEEEESK_NSA_INS5_IJNSC_16discard_iteratorINSC_11use_defaultEEESN_EEEEEPS7_SQ_SQ_NSC_11hip_rocprim7__merge17predicate_wrapperIssNSC_4lessIsEEEEEE10hipError_tPvRmT0_T1_T2_T3_T4_T5_mmT6_P12ihipStream_tbEUlT_E0_NS1_11comp_targetILNS1_3genE0ELNS1_11target_archE4294967295ELNS1_3gpuE0ELNS1_3repE0EEENS1_30default_config_static_selectorELNS0_4arch9wavefront6targetE0EEEvS11_.num_named_barrier, 0
	.set _ZN7rocprim17ROCPRIM_400000_NS6detail17trampoline_kernelINS0_14default_configENS1_21merge_config_selectorINS0_5tupleIJssEEENS0_10empty_typeEEEZNS1_10merge_implIS3_NS0_12zip_iteratorINS5_IJN6thrust23THRUST_200600_302600_NS6detail15normal_iteratorINSC_10device_ptrIKsEEEESI_EEEEESK_NSA_INS5_IJNSC_16discard_iteratorINSC_11use_defaultEEESN_EEEEEPS7_SQ_SQ_NSC_11hip_rocprim7__merge17predicate_wrapperIssNSC_4lessIsEEEEEE10hipError_tPvRmT0_T1_T2_T3_T4_T5_mmT6_P12ihipStream_tbEUlT_E0_NS1_11comp_targetILNS1_3genE0ELNS1_11target_archE4294967295ELNS1_3gpuE0ELNS1_3repE0EEENS1_30default_config_static_selectorELNS0_4arch9wavefront6targetE0EEEvS11_.private_seg_size, 0
	.set _ZN7rocprim17ROCPRIM_400000_NS6detail17trampoline_kernelINS0_14default_configENS1_21merge_config_selectorINS0_5tupleIJssEEENS0_10empty_typeEEEZNS1_10merge_implIS3_NS0_12zip_iteratorINS5_IJN6thrust23THRUST_200600_302600_NS6detail15normal_iteratorINSC_10device_ptrIKsEEEESI_EEEEESK_NSA_INS5_IJNSC_16discard_iteratorINSC_11use_defaultEEESN_EEEEEPS7_SQ_SQ_NSC_11hip_rocprim7__merge17predicate_wrapperIssNSC_4lessIsEEEEEE10hipError_tPvRmT0_T1_T2_T3_T4_T5_mmT6_P12ihipStream_tbEUlT_E0_NS1_11comp_targetILNS1_3genE0ELNS1_11target_archE4294967295ELNS1_3gpuE0ELNS1_3repE0EEENS1_30default_config_static_selectorELNS0_4arch9wavefront6targetE0EEEvS11_.uses_vcc, 0
	.set _ZN7rocprim17ROCPRIM_400000_NS6detail17trampoline_kernelINS0_14default_configENS1_21merge_config_selectorINS0_5tupleIJssEEENS0_10empty_typeEEEZNS1_10merge_implIS3_NS0_12zip_iteratorINS5_IJN6thrust23THRUST_200600_302600_NS6detail15normal_iteratorINSC_10device_ptrIKsEEEESI_EEEEESK_NSA_INS5_IJNSC_16discard_iteratorINSC_11use_defaultEEESN_EEEEEPS7_SQ_SQ_NSC_11hip_rocprim7__merge17predicate_wrapperIssNSC_4lessIsEEEEEE10hipError_tPvRmT0_T1_T2_T3_T4_T5_mmT6_P12ihipStream_tbEUlT_E0_NS1_11comp_targetILNS1_3genE0ELNS1_11target_archE4294967295ELNS1_3gpuE0ELNS1_3repE0EEENS1_30default_config_static_selectorELNS0_4arch9wavefront6targetE0EEEvS11_.uses_flat_scratch, 0
	.set _ZN7rocprim17ROCPRIM_400000_NS6detail17trampoline_kernelINS0_14default_configENS1_21merge_config_selectorINS0_5tupleIJssEEENS0_10empty_typeEEEZNS1_10merge_implIS3_NS0_12zip_iteratorINS5_IJN6thrust23THRUST_200600_302600_NS6detail15normal_iteratorINSC_10device_ptrIKsEEEESI_EEEEESK_NSA_INS5_IJNSC_16discard_iteratorINSC_11use_defaultEEESN_EEEEEPS7_SQ_SQ_NSC_11hip_rocprim7__merge17predicate_wrapperIssNSC_4lessIsEEEEEE10hipError_tPvRmT0_T1_T2_T3_T4_T5_mmT6_P12ihipStream_tbEUlT_E0_NS1_11comp_targetILNS1_3genE0ELNS1_11target_archE4294967295ELNS1_3gpuE0ELNS1_3repE0EEENS1_30default_config_static_selectorELNS0_4arch9wavefront6targetE0EEEvS11_.has_dyn_sized_stack, 0
	.set _ZN7rocprim17ROCPRIM_400000_NS6detail17trampoline_kernelINS0_14default_configENS1_21merge_config_selectorINS0_5tupleIJssEEENS0_10empty_typeEEEZNS1_10merge_implIS3_NS0_12zip_iteratorINS5_IJN6thrust23THRUST_200600_302600_NS6detail15normal_iteratorINSC_10device_ptrIKsEEEESI_EEEEESK_NSA_INS5_IJNSC_16discard_iteratorINSC_11use_defaultEEESN_EEEEEPS7_SQ_SQ_NSC_11hip_rocprim7__merge17predicate_wrapperIssNSC_4lessIsEEEEEE10hipError_tPvRmT0_T1_T2_T3_T4_T5_mmT6_P12ihipStream_tbEUlT_E0_NS1_11comp_targetILNS1_3genE0ELNS1_11target_archE4294967295ELNS1_3gpuE0ELNS1_3repE0EEENS1_30default_config_static_selectorELNS0_4arch9wavefront6targetE0EEEvS11_.has_recursion, 0
	.set _ZN7rocprim17ROCPRIM_400000_NS6detail17trampoline_kernelINS0_14default_configENS1_21merge_config_selectorINS0_5tupleIJssEEENS0_10empty_typeEEEZNS1_10merge_implIS3_NS0_12zip_iteratorINS5_IJN6thrust23THRUST_200600_302600_NS6detail15normal_iteratorINSC_10device_ptrIKsEEEESI_EEEEESK_NSA_INS5_IJNSC_16discard_iteratorINSC_11use_defaultEEESN_EEEEEPS7_SQ_SQ_NSC_11hip_rocprim7__merge17predicate_wrapperIssNSC_4lessIsEEEEEE10hipError_tPvRmT0_T1_T2_T3_T4_T5_mmT6_P12ihipStream_tbEUlT_E0_NS1_11comp_targetILNS1_3genE0ELNS1_11target_archE4294967295ELNS1_3gpuE0ELNS1_3repE0EEENS1_30default_config_static_selectorELNS0_4arch9wavefront6targetE0EEEvS11_.has_indirect_call, 0
	.section	.AMDGPU.csdata,"",@progbits
; Kernel info:
; codeLenInByte = 0
; TotalNumSgprs: 0
; NumVgprs: 0
; ScratchSize: 0
; MemoryBound: 0
; FloatMode: 240
; IeeeMode: 1
; LDSByteSize: 0 bytes/workgroup (compile time only)
; SGPRBlocks: 0
; VGPRBlocks: 0
; NumSGPRsForWavesPerEU: 1
; NumVGPRsForWavesPerEU: 1
; Occupancy: 16
; WaveLimiterHint : 0
; COMPUTE_PGM_RSRC2:SCRATCH_EN: 0
; COMPUTE_PGM_RSRC2:USER_SGPR: 6
; COMPUTE_PGM_RSRC2:TRAP_HANDLER: 0
; COMPUTE_PGM_RSRC2:TGID_X_EN: 1
; COMPUTE_PGM_RSRC2:TGID_Y_EN: 0
; COMPUTE_PGM_RSRC2:TGID_Z_EN: 0
; COMPUTE_PGM_RSRC2:TIDIG_COMP_CNT: 0
	.section	.text._ZN7rocprim17ROCPRIM_400000_NS6detail17trampoline_kernelINS0_14default_configENS1_21merge_config_selectorINS0_5tupleIJssEEENS0_10empty_typeEEEZNS1_10merge_implIS3_NS0_12zip_iteratorINS5_IJN6thrust23THRUST_200600_302600_NS6detail15normal_iteratorINSC_10device_ptrIKsEEEESI_EEEEESK_NSA_INS5_IJNSC_16discard_iteratorINSC_11use_defaultEEESN_EEEEEPS7_SQ_SQ_NSC_11hip_rocprim7__merge17predicate_wrapperIssNSC_4lessIsEEEEEE10hipError_tPvRmT0_T1_T2_T3_T4_T5_mmT6_P12ihipStream_tbEUlT_E0_NS1_11comp_targetILNS1_3genE5ELNS1_11target_archE942ELNS1_3gpuE9ELNS1_3repE0EEENS1_30default_config_static_selectorELNS0_4arch9wavefront6targetE0EEEvS11_,"axG",@progbits,_ZN7rocprim17ROCPRIM_400000_NS6detail17trampoline_kernelINS0_14default_configENS1_21merge_config_selectorINS0_5tupleIJssEEENS0_10empty_typeEEEZNS1_10merge_implIS3_NS0_12zip_iteratorINS5_IJN6thrust23THRUST_200600_302600_NS6detail15normal_iteratorINSC_10device_ptrIKsEEEESI_EEEEESK_NSA_INS5_IJNSC_16discard_iteratorINSC_11use_defaultEEESN_EEEEEPS7_SQ_SQ_NSC_11hip_rocprim7__merge17predicate_wrapperIssNSC_4lessIsEEEEEE10hipError_tPvRmT0_T1_T2_T3_T4_T5_mmT6_P12ihipStream_tbEUlT_E0_NS1_11comp_targetILNS1_3genE5ELNS1_11target_archE942ELNS1_3gpuE9ELNS1_3repE0EEENS1_30default_config_static_selectorELNS0_4arch9wavefront6targetE0EEEvS11_,comdat
	.protected	_ZN7rocprim17ROCPRIM_400000_NS6detail17trampoline_kernelINS0_14default_configENS1_21merge_config_selectorINS0_5tupleIJssEEENS0_10empty_typeEEEZNS1_10merge_implIS3_NS0_12zip_iteratorINS5_IJN6thrust23THRUST_200600_302600_NS6detail15normal_iteratorINSC_10device_ptrIKsEEEESI_EEEEESK_NSA_INS5_IJNSC_16discard_iteratorINSC_11use_defaultEEESN_EEEEEPS7_SQ_SQ_NSC_11hip_rocprim7__merge17predicate_wrapperIssNSC_4lessIsEEEEEE10hipError_tPvRmT0_T1_T2_T3_T4_T5_mmT6_P12ihipStream_tbEUlT_E0_NS1_11comp_targetILNS1_3genE5ELNS1_11target_archE942ELNS1_3gpuE9ELNS1_3repE0EEENS1_30default_config_static_selectorELNS0_4arch9wavefront6targetE0EEEvS11_ ; -- Begin function _ZN7rocprim17ROCPRIM_400000_NS6detail17trampoline_kernelINS0_14default_configENS1_21merge_config_selectorINS0_5tupleIJssEEENS0_10empty_typeEEEZNS1_10merge_implIS3_NS0_12zip_iteratorINS5_IJN6thrust23THRUST_200600_302600_NS6detail15normal_iteratorINSC_10device_ptrIKsEEEESI_EEEEESK_NSA_INS5_IJNSC_16discard_iteratorINSC_11use_defaultEEESN_EEEEEPS7_SQ_SQ_NSC_11hip_rocprim7__merge17predicate_wrapperIssNSC_4lessIsEEEEEE10hipError_tPvRmT0_T1_T2_T3_T4_T5_mmT6_P12ihipStream_tbEUlT_E0_NS1_11comp_targetILNS1_3genE5ELNS1_11target_archE942ELNS1_3gpuE9ELNS1_3repE0EEENS1_30default_config_static_selectorELNS0_4arch9wavefront6targetE0EEEvS11_
	.globl	_ZN7rocprim17ROCPRIM_400000_NS6detail17trampoline_kernelINS0_14default_configENS1_21merge_config_selectorINS0_5tupleIJssEEENS0_10empty_typeEEEZNS1_10merge_implIS3_NS0_12zip_iteratorINS5_IJN6thrust23THRUST_200600_302600_NS6detail15normal_iteratorINSC_10device_ptrIKsEEEESI_EEEEESK_NSA_INS5_IJNSC_16discard_iteratorINSC_11use_defaultEEESN_EEEEEPS7_SQ_SQ_NSC_11hip_rocprim7__merge17predicate_wrapperIssNSC_4lessIsEEEEEE10hipError_tPvRmT0_T1_T2_T3_T4_T5_mmT6_P12ihipStream_tbEUlT_E0_NS1_11comp_targetILNS1_3genE5ELNS1_11target_archE942ELNS1_3gpuE9ELNS1_3repE0EEENS1_30default_config_static_selectorELNS0_4arch9wavefront6targetE0EEEvS11_
	.p2align	8
	.type	_ZN7rocprim17ROCPRIM_400000_NS6detail17trampoline_kernelINS0_14default_configENS1_21merge_config_selectorINS0_5tupleIJssEEENS0_10empty_typeEEEZNS1_10merge_implIS3_NS0_12zip_iteratorINS5_IJN6thrust23THRUST_200600_302600_NS6detail15normal_iteratorINSC_10device_ptrIKsEEEESI_EEEEESK_NSA_INS5_IJNSC_16discard_iteratorINSC_11use_defaultEEESN_EEEEEPS7_SQ_SQ_NSC_11hip_rocprim7__merge17predicate_wrapperIssNSC_4lessIsEEEEEE10hipError_tPvRmT0_T1_T2_T3_T4_T5_mmT6_P12ihipStream_tbEUlT_E0_NS1_11comp_targetILNS1_3genE5ELNS1_11target_archE942ELNS1_3gpuE9ELNS1_3repE0EEENS1_30default_config_static_selectorELNS0_4arch9wavefront6targetE0EEEvS11_,@function
_ZN7rocprim17ROCPRIM_400000_NS6detail17trampoline_kernelINS0_14default_configENS1_21merge_config_selectorINS0_5tupleIJssEEENS0_10empty_typeEEEZNS1_10merge_implIS3_NS0_12zip_iteratorINS5_IJN6thrust23THRUST_200600_302600_NS6detail15normal_iteratorINSC_10device_ptrIKsEEEESI_EEEEESK_NSA_INS5_IJNSC_16discard_iteratorINSC_11use_defaultEEESN_EEEEEPS7_SQ_SQ_NSC_11hip_rocprim7__merge17predicate_wrapperIssNSC_4lessIsEEEEEE10hipError_tPvRmT0_T1_T2_T3_T4_T5_mmT6_P12ihipStream_tbEUlT_E0_NS1_11comp_targetILNS1_3genE5ELNS1_11target_archE942ELNS1_3gpuE9ELNS1_3repE0EEENS1_30default_config_static_selectorELNS0_4arch9wavefront6targetE0EEEvS11_: ; @_ZN7rocprim17ROCPRIM_400000_NS6detail17trampoline_kernelINS0_14default_configENS1_21merge_config_selectorINS0_5tupleIJssEEENS0_10empty_typeEEEZNS1_10merge_implIS3_NS0_12zip_iteratorINS5_IJN6thrust23THRUST_200600_302600_NS6detail15normal_iteratorINSC_10device_ptrIKsEEEESI_EEEEESK_NSA_INS5_IJNSC_16discard_iteratorINSC_11use_defaultEEESN_EEEEEPS7_SQ_SQ_NSC_11hip_rocprim7__merge17predicate_wrapperIssNSC_4lessIsEEEEEE10hipError_tPvRmT0_T1_T2_T3_T4_T5_mmT6_P12ihipStream_tbEUlT_E0_NS1_11comp_targetILNS1_3genE5ELNS1_11target_archE942ELNS1_3gpuE9ELNS1_3repE0EEENS1_30default_config_static_selectorELNS0_4arch9wavefront6targetE0EEEvS11_
; %bb.0:
	.section	.rodata,"a",@progbits
	.p2align	6, 0x0
	.amdhsa_kernel _ZN7rocprim17ROCPRIM_400000_NS6detail17trampoline_kernelINS0_14default_configENS1_21merge_config_selectorINS0_5tupleIJssEEENS0_10empty_typeEEEZNS1_10merge_implIS3_NS0_12zip_iteratorINS5_IJN6thrust23THRUST_200600_302600_NS6detail15normal_iteratorINSC_10device_ptrIKsEEEESI_EEEEESK_NSA_INS5_IJNSC_16discard_iteratorINSC_11use_defaultEEESN_EEEEEPS7_SQ_SQ_NSC_11hip_rocprim7__merge17predicate_wrapperIssNSC_4lessIsEEEEEE10hipError_tPvRmT0_T1_T2_T3_T4_T5_mmT6_P12ihipStream_tbEUlT_E0_NS1_11comp_targetILNS1_3genE5ELNS1_11target_archE942ELNS1_3gpuE9ELNS1_3repE0EEENS1_30default_config_static_selectorELNS0_4arch9wavefront6targetE0EEEvS11_
		.amdhsa_group_segment_fixed_size 0
		.amdhsa_private_segment_fixed_size 0
		.amdhsa_kernarg_size 128
		.amdhsa_user_sgpr_count 6
		.amdhsa_user_sgpr_private_segment_buffer 1
		.amdhsa_user_sgpr_dispatch_ptr 0
		.amdhsa_user_sgpr_queue_ptr 0
		.amdhsa_user_sgpr_kernarg_segment_ptr 1
		.amdhsa_user_sgpr_dispatch_id 0
		.amdhsa_user_sgpr_flat_scratch_init 0
		.amdhsa_user_sgpr_private_segment_size 0
		.amdhsa_wavefront_size32 1
		.amdhsa_uses_dynamic_stack 0
		.amdhsa_system_sgpr_private_segment_wavefront_offset 0
		.amdhsa_system_sgpr_workgroup_id_x 1
		.amdhsa_system_sgpr_workgroup_id_y 0
		.amdhsa_system_sgpr_workgroup_id_z 0
		.amdhsa_system_sgpr_workgroup_info 0
		.amdhsa_system_vgpr_workitem_id 0
		.amdhsa_next_free_vgpr 1
		.amdhsa_next_free_sgpr 1
		.amdhsa_reserve_vcc 0
		.amdhsa_reserve_flat_scratch 0
		.amdhsa_float_round_mode_32 0
		.amdhsa_float_round_mode_16_64 0
		.amdhsa_float_denorm_mode_32 3
		.amdhsa_float_denorm_mode_16_64 3
		.amdhsa_dx10_clamp 1
		.amdhsa_ieee_mode 1
		.amdhsa_fp16_overflow 0
		.amdhsa_workgroup_processor_mode 1
		.amdhsa_memory_ordered 1
		.amdhsa_forward_progress 1
		.amdhsa_shared_vgpr_count 0
		.amdhsa_exception_fp_ieee_invalid_op 0
		.amdhsa_exception_fp_denorm_src 0
		.amdhsa_exception_fp_ieee_div_zero 0
		.amdhsa_exception_fp_ieee_overflow 0
		.amdhsa_exception_fp_ieee_underflow 0
		.amdhsa_exception_fp_ieee_inexact 0
		.amdhsa_exception_int_div_zero 0
	.end_amdhsa_kernel
	.section	.text._ZN7rocprim17ROCPRIM_400000_NS6detail17trampoline_kernelINS0_14default_configENS1_21merge_config_selectorINS0_5tupleIJssEEENS0_10empty_typeEEEZNS1_10merge_implIS3_NS0_12zip_iteratorINS5_IJN6thrust23THRUST_200600_302600_NS6detail15normal_iteratorINSC_10device_ptrIKsEEEESI_EEEEESK_NSA_INS5_IJNSC_16discard_iteratorINSC_11use_defaultEEESN_EEEEEPS7_SQ_SQ_NSC_11hip_rocprim7__merge17predicate_wrapperIssNSC_4lessIsEEEEEE10hipError_tPvRmT0_T1_T2_T3_T4_T5_mmT6_P12ihipStream_tbEUlT_E0_NS1_11comp_targetILNS1_3genE5ELNS1_11target_archE942ELNS1_3gpuE9ELNS1_3repE0EEENS1_30default_config_static_selectorELNS0_4arch9wavefront6targetE0EEEvS11_,"axG",@progbits,_ZN7rocprim17ROCPRIM_400000_NS6detail17trampoline_kernelINS0_14default_configENS1_21merge_config_selectorINS0_5tupleIJssEEENS0_10empty_typeEEEZNS1_10merge_implIS3_NS0_12zip_iteratorINS5_IJN6thrust23THRUST_200600_302600_NS6detail15normal_iteratorINSC_10device_ptrIKsEEEESI_EEEEESK_NSA_INS5_IJNSC_16discard_iteratorINSC_11use_defaultEEESN_EEEEEPS7_SQ_SQ_NSC_11hip_rocprim7__merge17predicate_wrapperIssNSC_4lessIsEEEEEE10hipError_tPvRmT0_T1_T2_T3_T4_T5_mmT6_P12ihipStream_tbEUlT_E0_NS1_11comp_targetILNS1_3genE5ELNS1_11target_archE942ELNS1_3gpuE9ELNS1_3repE0EEENS1_30default_config_static_selectorELNS0_4arch9wavefront6targetE0EEEvS11_,comdat
.Lfunc_end615:
	.size	_ZN7rocprim17ROCPRIM_400000_NS6detail17trampoline_kernelINS0_14default_configENS1_21merge_config_selectorINS0_5tupleIJssEEENS0_10empty_typeEEEZNS1_10merge_implIS3_NS0_12zip_iteratorINS5_IJN6thrust23THRUST_200600_302600_NS6detail15normal_iteratorINSC_10device_ptrIKsEEEESI_EEEEESK_NSA_INS5_IJNSC_16discard_iteratorINSC_11use_defaultEEESN_EEEEEPS7_SQ_SQ_NSC_11hip_rocprim7__merge17predicate_wrapperIssNSC_4lessIsEEEEEE10hipError_tPvRmT0_T1_T2_T3_T4_T5_mmT6_P12ihipStream_tbEUlT_E0_NS1_11comp_targetILNS1_3genE5ELNS1_11target_archE942ELNS1_3gpuE9ELNS1_3repE0EEENS1_30default_config_static_selectorELNS0_4arch9wavefront6targetE0EEEvS11_, .Lfunc_end615-_ZN7rocprim17ROCPRIM_400000_NS6detail17trampoline_kernelINS0_14default_configENS1_21merge_config_selectorINS0_5tupleIJssEEENS0_10empty_typeEEEZNS1_10merge_implIS3_NS0_12zip_iteratorINS5_IJN6thrust23THRUST_200600_302600_NS6detail15normal_iteratorINSC_10device_ptrIKsEEEESI_EEEEESK_NSA_INS5_IJNSC_16discard_iteratorINSC_11use_defaultEEESN_EEEEEPS7_SQ_SQ_NSC_11hip_rocprim7__merge17predicate_wrapperIssNSC_4lessIsEEEEEE10hipError_tPvRmT0_T1_T2_T3_T4_T5_mmT6_P12ihipStream_tbEUlT_E0_NS1_11comp_targetILNS1_3genE5ELNS1_11target_archE942ELNS1_3gpuE9ELNS1_3repE0EEENS1_30default_config_static_selectorELNS0_4arch9wavefront6targetE0EEEvS11_
                                        ; -- End function
	.set _ZN7rocprim17ROCPRIM_400000_NS6detail17trampoline_kernelINS0_14default_configENS1_21merge_config_selectorINS0_5tupleIJssEEENS0_10empty_typeEEEZNS1_10merge_implIS3_NS0_12zip_iteratorINS5_IJN6thrust23THRUST_200600_302600_NS6detail15normal_iteratorINSC_10device_ptrIKsEEEESI_EEEEESK_NSA_INS5_IJNSC_16discard_iteratorINSC_11use_defaultEEESN_EEEEEPS7_SQ_SQ_NSC_11hip_rocprim7__merge17predicate_wrapperIssNSC_4lessIsEEEEEE10hipError_tPvRmT0_T1_T2_T3_T4_T5_mmT6_P12ihipStream_tbEUlT_E0_NS1_11comp_targetILNS1_3genE5ELNS1_11target_archE942ELNS1_3gpuE9ELNS1_3repE0EEENS1_30default_config_static_selectorELNS0_4arch9wavefront6targetE0EEEvS11_.num_vgpr, 0
	.set _ZN7rocprim17ROCPRIM_400000_NS6detail17trampoline_kernelINS0_14default_configENS1_21merge_config_selectorINS0_5tupleIJssEEENS0_10empty_typeEEEZNS1_10merge_implIS3_NS0_12zip_iteratorINS5_IJN6thrust23THRUST_200600_302600_NS6detail15normal_iteratorINSC_10device_ptrIKsEEEESI_EEEEESK_NSA_INS5_IJNSC_16discard_iteratorINSC_11use_defaultEEESN_EEEEEPS7_SQ_SQ_NSC_11hip_rocprim7__merge17predicate_wrapperIssNSC_4lessIsEEEEEE10hipError_tPvRmT0_T1_T2_T3_T4_T5_mmT6_P12ihipStream_tbEUlT_E0_NS1_11comp_targetILNS1_3genE5ELNS1_11target_archE942ELNS1_3gpuE9ELNS1_3repE0EEENS1_30default_config_static_selectorELNS0_4arch9wavefront6targetE0EEEvS11_.num_agpr, 0
	.set _ZN7rocprim17ROCPRIM_400000_NS6detail17trampoline_kernelINS0_14default_configENS1_21merge_config_selectorINS0_5tupleIJssEEENS0_10empty_typeEEEZNS1_10merge_implIS3_NS0_12zip_iteratorINS5_IJN6thrust23THRUST_200600_302600_NS6detail15normal_iteratorINSC_10device_ptrIKsEEEESI_EEEEESK_NSA_INS5_IJNSC_16discard_iteratorINSC_11use_defaultEEESN_EEEEEPS7_SQ_SQ_NSC_11hip_rocprim7__merge17predicate_wrapperIssNSC_4lessIsEEEEEE10hipError_tPvRmT0_T1_T2_T3_T4_T5_mmT6_P12ihipStream_tbEUlT_E0_NS1_11comp_targetILNS1_3genE5ELNS1_11target_archE942ELNS1_3gpuE9ELNS1_3repE0EEENS1_30default_config_static_selectorELNS0_4arch9wavefront6targetE0EEEvS11_.numbered_sgpr, 0
	.set _ZN7rocprim17ROCPRIM_400000_NS6detail17trampoline_kernelINS0_14default_configENS1_21merge_config_selectorINS0_5tupleIJssEEENS0_10empty_typeEEEZNS1_10merge_implIS3_NS0_12zip_iteratorINS5_IJN6thrust23THRUST_200600_302600_NS6detail15normal_iteratorINSC_10device_ptrIKsEEEESI_EEEEESK_NSA_INS5_IJNSC_16discard_iteratorINSC_11use_defaultEEESN_EEEEEPS7_SQ_SQ_NSC_11hip_rocprim7__merge17predicate_wrapperIssNSC_4lessIsEEEEEE10hipError_tPvRmT0_T1_T2_T3_T4_T5_mmT6_P12ihipStream_tbEUlT_E0_NS1_11comp_targetILNS1_3genE5ELNS1_11target_archE942ELNS1_3gpuE9ELNS1_3repE0EEENS1_30default_config_static_selectorELNS0_4arch9wavefront6targetE0EEEvS11_.num_named_barrier, 0
	.set _ZN7rocprim17ROCPRIM_400000_NS6detail17trampoline_kernelINS0_14default_configENS1_21merge_config_selectorINS0_5tupleIJssEEENS0_10empty_typeEEEZNS1_10merge_implIS3_NS0_12zip_iteratorINS5_IJN6thrust23THRUST_200600_302600_NS6detail15normal_iteratorINSC_10device_ptrIKsEEEESI_EEEEESK_NSA_INS5_IJNSC_16discard_iteratorINSC_11use_defaultEEESN_EEEEEPS7_SQ_SQ_NSC_11hip_rocprim7__merge17predicate_wrapperIssNSC_4lessIsEEEEEE10hipError_tPvRmT0_T1_T2_T3_T4_T5_mmT6_P12ihipStream_tbEUlT_E0_NS1_11comp_targetILNS1_3genE5ELNS1_11target_archE942ELNS1_3gpuE9ELNS1_3repE0EEENS1_30default_config_static_selectorELNS0_4arch9wavefront6targetE0EEEvS11_.private_seg_size, 0
	.set _ZN7rocprim17ROCPRIM_400000_NS6detail17trampoline_kernelINS0_14default_configENS1_21merge_config_selectorINS0_5tupleIJssEEENS0_10empty_typeEEEZNS1_10merge_implIS3_NS0_12zip_iteratorINS5_IJN6thrust23THRUST_200600_302600_NS6detail15normal_iteratorINSC_10device_ptrIKsEEEESI_EEEEESK_NSA_INS5_IJNSC_16discard_iteratorINSC_11use_defaultEEESN_EEEEEPS7_SQ_SQ_NSC_11hip_rocprim7__merge17predicate_wrapperIssNSC_4lessIsEEEEEE10hipError_tPvRmT0_T1_T2_T3_T4_T5_mmT6_P12ihipStream_tbEUlT_E0_NS1_11comp_targetILNS1_3genE5ELNS1_11target_archE942ELNS1_3gpuE9ELNS1_3repE0EEENS1_30default_config_static_selectorELNS0_4arch9wavefront6targetE0EEEvS11_.uses_vcc, 0
	.set _ZN7rocprim17ROCPRIM_400000_NS6detail17trampoline_kernelINS0_14default_configENS1_21merge_config_selectorINS0_5tupleIJssEEENS0_10empty_typeEEEZNS1_10merge_implIS3_NS0_12zip_iteratorINS5_IJN6thrust23THRUST_200600_302600_NS6detail15normal_iteratorINSC_10device_ptrIKsEEEESI_EEEEESK_NSA_INS5_IJNSC_16discard_iteratorINSC_11use_defaultEEESN_EEEEEPS7_SQ_SQ_NSC_11hip_rocprim7__merge17predicate_wrapperIssNSC_4lessIsEEEEEE10hipError_tPvRmT0_T1_T2_T3_T4_T5_mmT6_P12ihipStream_tbEUlT_E0_NS1_11comp_targetILNS1_3genE5ELNS1_11target_archE942ELNS1_3gpuE9ELNS1_3repE0EEENS1_30default_config_static_selectorELNS0_4arch9wavefront6targetE0EEEvS11_.uses_flat_scratch, 0
	.set _ZN7rocprim17ROCPRIM_400000_NS6detail17trampoline_kernelINS0_14default_configENS1_21merge_config_selectorINS0_5tupleIJssEEENS0_10empty_typeEEEZNS1_10merge_implIS3_NS0_12zip_iteratorINS5_IJN6thrust23THRUST_200600_302600_NS6detail15normal_iteratorINSC_10device_ptrIKsEEEESI_EEEEESK_NSA_INS5_IJNSC_16discard_iteratorINSC_11use_defaultEEESN_EEEEEPS7_SQ_SQ_NSC_11hip_rocprim7__merge17predicate_wrapperIssNSC_4lessIsEEEEEE10hipError_tPvRmT0_T1_T2_T3_T4_T5_mmT6_P12ihipStream_tbEUlT_E0_NS1_11comp_targetILNS1_3genE5ELNS1_11target_archE942ELNS1_3gpuE9ELNS1_3repE0EEENS1_30default_config_static_selectorELNS0_4arch9wavefront6targetE0EEEvS11_.has_dyn_sized_stack, 0
	.set _ZN7rocprim17ROCPRIM_400000_NS6detail17trampoline_kernelINS0_14default_configENS1_21merge_config_selectorINS0_5tupleIJssEEENS0_10empty_typeEEEZNS1_10merge_implIS3_NS0_12zip_iteratorINS5_IJN6thrust23THRUST_200600_302600_NS6detail15normal_iteratorINSC_10device_ptrIKsEEEESI_EEEEESK_NSA_INS5_IJNSC_16discard_iteratorINSC_11use_defaultEEESN_EEEEEPS7_SQ_SQ_NSC_11hip_rocprim7__merge17predicate_wrapperIssNSC_4lessIsEEEEEE10hipError_tPvRmT0_T1_T2_T3_T4_T5_mmT6_P12ihipStream_tbEUlT_E0_NS1_11comp_targetILNS1_3genE5ELNS1_11target_archE942ELNS1_3gpuE9ELNS1_3repE0EEENS1_30default_config_static_selectorELNS0_4arch9wavefront6targetE0EEEvS11_.has_recursion, 0
	.set _ZN7rocprim17ROCPRIM_400000_NS6detail17trampoline_kernelINS0_14default_configENS1_21merge_config_selectorINS0_5tupleIJssEEENS0_10empty_typeEEEZNS1_10merge_implIS3_NS0_12zip_iteratorINS5_IJN6thrust23THRUST_200600_302600_NS6detail15normal_iteratorINSC_10device_ptrIKsEEEESI_EEEEESK_NSA_INS5_IJNSC_16discard_iteratorINSC_11use_defaultEEESN_EEEEEPS7_SQ_SQ_NSC_11hip_rocprim7__merge17predicate_wrapperIssNSC_4lessIsEEEEEE10hipError_tPvRmT0_T1_T2_T3_T4_T5_mmT6_P12ihipStream_tbEUlT_E0_NS1_11comp_targetILNS1_3genE5ELNS1_11target_archE942ELNS1_3gpuE9ELNS1_3repE0EEENS1_30default_config_static_selectorELNS0_4arch9wavefront6targetE0EEEvS11_.has_indirect_call, 0
	.section	.AMDGPU.csdata,"",@progbits
; Kernel info:
; codeLenInByte = 0
; TotalNumSgprs: 0
; NumVgprs: 0
; ScratchSize: 0
; MemoryBound: 0
; FloatMode: 240
; IeeeMode: 1
; LDSByteSize: 0 bytes/workgroup (compile time only)
; SGPRBlocks: 0
; VGPRBlocks: 0
; NumSGPRsForWavesPerEU: 1
; NumVGPRsForWavesPerEU: 1
; Occupancy: 16
; WaveLimiterHint : 0
; COMPUTE_PGM_RSRC2:SCRATCH_EN: 0
; COMPUTE_PGM_RSRC2:USER_SGPR: 6
; COMPUTE_PGM_RSRC2:TRAP_HANDLER: 0
; COMPUTE_PGM_RSRC2:TGID_X_EN: 1
; COMPUTE_PGM_RSRC2:TGID_Y_EN: 0
; COMPUTE_PGM_RSRC2:TGID_Z_EN: 0
; COMPUTE_PGM_RSRC2:TIDIG_COMP_CNT: 0
	.section	.text._ZN7rocprim17ROCPRIM_400000_NS6detail17trampoline_kernelINS0_14default_configENS1_21merge_config_selectorINS0_5tupleIJssEEENS0_10empty_typeEEEZNS1_10merge_implIS3_NS0_12zip_iteratorINS5_IJN6thrust23THRUST_200600_302600_NS6detail15normal_iteratorINSC_10device_ptrIKsEEEESI_EEEEESK_NSA_INS5_IJNSC_16discard_iteratorINSC_11use_defaultEEESN_EEEEEPS7_SQ_SQ_NSC_11hip_rocprim7__merge17predicate_wrapperIssNSC_4lessIsEEEEEE10hipError_tPvRmT0_T1_T2_T3_T4_T5_mmT6_P12ihipStream_tbEUlT_E0_NS1_11comp_targetILNS1_3genE4ELNS1_11target_archE910ELNS1_3gpuE8ELNS1_3repE0EEENS1_30default_config_static_selectorELNS0_4arch9wavefront6targetE0EEEvS11_,"axG",@progbits,_ZN7rocprim17ROCPRIM_400000_NS6detail17trampoline_kernelINS0_14default_configENS1_21merge_config_selectorINS0_5tupleIJssEEENS0_10empty_typeEEEZNS1_10merge_implIS3_NS0_12zip_iteratorINS5_IJN6thrust23THRUST_200600_302600_NS6detail15normal_iteratorINSC_10device_ptrIKsEEEESI_EEEEESK_NSA_INS5_IJNSC_16discard_iteratorINSC_11use_defaultEEESN_EEEEEPS7_SQ_SQ_NSC_11hip_rocprim7__merge17predicate_wrapperIssNSC_4lessIsEEEEEE10hipError_tPvRmT0_T1_T2_T3_T4_T5_mmT6_P12ihipStream_tbEUlT_E0_NS1_11comp_targetILNS1_3genE4ELNS1_11target_archE910ELNS1_3gpuE8ELNS1_3repE0EEENS1_30default_config_static_selectorELNS0_4arch9wavefront6targetE0EEEvS11_,comdat
	.protected	_ZN7rocprim17ROCPRIM_400000_NS6detail17trampoline_kernelINS0_14default_configENS1_21merge_config_selectorINS0_5tupleIJssEEENS0_10empty_typeEEEZNS1_10merge_implIS3_NS0_12zip_iteratorINS5_IJN6thrust23THRUST_200600_302600_NS6detail15normal_iteratorINSC_10device_ptrIKsEEEESI_EEEEESK_NSA_INS5_IJNSC_16discard_iteratorINSC_11use_defaultEEESN_EEEEEPS7_SQ_SQ_NSC_11hip_rocprim7__merge17predicate_wrapperIssNSC_4lessIsEEEEEE10hipError_tPvRmT0_T1_T2_T3_T4_T5_mmT6_P12ihipStream_tbEUlT_E0_NS1_11comp_targetILNS1_3genE4ELNS1_11target_archE910ELNS1_3gpuE8ELNS1_3repE0EEENS1_30default_config_static_selectorELNS0_4arch9wavefront6targetE0EEEvS11_ ; -- Begin function _ZN7rocprim17ROCPRIM_400000_NS6detail17trampoline_kernelINS0_14default_configENS1_21merge_config_selectorINS0_5tupleIJssEEENS0_10empty_typeEEEZNS1_10merge_implIS3_NS0_12zip_iteratorINS5_IJN6thrust23THRUST_200600_302600_NS6detail15normal_iteratorINSC_10device_ptrIKsEEEESI_EEEEESK_NSA_INS5_IJNSC_16discard_iteratorINSC_11use_defaultEEESN_EEEEEPS7_SQ_SQ_NSC_11hip_rocprim7__merge17predicate_wrapperIssNSC_4lessIsEEEEEE10hipError_tPvRmT0_T1_T2_T3_T4_T5_mmT6_P12ihipStream_tbEUlT_E0_NS1_11comp_targetILNS1_3genE4ELNS1_11target_archE910ELNS1_3gpuE8ELNS1_3repE0EEENS1_30default_config_static_selectorELNS0_4arch9wavefront6targetE0EEEvS11_
	.globl	_ZN7rocprim17ROCPRIM_400000_NS6detail17trampoline_kernelINS0_14default_configENS1_21merge_config_selectorINS0_5tupleIJssEEENS0_10empty_typeEEEZNS1_10merge_implIS3_NS0_12zip_iteratorINS5_IJN6thrust23THRUST_200600_302600_NS6detail15normal_iteratorINSC_10device_ptrIKsEEEESI_EEEEESK_NSA_INS5_IJNSC_16discard_iteratorINSC_11use_defaultEEESN_EEEEEPS7_SQ_SQ_NSC_11hip_rocprim7__merge17predicate_wrapperIssNSC_4lessIsEEEEEE10hipError_tPvRmT0_T1_T2_T3_T4_T5_mmT6_P12ihipStream_tbEUlT_E0_NS1_11comp_targetILNS1_3genE4ELNS1_11target_archE910ELNS1_3gpuE8ELNS1_3repE0EEENS1_30default_config_static_selectorELNS0_4arch9wavefront6targetE0EEEvS11_
	.p2align	8
	.type	_ZN7rocprim17ROCPRIM_400000_NS6detail17trampoline_kernelINS0_14default_configENS1_21merge_config_selectorINS0_5tupleIJssEEENS0_10empty_typeEEEZNS1_10merge_implIS3_NS0_12zip_iteratorINS5_IJN6thrust23THRUST_200600_302600_NS6detail15normal_iteratorINSC_10device_ptrIKsEEEESI_EEEEESK_NSA_INS5_IJNSC_16discard_iteratorINSC_11use_defaultEEESN_EEEEEPS7_SQ_SQ_NSC_11hip_rocprim7__merge17predicate_wrapperIssNSC_4lessIsEEEEEE10hipError_tPvRmT0_T1_T2_T3_T4_T5_mmT6_P12ihipStream_tbEUlT_E0_NS1_11comp_targetILNS1_3genE4ELNS1_11target_archE910ELNS1_3gpuE8ELNS1_3repE0EEENS1_30default_config_static_selectorELNS0_4arch9wavefront6targetE0EEEvS11_,@function
_ZN7rocprim17ROCPRIM_400000_NS6detail17trampoline_kernelINS0_14default_configENS1_21merge_config_selectorINS0_5tupleIJssEEENS0_10empty_typeEEEZNS1_10merge_implIS3_NS0_12zip_iteratorINS5_IJN6thrust23THRUST_200600_302600_NS6detail15normal_iteratorINSC_10device_ptrIKsEEEESI_EEEEESK_NSA_INS5_IJNSC_16discard_iteratorINSC_11use_defaultEEESN_EEEEEPS7_SQ_SQ_NSC_11hip_rocprim7__merge17predicate_wrapperIssNSC_4lessIsEEEEEE10hipError_tPvRmT0_T1_T2_T3_T4_T5_mmT6_P12ihipStream_tbEUlT_E0_NS1_11comp_targetILNS1_3genE4ELNS1_11target_archE910ELNS1_3gpuE8ELNS1_3repE0EEENS1_30default_config_static_selectorELNS0_4arch9wavefront6targetE0EEEvS11_: ; @_ZN7rocprim17ROCPRIM_400000_NS6detail17trampoline_kernelINS0_14default_configENS1_21merge_config_selectorINS0_5tupleIJssEEENS0_10empty_typeEEEZNS1_10merge_implIS3_NS0_12zip_iteratorINS5_IJN6thrust23THRUST_200600_302600_NS6detail15normal_iteratorINSC_10device_ptrIKsEEEESI_EEEEESK_NSA_INS5_IJNSC_16discard_iteratorINSC_11use_defaultEEESN_EEEEEPS7_SQ_SQ_NSC_11hip_rocprim7__merge17predicate_wrapperIssNSC_4lessIsEEEEEE10hipError_tPvRmT0_T1_T2_T3_T4_T5_mmT6_P12ihipStream_tbEUlT_E0_NS1_11comp_targetILNS1_3genE4ELNS1_11target_archE910ELNS1_3gpuE8ELNS1_3repE0EEENS1_30default_config_static_selectorELNS0_4arch9wavefront6targetE0EEEvS11_
; %bb.0:
	.section	.rodata,"a",@progbits
	.p2align	6, 0x0
	.amdhsa_kernel _ZN7rocprim17ROCPRIM_400000_NS6detail17trampoline_kernelINS0_14default_configENS1_21merge_config_selectorINS0_5tupleIJssEEENS0_10empty_typeEEEZNS1_10merge_implIS3_NS0_12zip_iteratorINS5_IJN6thrust23THRUST_200600_302600_NS6detail15normal_iteratorINSC_10device_ptrIKsEEEESI_EEEEESK_NSA_INS5_IJNSC_16discard_iteratorINSC_11use_defaultEEESN_EEEEEPS7_SQ_SQ_NSC_11hip_rocprim7__merge17predicate_wrapperIssNSC_4lessIsEEEEEE10hipError_tPvRmT0_T1_T2_T3_T4_T5_mmT6_P12ihipStream_tbEUlT_E0_NS1_11comp_targetILNS1_3genE4ELNS1_11target_archE910ELNS1_3gpuE8ELNS1_3repE0EEENS1_30default_config_static_selectorELNS0_4arch9wavefront6targetE0EEEvS11_
		.amdhsa_group_segment_fixed_size 0
		.amdhsa_private_segment_fixed_size 0
		.amdhsa_kernarg_size 128
		.amdhsa_user_sgpr_count 6
		.amdhsa_user_sgpr_private_segment_buffer 1
		.amdhsa_user_sgpr_dispatch_ptr 0
		.amdhsa_user_sgpr_queue_ptr 0
		.amdhsa_user_sgpr_kernarg_segment_ptr 1
		.amdhsa_user_sgpr_dispatch_id 0
		.amdhsa_user_sgpr_flat_scratch_init 0
		.amdhsa_user_sgpr_private_segment_size 0
		.amdhsa_wavefront_size32 1
		.amdhsa_uses_dynamic_stack 0
		.amdhsa_system_sgpr_private_segment_wavefront_offset 0
		.amdhsa_system_sgpr_workgroup_id_x 1
		.amdhsa_system_sgpr_workgroup_id_y 0
		.amdhsa_system_sgpr_workgroup_id_z 0
		.amdhsa_system_sgpr_workgroup_info 0
		.amdhsa_system_vgpr_workitem_id 0
		.amdhsa_next_free_vgpr 1
		.amdhsa_next_free_sgpr 1
		.amdhsa_reserve_vcc 0
		.amdhsa_reserve_flat_scratch 0
		.amdhsa_float_round_mode_32 0
		.amdhsa_float_round_mode_16_64 0
		.amdhsa_float_denorm_mode_32 3
		.amdhsa_float_denorm_mode_16_64 3
		.amdhsa_dx10_clamp 1
		.amdhsa_ieee_mode 1
		.amdhsa_fp16_overflow 0
		.amdhsa_workgroup_processor_mode 1
		.amdhsa_memory_ordered 1
		.amdhsa_forward_progress 1
		.amdhsa_shared_vgpr_count 0
		.amdhsa_exception_fp_ieee_invalid_op 0
		.amdhsa_exception_fp_denorm_src 0
		.amdhsa_exception_fp_ieee_div_zero 0
		.amdhsa_exception_fp_ieee_overflow 0
		.amdhsa_exception_fp_ieee_underflow 0
		.amdhsa_exception_fp_ieee_inexact 0
		.amdhsa_exception_int_div_zero 0
	.end_amdhsa_kernel
	.section	.text._ZN7rocprim17ROCPRIM_400000_NS6detail17trampoline_kernelINS0_14default_configENS1_21merge_config_selectorINS0_5tupleIJssEEENS0_10empty_typeEEEZNS1_10merge_implIS3_NS0_12zip_iteratorINS5_IJN6thrust23THRUST_200600_302600_NS6detail15normal_iteratorINSC_10device_ptrIKsEEEESI_EEEEESK_NSA_INS5_IJNSC_16discard_iteratorINSC_11use_defaultEEESN_EEEEEPS7_SQ_SQ_NSC_11hip_rocprim7__merge17predicate_wrapperIssNSC_4lessIsEEEEEE10hipError_tPvRmT0_T1_T2_T3_T4_T5_mmT6_P12ihipStream_tbEUlT_E0_NS1_11comp_targetILNS1_3genE4ELNS1_11target_archE910ELNS1_3gpuE8ELNS1_3repE0EEENS1_30default_config_static_selectorELNS0_4arch9wavefront6targetE0EEEvS11_,"axG",@progbits,_ZN7rocprim17ROCPRIM_400000_NS6detail17trampoline_kernelINS0_14default_configENS1_21merge_config_selectorINS0_5tupleIJssEEENS0_10empty_typeEEEZNS1_10merge_implIS3_NS0_12zip_iteratorINS5_IJN6thrust23THRUST_200600_302600_NS6detail15normal_iteratorINSC_10device_ptrIKsEEEESI_EEEEESK_NSA_INS5_IJNSC_16discard_iteratorINSC_11use_defaultEEESN_EEEEEPS7_SQ_SQ_NSC_11hip_rocprim7__merge17predicate_wrapperIssNSC_4lessIsEEEEEE10hipError_tPvRmT0_T1_T2_T3_T4_T5_mmT6_P12ihipStream_tbEUlT_E0_NS1_11comp_targetILNS1_3genE4ELNS1_11target_archE910ELNS1_3gpuE8ELNS1_3repE0EEENS1_30default_config_static_selectorELNS0_4arch9wavefront6targetE0EEEvS11_,comdat
.Lfunc_end616:
	.size	_ZN7rocprim17ROCPRIM_400000_NS6detail17trampoline_kernelINS0_14default_configENS1_21merge_config_selectorINS0_5tupleIJssEEENS0_10empty_typeEEEZNS1_10merge_implIS3_NS0_12zip_iteratorINS5_IJN6thrust23THRUST_200600_302600_NS6detail15normal_iteratorINSC_10device_ptrIKsEEEESI_EEEEESK_NSA_INS5_IJNSC_16discard_iteratorINSC_11use_defaultEEESN_EEEEEPS7_SQ_SQ_NSC_11hip_rocprim7__merge17predicate_wrapperIssNSC_4lessIsEEEEEE10hipError_tPvRmT0_T1_T2_T3_T4_T5_mmT6_P12ihipStream_tbEUlT_E0_NS1_11comp_targetILNS1_3genE4ELNS1_11target_archE910ELNS1_3gpuE8ELNS1_3repE0EEENS1_30default_config_static_selectorELNS0_4arch9wavefront6targetE0EEEvS11_, .Lfunc_end616-_ZN7rocprim17ROCPRIM_400000_NS6detail17trampoline_kernelINS0_14default_configENS1_21merge_config_selectorINS0_5tupleIJssEEENS0_10empty_typeEEEZNS1_10merge_implIS3_NS0_12zip_iteratorINS5_IJN6thrust23THRUST_200600_302600_NS6detail15normal_iteratorINSC_10device_ptrIKsEEEESI_EEEEESK_NSA_INS5_IJNSC_16discard_iteratorINSC_11use_defaultEEESN_EEEEEPS7_SQ_SQ_NSC_11hip_rocprim7__merge17predicate_wrapperIssNSC_4lessIsEEEEEE10hipError_tPvRmT0_T1_T2_T3_T4_T5_mmT6_P12ihipStream_tbEUlT_E0_NS1_11comp_targetILNS1_3genE4ELNS1_11target_archE910ELNS1_3gpuE8ELNS1_3repE0EEENS1_30default_config_static_selectorELNS0_4arch9wavefront6targetE0EEEvS11_
                                        ; -- End function
	.set _ZN7rocprim17ROCPRIM_400000_NS6detail17trampoline_kernelINS0_14default_configENS1_21merge_config_selectorINS0_5tupleIJssEEENS0_10empty_typeEEEZNS1_10merge_implIS3_NS0_12zip_iteratorINS5_IJN6thrust23THRUST_200600_302600_NS6detail15normal_iteratorINSC_10device_ptrIKsEEEESI_EEEEESK_NSA_INS5_IJNSC_16discard_iteratorINSC_11use_defaultEEESN_EEEEEPS7_SQ_SQ_NSC_11hip_rocprim7__merge17predicate_wrapperIssNSC_4lessIsEEEEEE10hipError_tPvRmT0_T1_T2_T3_T4_T5_mmT6_P12ihipStream_tbEUlT_E0_NS1_11comp_targetILNS1_3genE4ELNS1_11target_archE910ELNS1_3gpuE8ELNS1_3repE0EEENS1_30default_config_static_selectorELNS0_4arch9wavefront6targetE0EEEvS11_.num_vgpr, 0
	.set _ZN7rocprim17ROCPRIM_400000_NS6detail17trampoline_kernelINS0_14default_configENS1_21merge_config_selectorINS0_5tupleIJssEEENS0_10empty_typeEEEZNS1_10merge_implIS3_NS0_12zip_iteratorINS5_IJN6thrust23THRUST_200600_302600_NS6detail15normal_iteratorINSC_10device_ptrIKsEEEESI_EEEEESK_NSA_INS5_IJNSC_16discard_iteratorINSC_11use_defaultEEESN_EEEEEPS7_SQ_SQ_NSC_11hip_rocprim7__merge17predicate_wrapperIssNSC_4lessIsEEEEEE10hipError_tPvRmT0_T1_T2_T3_T4_T5_mmT6_P12ihipStream_tbEUlT_E0_NS1_11comp_targetILNS1_3genE4ELNS1_11target_archE910ELNS1_3gpuE8ELNS1_3repE0EEENS1_30default_config_static_selectorELNS0_4arch9wavefront6targetE0EEEvS11_.num_agpr, 0
	.set _ZN7rocprim17ROCPRIM_400000_NS6detail17trampoline_kernelINS0_14default_configENS1_21merge_config_selectorINS0_5tupleIJssEEENS0_10empty_typeEEEZNS1_10merge_implIS3_NS0_12zip_iteratorINS5_IJN6thrust23THRUST_200600_302600_NS6detail15normal_iteratorINSC_10device_ptrIKsEEEESI_EEEEESK_NSA_INS5_IJNSC_16discard_iteratorINSC_11use_defaultEEESN_EEEEEPS7_SQ_SQ_NSC_11hip_rocprim7__merge17predicate_wrapperIssNSC_4lessIsEEEEEE10hipError_tPvRmT0_T1_T2_T3_T4_T5_mmT6_P12ihipStream_tbEUlT_E0_NS1_11comp_targetILNS1_3genE4ELNS1_11target_archE910ELNS1_3gpuE8ELNS1_3repE0EEENS1_30default_config_static_selectorELNS0_4arch9wavefront6targetE0EEEvS11_.numbered_sgpr, 0
	.set _ZN7rocprim17ROCPRIM_400000_NS6detail17trampoline_kernelINS0_14default_configENS1_21merge_config_selectorINS0_5tupleIJssEEENS0_10empty_typeEEEZNS1_10merge_implIS3_NS0_12zip_iteratorINS5_IJN6thrust23THRUST_200600_302600_NS6detail15normal_iteratorINSC_10device_ptrIKsEEEESI_EEEEESK_NSA_INS5_IJNSC_16discard_iteratorINSC_11use_defaultEEESN_EEEEEPS7_SQ_SQ_NSC_11hip_rocprim7__merge17predicate_wrapperIssNSC_4lessIsEEEEEE10hipError_tPvRmT0_T1_T2_T3_T4_T5_mmT6_P12ihipStream_tbEUlT_E0_NS1_11comp_targetILNS1_3genE4ELNS1_11target_archE910ELNS1_3gpuE8ELNS1_3repE0EEENS1_30default_config_static_selectorELNS0_4arch9wavefront6targetE0EEEvS11_.num_named_barrier, 0
	.set _ZN7rocprim17ROCPRIM_400000_NS6detail17trampoline_kernelINS0_14default_configENS1_21merge_config_selectorINS0_5tupleIJssEEENS0_10empty_typeEEEZNS1_10merge_implIS3_NS0_12zip_iteratorINS5_IJN6thrust23THRUST_200600_302600_NS6detail15normal_iteratorINSC_10device_ptrIKsEEEESI_EEEEESK_NSA_INS5_IJNSC_16discard_iteratorINSC_11use_defaultEEESN_EEEEEPS7_SQ_SQ_NSC_11hip_rocprim7__merge17predicate_wrapperIssNSC_4lessIsEEEEEE10hipError_tPvRmT0_T1_T2_T3_T4_T5_mmT6_P12ihipStream_tbEUlT_E0_NS1_11comp_targetILNS1_3genE4ELNS1_11target_archE910ELNS1_3gpuE8ELNS1_3repE0EEENS1_30default_config_static_selectorELNS0_4arch9wavefront6targetE0EEEvS11_.private_seg_size, 0
	.set _ZN7rocprim17ROCPRIM_400000_NS6detail17trampoline_kernelINS0_14default_configENS1_21merge_config_selectorINS0_5tupleIJssEEENS0_10empty_typeEEEZNS1_10merge_implIS3_NS0_12zip_iteratorINS5_IJN6thrust23THRUST_200600_302600_NS6detail15normal_iteratorINSC_10device_ptrIKsEEEESI_EEEEESK_NSA_INS5_IJNSC_16discard_iteratorINSC_11use_defaultEEESN_EEEEEPS7_SQ_SQ_NSC_11hip_rocprim7__merge17predicate_wrapperIssNSC_4lessIsEEEEEE10hipError_tPvRmT0_T1_T2_T3_T4_T5_mmT6_P12ihipStream_tbEUlT_E0_NS1_11comp_targetILNS1_3genE4ELNS1_11target_archE910ELNS1_3gpuE8ELNS1_3repE0EEENS1_30default_config_static_selectorELNS0_4arch9wavefront6targetE0EEEvS11_.uses_vcc, 0
	.set _ZN7rocprim17ROCPRIM_400000_NS6detail17trampoline_kernelINS0_14default_configENS1_21merge_config_selectorINS0_5tupleIJssEEENS0_10empty_typeEEEZNS1_10merge_implIS3_NS0_12zip_iteratorINS5_IJN6thrust23THRUST_200600_302600_NS6detail15normal_iteratorINSC_10device_ptrIKsEEEESI_EEEEESK_NSA_INS5_IJNSC_16discard_iteratorINSC_11use_defaultEEESN_EEEEEPS7_SQ_SQ_NSC_11hip_rocprim7__merge17predicate_wrapperIssNSC_4lessIsEEEEEE10hipError_tPvRmT0_T1_T2_T3_T4_T5_mmT6_P12ihipStream_tbEUlT_E0_NS1_11comp_targetILNS1_3genE4ELNS1_11target_archE910ELNS1_3gpuE8ELNS1_3repE0EEENS1_30default_config_static_selectorELNS0_4arch9wavefront6targetE0EEEvS11_.uses_flat_scratch, 0
	.set _ZN7rocprim17ROCPRIM_400000_NS6detail17trampoline_kernelINS0_14default_configENS1_21merge_config_selectorINS0_5tupleIJssEEENS0_10empty_typeEEEZNS1_10merge_implIS3_NS0_12zip_iteratorINS5_IJN6thrust23THRUST_200600_302600_NS6detail15normal_iteratorINSC_10device_ptrIKsEEEESI_EEEEESK_NSA_INS5_IJNSC_16discard_iteratorINSC_11use_defaultEEESN_EEEEEPS7_SQ_SQ_NSC_11hip_rocprim7__merge17predicate_wrapperIssNSC_4lessIsEEEEEE10hipError_tPvRmT0_T1_T2_T3_T4_T5_mmT6_P12ihipStream_tbEUlT_E0_NS1_11comp_targetILNS1_3genE4ELNS1_11target_archE910ELNS1_3gpuE8ELNS1_3repE0EEENS1_30default_config_static_selectorELNS0_4arch9wavefront6targetE0EEEvS11_.has_dyn_sized_stack, 0
	.set _ZN7rocprim17ROCPRIM_400000_NS6detail17trampoline_kernelINS0_14default_configENS1_21merge_config_selectorINS0_5tupleIJssEEENS0_10empty_typeEEEZNS1_10merge_implIS3_NS0_12zip_iteratorINS5_IJN6thrust23THRUST_200600_302600_NS6detail15normal_iteratorINSC_10device_ptrIKsEEEESI_EEEEESK_NSA_INS5_IJNSC_16discard_iteratorINSC_11use_defaultEEESN_EEEEEPS7_SQ_SQ_NSC_11hip_rocprim7__merge17predicate_wrapperIssNSC_4lessIsEEEEEE10hipError_tPvRmT0_T1_T2_T3_T4_T5_mmT6_P12ihipStream_tbEUlT_E0_NS1_11comp_targetILNS1_3genE4ELNS1_11target_archE910ELNS1_3gpuE8ELNS1_3repE0EEENS1_30default_config_static_selectorELNS0_4arch9wavefront6targetE0EEEvS11_.has_recursion, 0
	.set _ZN7rocprim17ROCPRIM_400000_NS6detail17trampoline_kernelINS0_14default_configENS1_21merge_config_selectorINS0_5tupleIJssEEENS0_10empty_typeEEEZNS1_10merge_implIS3_NS0_12zip_iteratorINS5_IJN6thrust23THRUST_200600_302600_NS6detail15normal_iteratorINSC_10device_ptrIKsEEEESI_EEEEESK_NSA_INS5_IJNSC_16discard_iteratorINSC_11use_defaultEEESN_EEEEEPS7_SQ_SQ_NSC_11hip_rocprim7__merge17predicate_wrapperIssNSC_4lessIsEEEEEE10hipError_tPvRmT0_T1_T2_T3_T4_T5_mmT6_P12ihipStream_tbEUlT_E0_NS1_11comp_targetILNS1_3genE4ELNS1_11target_archE910ELNS1_3gpuE8ELNS1_3repE0EEENS1_30default_config_static_selectorELNS0_4arch9wavefront6targetE0EEEvS11_.has_indirect_call, 0
	.section	.AMDGPU.csdata,"",@progbits
; Kernel info:
; codeLenInByte = 0
; TotalNumSgprs: 0
; NumVgprs: 0
; ScratchSize: 0
; MemoryBound: 0
; FloatMode: 240
; IeeeMode: 1
; LDSByteSize: 0 bytes/workgroup (compile time only)
; SGPRBlocks: 0
; VGPRBlocks: 0
; NumSGPRsForWavesPerEU: 1
; NumVGPRsForWavesPerEU: 1
; Occupancy: 16
; WaveLimiterHint : 0
; COMPUTE_PGM_RSRC2:SCRATCH_EN: 0
; COMPUTE_PGM_RSRC2:USER_SGPR: 6
; COMPUTE_PGM_RSRC2:TRAP_HANDLER: 0
; COMPUTE_PGM_RSRC2:TGID_X_EN: 1
; COMPUTE_PGM_RSRC2:TGID_Y_EN: 0
; COMPUTE_PGM_RSRC2:TGID_Z_EN: 0
; COMPUTE_PGM_RSRC2:TIDIG_COMP_CNT: 0
	.section	.text._ZN7rocprim17ROCPRIM_400000_NS6detail17trampoline_kernelINS0_14default_configENS1_21merge_config_selectorINS0_5tupleIJssEEENS0_10empty_typeEEEZNS1_10merge_implIS3_NS0_12zip_iteratorINS5_IJN6thrust23THRUST_200600_302600_NS6detail15normal_iteratorINSC_10device_ptrIKsEEEESI_EEEEESK_NSA_INS5_IJNSC_16discard_iteratorINSC_11use_defaultEEESN_EEEEEPS7_SQ_SQ_NSC_11hip_rocprim7__merge17predicate_wrapperIssNSC_4lessIsEEEEEE10hipError_tPvRmT0_T1_T2_T3_T4_T5_mmT6_P12ihipStream_tbEUlT_E0_NS1_11comp_targetILNS1_3genE3ELNS1_11target_archE908ELNS1_3gpuE7ELNS1_3repE0EEENS1_30default_config_static_selectorELNS0_4arch9wavefront6targetE0EEEvS11_,"axG",@progbits,_ZN7rocprim17ROCPRIM_400000_NS6detail17trampoline_kernelINS0_14default_configENS1_21merge_config_selectorINS0_5tupleIJssEEENS0_10empty_typeEEEZNS1_10merge_implIS3_NS0_12zip_iteratorINS5_IJN6thrust23THRUST_200600_302600_NS6detail15normal_iteratorINSC_10device_ptrIKsEEEESI_EEEEESK_NSA_INS5_IJNSC_16discard_iteratorINSC_11use_defaultEEESN_EEEEEPS7_SQ_SQ_NSC_11hip_rocprim7__merge17predicate_wrapperIssNSC_4lessIsEEEEEE10hipError_tPvRmT0_T1_T2_T3_T4_T5_mmT6_P12ihipStream_tbEUlT_E0_NS1_11comp_targetILNS1_3genE3ELNS1_11target_archE908ELNS1_3gpuE7ELNS1_3repE0EEENS1_30default_config_static_selectorELNS0_4arch9wavefront6targetE0EEEvS11_,comdat
	.protected	_ZN7rocprim17ROCPRIM_400000_NS6detail17trampoline_kernelINS0_14default_configENS1_21merge_config_selectorINS0_5tupleIJssEEENS0_10empty_typeEEEZNS1_10merge_implIS3_NS0_12zip_iteratorINS5_IJN6thrust23THRUST_200600_302600_NS6detail15normal_iteratorINSC_10device_ptrIKsEEEESI_EEEEESK_NSA_INS5_IJNSC_16discard_iteratorINSC_11use_defaultEEESN_EEEEEPS7_SQ_SQ_NSC_11hip_rocprim7__merge17predicate_wrapperIssNSC_4lessIsEEEEEE10hipError_tPvRmT0_T1_T2_T3_T4_T5_mmT6_P12ihipStream_tbEUlT_E0_NS1_11comp_targetILNS1_3genE3ELNS1_11target_archE908ELNS1_3gpuE7ELNS1_3repE0EEENS1_30default_config_static_selectorELNS0_4arch9wavefront6targetE0EEEvS11_ ; -- Begin function _ZN7rocprim17ROCPRIM_400000_NS6detail17trampoline_kernelINS0_14default_configENS1_21merge_config_selectorINS0_5tupleIJssEEENS0_10empty_typeEEEZNS1_10merge_implIS3_NS0_12zip_iteratorINS5_IJN6thrust23THRUST_200600_302600_NS6detail15normal_iteratorINSC_10device_ptrIKsEEEESI_EEEEESK_NSA_INS5_IJNSC_16discard_iteratorINSC_11use_defaultEEESN_EEEEEPS7_SQ_SQ_NSC_11hip_rocprim7__merge17predicate_wrapperIssNSC_4lessIsEEEEEE10hipError_tPvRmT0_T1_T2_T3_T4_T5_mmT6_P12ihipStream_tbEUlT_E0_NS1_11comp_targetILNS1_3genE3ELNS1_11target_archE908ELNS1_3gpuE7ELNS1_3repE0EEENS1_30default_config_static_selectorELNS0_4arch9wavefront6targetE0EEEvS11_
	.globl	_ZN7rocprim17ROCPRIM_400000_NS6detail17trampoline_kernelINS0_14default_configENS1_21merge_config_selectorINS0_5tupleIJssEEENS0_10empty_typeEEEZNS1_10merge_implIS3_NS0_12zip_iteratorINS5_IJN6thrust23THRUST_200600_302600_NS6detail15normal_iteratorINSC_10device_ptrIKsEEEESI_EEEEESK_NSA_INS5_IJNSC_16discard_iteratorINSC_11use_defaultEEESN_EEEEEPS7_SQ_SQ_NSC_11hip_rocprim7__merge17predicate_wrapperIssNSC_4lessIsEEEEEE10hipError_tPvRmT0_T1_T2_T3_T4_T5_mmT6_P12ihipStream_tbEUlT_E0_NS1_11comp_targetILNS1_3genE3ELNS1_11target_archE908ELNS1_3gpuE7ELNS1_3repE0EEENS1_30default_config_static_selectorELNS0_4arch9wavefront6targetE0EEEvS11_
	.p2align	8
	.type	_ZN7rocprim17ROCPRIM_400000_NS6detail17trampoline_kernelINS0_14default_configENS1_21merge_config_selectorINS0_5tupleIJssEEENS0_10empty_typeEEEZNS1_10merge_implIS3_NS0_12zip_iteratorINS5_IJN6thrust23THRUST_200600_302600_NS6detail15normal_iteratorINSC_10device_ptrIKsEEEESI_EEEEESK_NSA_INS5_IJNSC_16discard_iteratorINSC_11use_defaultEEESN_EEEEEPS7_SQ_SQ_NSC_11hip_rocprim7__merge17predicate_wrapperIssNSC_4lessIsEEEEEE10hipError_tPvRmT0_T1_T2_T3_T4_T5_mmT6_P12ihipStream_tbEUlT_E0_NS1_11comp_targetILNS1_3genE3ELNS1_11target_archE908ELNS1_3gpuE7ELNS1_3repE0EEENS1_30default_config_static_selectorELNS0_4arch9wavefront6targetE0EEEvS11_,@function
_ZN7rocprim17ROCPRIM_400000_NS6detail17trampoline_kernelINS0_14default_configENS1_21merge_config_selectorINS0_5tupleIJssEEENS0_10empty_typeEEEZNS1_10merge_implIS3_NS0_12zip_iteratorINS5_IJN6thrust23THRUST_200600_302600_NS6detail15normal_iteratorINSC_10device_ptrIKsEEEESI_EEEEESK_NSA_INS5_IJNSC_16discard_iteratorINSC_11use_defaultEEESN_EEEEEPS7_SQ_SQ_NSC_11hip_rocprim7__merge17predicate_wrapperIssNSC_4lessIsEEEEEE10hipError_tPvRmT0_T1_T2_T3_T4_T5_mmT6_P12ihipStream_tbEUlT_E0_NS1_11comp_targetILNS1_3genE3ELNS1_11target_archE908ELNS1_3gpuE7ELNS1_3repE0EEENS1_30default_config_static_selectorELNS0_4arch9wavefront6targetE0EEEvS11_: ; @_ZN7rocprim17ROCPRIM_400000_NS6detail17trampoline_kernelINS0_14default_configENS1_21merge_config_selectorINS0_5tupleIJssEEENS0_10empty_typeEEEZNS1_10merge_implIS3_NS0_12zip_iteratorINS5_IJN6thrust23THRUST_200600_302600_NS6detail15normal_iteratorINSC_10device_ptrIKsEEEESI_EEEEESK_NSA_INS5_IJNSC_16discard_iteratorINSC_11use_defaultEEESN_EEEEEPS7_SQ_SQ_NSC_11hip_rocprim7__merge17predicate_wrapperIssNSC_4lessIsEEEEEE10hipError_tPvRmT0_T1_T2_T3_T4_T5_mmT6_P12ihipStream_tbEUlT_E0_NS1_11comp_targetILNS1_3genE3ELNS1_11target_archE908ELNS1_3gpuE7ELNS1_3repE0EEENS1_30default_config_static_selectorELNS0_4arch9wavefront6targetE0EEEvS11_
; %bb.0:
	.section	.rodata,"a",@progbits
	.p2align	6, 0x0
	.amdhsa_kernel _ZN7rocprim17ROCPRIM_400000_NS6detail17trampoline_kernelINS0_14default_configENS1_21merge_config_selectorINS0_5tupleIJssEEENS0_10empty_typeEEEZNS1_10merge_implIS3_NS0_12zip_iteratorINS5_IJN6thrust23THRUST_200600_302600_NS6detail15normal_iteratorINSC_10device_ptrIKsEEEESI_EEEEESK_NSA_INS5_IJNSC_16discard_iteratorINSC_11use_defaultEEESN_EEEEEPS7_SQ_SQ_NSC_11hip_rocprim7__merge17predicate_wrapperIssNSC_4lessIsEEEEEE10hipError_tPvRmT0_T1_T2_T3_T4_T5_mmT6_P12ihipStream_tbEUlT_E0_NS1_11comp_targetILNS1_3genE3ELNS1_11target_archE908ELNS1_3gpuE7ELNS1_3repE0EEENS1_30default_config_static_selectorELNS0_4arch9wavefront6targetE0EEEvS11_
		.amdhsa_group_segment_fixed_size 0
		.amdhsa_private_segment_fixed_size 0
		.amdhsa_kernarg_size 128
		.amdhsa_user_sgpr_count 6
		.amdhsa_user_sgpr_private_segment_buffer 1
		.amdhsa_user_sgpr_dispatch_ptr 0
		.amdhsa_user_sgpr_queue_ptr 0
		.amdhsa_user_sgpr_kernarg_segment_ptr 1
		.amdhsa_user_sgpr_dispatch_id 0
		.amdhsa_user_sgpr_flat_scratch_init 0
		.amdhsa_user_sgpr_private_segment_size 0
		.amdhsa_wavefront_size32 1
		.amdhsa_uses_dynamic_stack 0
		.amdhsa_system_sgpr_private_segment_wavefront_offset 0
		.amdhsa_system_sgpr_workgroup_id_x 1
		.amdhsa_system_sgpr_workgroup_id_y 0
		.amdhsa_system_sgpr_workgroup_id_z 0
		.amdhsa_system_sgpr_workgroup_info 0
		.amdhsa_system_vgpr_workitem_id 0
		.amdhsa_next_free_vgpr 1
		.amdhsa_next_free_sgpr 1
		.amdhsa_reserve_vcc 0
		.amdhsa_reserve_flat_scratch 0
		.amdhsa_float_round_mode_32 0
		.amdhsa_float_round_mode_16_64 0
		.amdhsa_float_denorm_mode_32 3
		.amdhsa_float_denorm_mode_16_64 3
		.amdhsa_dx10_clamp 1
		.amdhsa_ieee_mode 1
		.amdhsa_fp16_overflow 0
		.amdhsa_workgroup_processor_mode 1
		.amdhsa_memory_ordered 1
		.amdhsa_forward_progress 1
		.amdhsa_shared_vgpr_count 0
		.amdhsa_exception_fp_ieee_invalid_op 0
		.amdhsa_exception_fp_denorm_src 0
		.amdhsa_exception_fp_ieee_div_zero 0
		.amdhsa_exception_fp_ieee_overflow 0
		.amdhsa_exception_fp_ieee_underflow 0
		.amdhsa_exception_fp_ieee_inexact 0
		.amdhsa_exception_int_div_zero 0
	.end_amdhsa_kernel
	.section	.text._ZN7rocprim17ROCPRIM_400000_NS6detail17trampoline_kernelINS0_14default_configENS1_21merge_config_selectorINS0_5tupleIJssEEENS0_10empty_typeEEEZNS1_10merge_implIS3_NS0_12zip_iteratorINS5_IJN6thrust23THRUST_200600_302600_NS6detail15normal_iteratorINSC_10device_ptrIKsEEEESI_EEEEESK_NSA_INS5_IJNSC_16discard_iteratorINSC_11use_defaultEEESN_EEEEEPS7_SQ_SQ_NSC_11hip_rocprim7__merge17predicate_wrapperIssNSC_4lessIsEEEEEE10hipError_tPvRmT0_T1_T2_T3_T4_T5_mmT6_P12ihipStream_tbEUlT_E0_NS1_11comp_targetILNS1_3genE3ELNS1_11target_archE908ELNS1_3gpuE7ELNS1_3repE0EEENS1_30default_config_static_selectorELNS0_4arch9wavefront6targetE0EEEvS11_,"axG",@progbits,_ZN7rocprim17ROCPRIM_400000_NS6detail17trampoline_kernelINS0_14default_configENS1_21merge_config_selectorINS0_5tupleIJssEEENS0_10empty_typeEEEZNS1_10merge_implIS3_NS0_12zip_iteratorINS5_IJN6thrust23THRUST_200600_302600_NS6detail15normal_iteratorINSC_10device_ptrIKsEEEESI_EEEEESK_NSA_INS5_IJNSC_16discard_iteratorINSC_11use_defaultEEESN_EEEEEPS7_SQ_SQ_NSC_11hip_rocprim7__merge17predicate_wrapperIssNSC_4lessIsEEEEEE10hipError_tPvRmT0_T1_T2_T3_T4_T5_mmT6_P12ihipStream_tbEUlT_E0_NS1_11comp_targetILNS1_3genE3ELNS1_11target_archE908ELNS1_3gpuE7ELNS1_3repE0EEENS1_30default_config_static_selectorELNS0_4arch9wavefront6targetE0EEEvS11_,comdat
.Lfunc_end617:
	.size	_ZN7rocprim17ROCPRIM_400000_NS6detail17trampoline_kernelINS0_14default_configENS1_21merge_config_selectorINS0_5tupleIJssEEENS0_10empty_typeEEEZNS1_10merge_implIS3_NS0_12zip_iteratorINS5_IJN6thrust23THRUST_200600_302600_NS6detail15normal_iteratorINSC_10device_ptrIKsEEEESI_EEEEESK_NSA_INS5_IJNSC_16discard_iteratorINSC_11use_defaultEEESN_EEEEEPS7_SQ_SQ_NSC_11hip_rocprim7__merge17predicate_wrapperIssNSC_4lessIsEEEEEE10hipError_tPvRmT0_T1_T2_T3_T4_T5_mmT6_P12ihipStream_tbEUlT_E0_NS1_11comp_targetILNS1_3genE3ELNS1_11target_archE908ELNS1_3gpuE7ELNS1_3repE0EEENS1_30default_config_static_selectorELNS0_4arch9wavefront6targetE0EEEvS11_, .Lfunc_end617-_ZN7rocprim17ROCPRIM_400000_NS6detail17trampoline_kernelINS0_14default_configENS1_21merge_config_selectorINS0_5tupleIJssEEENS0_10empty_typeEEEZNS1_10merge_implIS3_NS0_12zip_iteratorINS5_IJN6thrust23THRUST_200600_302600_NS6detail15normal_iteratorINSC_10device_ptrIKsEEEESI_EEEEESK_NSA_INS5_IJNSC_16discard_iteratorINSC_11use_defaultEEESN_EEEEEPS7_SQ_SQ_NSC_11hip_rocprim7__merge17predicate_wrapperIssNSC_4lessIsEEEEEE10hipError_tPvRmT0_T1_T2_T3_T4_T5_mmT6_P12ihipStream_tbEUlT_E0_NS1_11comp_targetILNS1_3genE3ELNS1_11target_archE908ELNS1_3gpuE7ELNS1_3repE0EEENS1_30default_config_static_selectorELNS0_4arch9wavefront6targetE0EEEvS11_
                                        ; -- End function
	.set _ZN7rocprim17ROCPRIM_400000_NS6detail17trampoline_kernelINS0_14default_configENS1_21merge_config_selectorINS0_5tupleIJssEEENS0_10empty_typeEEEZNS1_10merge_implIS3_NS0_12zip_iteratorINS5_IJN6thrust23THRUST_200600_302600_NS6detail15normal_iteratorINSC_10device_ptrIKsEEEESI_EEEEESK_NSA_INS5_IJNSC_16discard_iteratorINSC_11use_defaultEEESN_EEEEEPS7_SQ_SQ_NSC_11hip_rocprim7__merge17predicate_wrapperIssNSC_4lessIsEEEEEE10hipError_tPvRmT0_T1_T2_T3_T4_T5_mmT6_P12ihipStream_tbEUlT_E0_NS1_11comp_targetILNS1_3genE3ELNS1_11target_archE908ELNS1_3gpuE7ELNS1_3repE0EEENS1_30default_config_static_selectorELNS0_4arch9wavefront6targetE0EEEvS11_.num_vgpr, 0
	.set _ZN7rocprim17ROCPRIM_400000_NS6detail17trampoline_kernelINS0_14default_configENS1_21merge_config_selectorINS0_5tupleIJssEEENS0_10empty_typeEEEZNS1_10merge_implIS3_NS0_12zip_iteratorINS5_IJN6thrust23THRUST_200600_302600_NS6detail15normal_iteratorINSC_10device_ptrIKsEEEESI_EEEEESK_NSA_INS5_IJNSC_16discard_iteratorINSC_11use_defaultEEESN_EEEEEPS7_SQ_SQ_NSC_11hip_rocprim7__merge17predicate_wrapperIssNSC_4lessIsEEEEEE10hipError_tPvRmT0_T1_T2_T3_T4_T5_mmT6_P12ihipStream_tbEUlT_E0_NS1_11comp_targetILNS1_3genE3ELNS1_11target_archE908ELNS1_3gpuE7ELNS1_3repE0EEENS1_30default_config_static_selectorELNS0_4arch9wavefront6targetE0EEEvS11_.num_agpr, 0
	.set _ZN7rocprim17ROCPRIM_400000_NS6detail17trampoline_kernelINS0_14default_configENS1_21merge_config_selectorINS0_5tupleIJssEEENS0_10empty_typeEEEZNS1_10merge_implIS3_NS0_12zip_iteratorINS5_IJN6thrust23THRUST_200600_302600_NS6detail15normal_iteratorINSC_10device_ptrIKsEEEESI_EEEEESK_NSA_INS5_IJNSC_16discard_iteratorINSC_11use_defaultEEESN_EEEEEPS7_SQ_SQ_NSC_11hip_rocprim7__merge17predicate_wrapperIssNSC_4lessIsEEEEEE10hipError_tPvRmT0_T1_T2_T3_T4_T5_mmT6_P12ihipStream_tbEUlT_E0_NS1_11comp_targetILNS1_3genE3ELNS1_11target_archE908ELNS1_3gpuE7ELNS1_3repE0EEENS1_30default_config_static_selectorELNS0_4arch9wavefront6targetE0EEEvS11_.numbered_sgpr, 0
	.set _ZN7rocprim17ROCPRIM_400000_NS6detail17trampoline_kernelINS0_14default_configENS1_21merge_config_selectorINS0_5tupleIJssEEENS0_10empty_typeEEEZNS1_10merge_implIS3_NS0_12zip_iteratorINS5_IJN6thrust23THRUST_200600_302600_NS6detail15normal_iteratorINSC_10device_ptrIKsEEEESI_EEEEESK_NSA_INS5_IJNSC_16discard_iteratorINSC_11use_defaultEEESN_EEEEEPS7_SQ_SQ_NSC_11hip_rocprim7__merge17predicate_wrapperIssNSC_4lessIsEEEEEE10hipError_tPvRmT0_T1_T2_T3_T4_T5_mmT6_P12ihipStream_tbEUlT_E0_NS1_11comp_targetILNS1_3genE3ELNS1_11target_archE908ELNS1_3gpuE7ELNS1_3repE0EEENS1_30default_config_static_selectorELNS0_4arch9wavefront6targetE0EEEvS11_.num_named_barrier, 0
	.set _ZN7rocprim17ROCPRIM_400000_NS6detail17trampoline_kernelINS0_14default_configENS1_21merge_config_selectorINS0_5tupleIJssEEENS0_10empty_typeEEEZNS1_10merge_implIS3_NS0_12zip_iteratorINS5_IJN6thrust23THRUST_200600_302600_NS6detail15normal_iteratorINSC_10device_ptrIKsEEEESI_EEEEESK_NSA_INS5_IJNSC_16discard_iteratorINSC_11use_defaultEEESN_EEEEEPS7_SQ_SQ_NSC_11hip_rocprim7__merge17predicate_wrapperIssNSC_4lessIsEEEEEE10hipError_tPvRmT0_T1_T2_T3_T4_T5_mmT6_P12ihipStream_tbEUlT_E0_NS1_11comp_targetILNS1_3genE3ELNS1_11target_archE908ELNS1_3gpuE7ELNS1_3repE0EEENS1_30default_config_static_selectorELNS0_4arch9wavefront6targetE0EEEvS11_.private_seg_size, 0
	.set _ZN7rocprim17ROCPRIM_400000_NS6detail17trampoline_kernelINS0_14default_configENS1_21merge_config_selectorINS0_5tupleIJssEEENS0_10empty_typeEEEZNS1_10merge_implIS3_NS0_12zip_iteratorINS5_IJN6thrust23THRUST_200600_302600_NS6detail15normal_iteratorINSC_10device_ptrIKsEEEESI_EEEEESK_NSA_INS5_IJNSC_16discard_iteratorINSC_11use_defaultEEESN_EEEEEPS7_SQ_SQ_NSC_11hip_rocprim7__merge17predicate_wrapperIssNSC_4lessIsEEEEEE10hipError_tPvRmT0_T1_T2_T3_T4_T5_mmT6_P12ihipStream_tbEUlT_E0_NS1_11comp_targetILNS1_3genE3ELNS1_11target_archE908ELNS1_3gpuE7ELNS1_3repE0EEENS1_30default_config_static_selectorELNS0_4arch9wavefront6targetE0EEEvS11_.uses_vcc, 0
	.set _ZN7rocprim17ROCPRIM_400000_NS6detail17trampoline_kernelINS0_14default_configENS1_21merge_config_selectorINS0_5tupleIJssEEENS0_10empty_typeEEEZNS1_10merge_implIS3_NS0_12zip_iteratorINS5_IJN6thrust23THRUST_200600_302600_NS6detail15normal_iteratorINSC_10device_ptrIKsEEEESI_EEEEESK_NSA_INS5_IJNSC_16discard_iteratorINSC_11use_defaultEEESN_EEEEEPS7_SQ_SQ_NSC_11hip_rocprim7__merge17predicate_wrapperIssNSC_4lessIsEEEEEE10hipError_tPvRmT0_T1_T2_T3_T4_T5_mmT6_P12ihipStream_tbEUlT_E0_NS1_11comp_targetILNS1_3genE3ELNS1_11target_archE908ELNS1_3gpuE7ELNS1_3repE0EEENS1_30default_config_static_selectorELNS0_4arch9wavefront6targetE0EEEvS11_.uses_flat_scratch, 0
	.set _ZN7rocprim17ROCPRIM_400000_NS6detail17trampoline_kernelINS0_14default_configENS1_21merge_config_selectorINS0_5tupleIJssEEENS0_10empty_typeEEEZNS1_10merge_implIS3_NS0_12zip_iteratorINS5_IJN6thrust23THRUST_200600_302600_NS6detail15normal_iteratorINSC_10device_ptrIKsEEEESI_EEEEESK_NSA_INS5_IJNSC_16discard_iteratorINSC_11use_defaultEEESN_EEEEEPS7_SQ_SQ_NSC_11hip_rocprim7__merge17predicate_wrapperIssNSC_4lessIsEEEEEE10hipError_tPvRmT0_T1_T2_T3_T4_T5_mmT6_P12ihipStream_tbEUlT_E0_NS1_11comp_targetILNS1_3genE3ELNS1_11target_archE908ELNS1_3gpuE7ELNS1_3repE0EEENS1_30default_config_static_selectorELNS0_4arch9wavefront6targetE0EEEvS11_.has_dyn_sized_stack, 0
	.set _ZN7rocprim17ROCPRIM_400000_NS6detail17trampoline_kernelINS0_14default_configENS1_21merge_config_selectorINS0_5tupleIJssEEENS0_10empty_typeEEEZNS1_10merge_implIS3_NS0_12zip_iteratorINS5_IJN6thrust23THRUST_200600_302600_NS6detail15normal_iteratorINSC_10device_ptrIKsEEEESI_EEEEESK_NSA_INS5_IJNSC_16discard_iteratorINSC_11use_defaultEEESN_EEEEEPS7_SQ_SQ_NSC_11hip_rocprim7__merge17predicate_wrapperIssNSC_4lessIsEEEEEE10hipError_tPvRmT0_T1_T2_T3_T4_T5_mmT6_P12ihipStream_tbEUlT_E0_NS1_11comp_targetILNS1_3genE3ELNS1_11target_archE908ELNS1_3gpuE7ELNS1_3repE0EEENS1_30default_config_static_selectorELNS0_4arch9wavefront6targetE0EEEvS11_.has_recursion, 0
	.set _ZN7rocprim17ROCPRIM_400000_NS6detail17trampoline_kernelINS0_14default_configENS1_21merge_config_selectorINS0_5tupleIJssEEENS0_10empty_typeEEEZNS1_10merge_implIS3_NS0_12zip_iteratorINS5_IJN6thrust23THRUST_200600_302600_NS6detail15normal_iteratorINSC_10device_ptrIKsEEEESI_EEEEESK_NSA_INS5_IJNSC_16discard_iteratorINSC_11use_defaultEEESN_EEEEEPS7_SQ_SQ_NSC_11hip_rocprim7__merge17predicate_wrapperIssNSC_4lessIsEEEEEE10hipError_tPvRmT0_T1_T2_T3_T4_T5_mmT6_P12ihipStream_tbEUlT_E0_NS1_11comp_targetILNS1_3genE3ELNS1_11target_archE908ELNS1_3gpuE7ELNS1_3repE0EEENS1_30default_config_static_selectorELNS0_4arch9wavefront6targetE0EEEvS11_.has_indirect_call, 0
	.section	.AMDGPU.csdata,"",@progbits
; Kernel info:
; codeLenInByte = 0
; TotalNumSgprs: 0
; NumVgprs: 0
; ScratchSize: 0
; MemoryBound: 0
; FloatMode: 240
; IeeeMode: 1
; LDSByteSize: 0 bytes/workgroup (compile time only)
; SGPRBlocks: 0
; VGPRBlocks: 0
; NumSGPRsForWavesPerEU: 1
; NumVGPRsForWavesPerEU: 1
; Occupancy: 16
; WaveLimiterHint : 0
; COMPUTE_PGM_RSRC2:SCRATCH_EN: 0
; COMPUTE_PGM_RSRC2:USER_SGPR: 6
; COMPUTE_PGM_RSRC2:TRAP_HANDLER: 0
; COMPUTE_PGM_RSRC2:TGID_X_EN: 1
; COMPUTE_PGM_RSRC2:TGID_Y_EN: 0
; COMPUTE_PGM_RSRC2:TGID_Z_EN: 0
; COMPUTE_PGM_RSRC2:TIDIG_COMP_CNT: 0
	.section	.text._ZN7rocprim17ROCPRIM_400000_NS6detail17trampoline_kernelINS0_14default_configENS1_21merge_config_selectorINS0_5tupleIJssEEENS0_10empty_typeEEEZNS1_10merge_implIS3_NS0_12zip_iteratorINS5_IJN6thrust23THRUST_200600_302600_NS6detail15normal_iteratorINSC_10device_ptrIKsEEEESI_EEEEESK_NSA_INS5_IJNSC_16discard_iteratorINSC_11use_defaultEEESN_EEEEEPS7_SQ_SQ_NSC_11hip_rocprim7__merge17predicate_wrapperIssNSC_4lessIsEEEEEE10hipError_tPvRmT0_T1_T2_T3_T4_T5_mmT6_P12ihipStream_tbEUlT_E0_NS1_11comp_targetILNS1_3genE2ELNS1_11target_archE906ELNS1_3gpuE6ELNS1_3repE0EEENS1_30default_config_static_selectorELNS0_4arch9wavefront6targetE0EEEvS11_,"axG",@progbits,_ZN7rocprim17ROCPRIM_400000_NS6detail17trampoline_kernelINS0_14default_configENS1_21merge_config_selectorINS0_5tupleIJssEEENS0_10empty_typeEEEZNS1_10merge_implIS3_NS0_12zip_iteratorINS5_IJN6thrust23THRUST_200600_302600_NS6detail15normal_iteratorINSC_10device_ptrIKsEEEESI_EEEEESK_NSA_INS5_IJNSC_16discard_iteratorINSC_11use_defaultEEESN_EEEEEPS7_SQ_SQ_NSC_11hip_rocprim7__merge17predicate_wrapperIssNSC_4lessIsEEEEEE10hipError_tPvRmT0_T1_T2_T3_T4_T5_mmT6_P12ihipStream_tbEUlT_E0_NS1_11comp_targetILNS1_3genE2ELNS1_11target_archE906ELNS1_3gpuE6ELNS1_3repE0EEENS1_30default_config_static_selectorELNS0_4arch9wavefront6targetE0EEEvS11_,comdat
	.protected	_ZN7rocprim17ROCPRIM_400000_NS6detail17trampoline_kernelINS0_14default_configENS1_21merge_config_selectorINS0_5tupleIJssEEENS0_10empty_typeEEEZNS1_10merge_implIS3_NS0_12zip_iteratorINS5_IJN6thrust23THRUST_200600_302600_NS6detail15normal_iteratorINSC_10device_ptrIKsEEEESI_EEEEESK_NSA_INS5_IJNSC_16discard_iteratorINSC_11use_defaultEEESN_EEEEEPS7_SQ_SQ_NSC_11hip_rocprim7__merge17predicate_wrapperIssNSC_4lessIsEEEEEE10hipError_tPvRmT0_T1_T2_T3_T4_T5_mmT6_P12ihipStream_tbEUlT_E0_NS1_11comp_targetILNS1_3genE2ELNS1_11target_archE906ELNS1_3gpuE6ELNS1_3repE0EEENS1_30default_config_static_selectorELNS0_4arch9wavefront6targetE0EEEvS11_ ; -- Begin function _ZN7rocprim17ROCPRIM_400000_NS6detail17trampoline_kernelINS0_14default_configENS1_21merge_config_selectorINS0_5tupleIJssEEENS0_10empty_typeEEEZNS1_10merge_implIS3_NS0_12zip_iteratorINS5_IJN6thrust23THRUST_200600_302600_NS6detail15normal_iteratorINSC_10device_ptrIKsEEEESI_EEEEESK_NSA_INS5_IJNSC_16discard_iteratorINSC_11use_defaultEEESN_EEEEEPS7_SQ_SQ_NSC_11hip_rocprim7__merge17predicate_wrapperIssNSC_4lessIsEEEEEE10hipError_tPvRmT0_T1_T2_T3_T4_T5_mmT6_P12ihipStream_tbEUlT_E0_NS1_11comp_targetILNS1_3genE2ELNS1_11target_archE906ELNS1_3gpuE6ELNS1_3repE0EEENS1_30default_config_static_selectorELNS0_4arch9wavefront6targetE0EEEvS11_
	.globl	_ZN7rocprim17ROCPRIM_400000_NS6detail17trampoline_kernelINS0_14default_configENS1_21merge_config_selectorINS0_5tupleIJssEEENS0_10empty_typeEEEZNS1_10merge_implIS3_NS0_12zip_iteratorINS5_IJN6thrust23THRUST_200600_302600_NS6detail15normal_iteratorINSC_10device_ptrIKsEEEESI_EEEEESK_NSA_INS5_IJNSC_16discard_iteratorINSC_11use_defaultEEESN_EEEEEPS7_SQ_SQ_NSC_11hip_rocprim7__merge17predicate_wrapperIssNSC_4lessIsEEEEEE10hipError_tPvRmT0_T1_T2_T3_T4_T5_mmT6_P12ihipStream_tbEUlT_E0_NS1_11comp_targetILNS1_3genE2ELNS1_11target_archE906ELNS1_3gpuE6ELNS1_3repE0EEENS1_30default_config_static_selectorELNS0_4arch9wavefront6targetE0EEEvS11_
	.p2align	8
	.type	_ZN7rocprim17ROCPRIM_400000_NS6detail17trampoline_kernelINS0_14default_configENS1_21merge_config_selectorINS0_5tupleIJssEEENS0_10empty_typeEEEZNS1_10merge_implIS3_NS0_12zip_iteratorINS5_IJN6thrust23THRUST_200600_302600_NS6detail15normal_iteratorINSC_10device_ptrIKsEEEESI_EEEEESK_NSA_INS5_IJNSC_16discard_iteratorINSC_11use_defaultEEESN_EEEEEPS7_SQ_SQ_NSC_11hip_rocprim7__merge17predicate_wrapperIssNSC_4lessIsEEEEEE10hipError_tPvRmT0_T1_T2_T3_T4_T5_mmT6_P12ihipStream_tbEUlT_E0_NS1_11comp_targetILNS1_3genE2ELNS1_11target_archE906ELNS1_3gpuE6ELNS1_3repE0EEENS1_30default_config_static_selectorELNS0_4arch9wavefront6targetE0EEEvS11_,@function
_ZN7rocprim17ROCPRIM_400000_NS6detail17trampoline_kernelINS0_14default_configENS1_21merge_config_selectorINS0_5tupleIJssEEENS0_10empty_typeEEEZNS1_10merge_implIS3_NS0_12zip_iteratorINS5_IJN6thrust23THRUST_200600_302600_NS6detail15normal_iteratorINSC_10device_ptrIKsEEEESI_EEEEESK_NSA_INS5_IJNSC_16discard_iteratorINSC_11use_defaultEEESN_EEEEEPS7_SQ_SQ_NSC_11hip_rocprim7__merge17predicate_wrapperIssNSC_4lessIsEEEEEE10hipError_tPvRmT0_T1_T2_T3_T4_T5_mmT6_P12ihipStream_tbEUlT_E0_NS1_11comp_targetILNS1_3genE2ELNS1_11target_archE906ELNS1_3gpuE6ELNS1_3repE0EEENS1_30default_config_static_selectorELNS0_4arch9wavefront6targetE0EEEvS11_: ; @_ZN7rocprim17ROCPRIM_400000_NS6detail17trampoline_kernelINS0_14default_configENS1_21merge_config_selectorINS0_5tupleIJssEEENS0_10empty_typeEEEZNS1_10merge_implIS3_NS0_12zip_iteratorINS5_IJN6thrust23THRUST_200600_302600_NS6detail15normal_iteratorINSC_10device_ptrIKsEEEESI_EEEEESK_NSA_INS5_IJNSC_16discard_iteratorINSC_11use_defaultEEESN_EEEEEPS7_SQ_SQ_NSC_11hip_rocprim7__merge17predicate_wrapperIssNSC_4lessIsEEEEEE10hipError_tPvRmT0_T1_T2_T3_T4_T5_mmT6_P12ihipStream_tbEUlT_E0_NS1_11comp_targetILNS1_3genE2ELNS1_11target_archE906ELNS1_3gpuE6ELNS1_3repE0EEENS1_30default_config_static_selectorELNS0_4arch9wavefront6targetE0EEEvS11_
; %bb.0:
	.section	.rodata,"a",@progbits
	.p2align	6, 0x0
	.amdhsa_kernel _ZN7rocprim17ROCPRIM_400000_NS6detail17trampoline_kernelINS0_14default_configENS1_21merge_config_selectorINS0_5tupleIJssEEENS0_10empty_typeEEEZNS1_10merge_implIS3_NS0_12zip_iteratorINS5_IJN6thrust23THRUST_200600_302600_NS6detail15normal_iteratorINSC_10device_ptrIKsEEEESI_EEEEESK_NSA_INS5_IJNSC_16discard_iteratorINSC_11use_defaultEEESN_EEEEEPS7_SQ_SQ_NSC_11hip_rocprim7__merge17predicate_wrapperIssNSC_4lessIsEEEEEE10hipError_tPvRmT0_T1_T2_T3_T4_T5_mmT6_P12ihipStream_tbEUlT_E0_NS1_11comp_targetILNS1_3genE2ELNS1_11target_archE906ELNS1_3gpuE6ELNS1_3repE0EEENS1_30default_config_static_selectorELNS0_4arch9wavefront6targetE0EEEvS11_
		.amdhsa_group_segment_fixed_size 0
		.amdhsa_private_segment_fixed_size 0
		.amdhsa_kernarg_size 128
		.amdhsa_user_sgpr_count 6
		.amdhsa_user_sgpr_private_segment_buffer 1
		.amdhsa_user_sgpr_dispatch_ptr 0
		.amdhsa_user_sgpr_queue_ptr 0
		.amdhsa_user_sgpr_kernarg_segment_ptr 1
		.amdhsa_user_sgpr_dispatch_id 0
		.amdhsa_user_sgpr_flat_scratch_init 0
		.amdhsa_user_sgpr_private_segment_size 0
		.amdhsa_wavefront_size32 1
		.amdhsa_uses_dynamic_stack 0
		.amdhsa_system_sgpr_private_segment_wavefront_offset 0
		.amdhsa_system_sgpr_workgroup_id_x 1
		.amdhsa_system_sgpr_workgroup_id_y 0
		.amdhsa_system_sgpr_workgroup_id_z 0
		.amdhsa_system_sgpr_workgroup_info 0
		.amdhsa_system_vgpr_workitem_id 0
		.amdhsa_next_free_vgpr 1
		.amdhsa_next_free_sgpr 1
		.amdhsa_reserve_vcc 0
		.amdhsa_reserve_flat_scratch 0
		.amdhsa_float_round_mode_32 0
		.amdhsa_float_round_mode_16_64 0
		.amdhsa_float_denorm_mode_32 3
		.amdhsa_float_denorm_mode_16_64 3
		.amdhsa_dx10_clamp 1
		.amdhsa_ieee_mode 1
		.amdhsa_fp16_overflow 0
		.amdhsa_workgroup_processor_mode 1
		.amdhsa_memory_ordered 1
		.amdhsa_forward_progress 1
		.amdhsa_shared_vgpr_count 0
		.amdhsa_exception_fp_ieee_invalid_op 0
		.amdhsa_exception_fp_denorm_src 0
		.amdhsa_exception_fp_ieee_div_zero 0
		.amdhsa_exception_fp_ieee_overflow 0
		.amdhsa_exception_fp_ieee_underflow 0
		.amdhsa_exception_fp_ieee_inexact 0
		.amdhsa_exception_int_div_zero 0
	.end_amdhsa_kernel
	.section	.text._ZN7rocprim17ROCPRIM_400000_NS6detail17trampoline_kernelINS0_14default_configENS1_21merge_config_selectorINS0_5tupleIJssEEENS0_10empty_typeEEEZNS1_10merge_implIS3_NS0_12zip_iteratorINS5_IJN6thrust23THRUST_200600_302600_NS6detail15normal_iteratorINSC_10device_ptrIKsEEEESI_EEEEESK_NSA_INS5_IJNSC_16discard_iteratorINSC_11use_defaultEEESN_EEEEEPS7_SQ_SQ_NSC_11hip_rocprim7__merge17predicate_wrapperIssNSC_4lessIsEEEEEE10hipError_tPvRmT0_T1_T2_T3_T4_T5_mmT6_P12ihipStream_tbEUlT_E0_NS1_11comp_targetILNS1_3genE2ELNS1_11target_archE906ELNS1_3gpuE6ELNS1_3repE0EEENS1_30default_config_static_selectorELNS0_4arch9wavefront6targetE0EEEvS11_,"axG",@progbits,_ZN7rocprim17ROCPRIM_400000_NS6detail17trampoline_kernelINS0_14default_configENS1_21merge_config_selectorINS0_5tupleIJssEEENS0_10empty_typeEEEZNS1_10merge_implIS3_NS0_12zip_iteratorINS5_IJN6thrust23THRUST_200600_302600_NS6detail15normal_iteratorINSC_10device_ptrIKsEEEESI_EEEEESK_NSA_INS5_IJNSC_16discard_iteratorINSC_11use_defaultEEESN_EEEEEPS7_SQ_SQ_NSC_11hip_rocprim7__merge17predicate_wrapperIssNSC_4lessIsEEEEEE10hipError_tPvRmT0_T1_T2_T3_T4_T5_mmT6_P12ihipStream_tbEUlT_E0_NS1_11comp_targetILNS1_3genE2ELNS1_11target_archE906ELNS1_3gpuE6ELNS1_3repE0EEENS1_30default_config_static_selectorELNS0_4arch9wavefront6targetE0EEEvS11_,comdat
.Lfunc_end618:
	.size	_ZN7rocprim17ROCPRIM_400000_NS6detail17trampoline_kernelINS0_14default_configENS1_21merge_config_selectorINS0_5tupleIJssEEENS0_10empty_typeEEEZNS1_10merge_implIS3_NS0_12zip_iteratorINS5_IJN6thrust23THRUST_200600_302600_NS6detail15normal_iteratorINSC_10device_ptrIKsEEEESI_EEEEESK_NSA_INS5_IJNSC_16discard_iteratorINSC_11use_defaultEEESN_EEEEEPS7_SQ_SQ_NSC_11hip_rocprim7__merge17predicate_wrapperIssNSC_4lessIsEEEEEE10hipError_tPvRmT0_T1_T2_T3_T4_T5_mmT6_P12ihipStream_tbEUlT_E0_NS1_11comp_targetILNS1_3genE2ELNS1_11target_archE906ELNS1_3gpuE6ELNS1_3repE0EEENS1_30default_config_static_selectorELNS0_4arch9wavefront6targetE0EEEvS11_, .Lfunc_end618-_ZN7rocprim17ROCPRIM_400000_NS6detail17trampoline_kernelINS0_14default_configENS1_21merge_config_selectorINS0_5tupleIJssEEENS0_10empty_typeEEEZNS1_10merge_implIS3_NS0_12zip_iteratorINS5_IJN6thrust23THRUST_200600_302600_NS6detail15normal_iteratorINSC_10device_ptrIKsEEEESI_EEEEESK_NSA_INS5_IJNSC_16discard_iteratorINSC_11use_defaultEEESN_EEEEEPS7_SQ_SQ_NSC_11hip_rocprim7__merge17predicate_wrapperIssNSC_4lessIsEEEEEE10hipError_tPvRmT0_T1_T2_T3_T4_T5_mmT6_P12ihipStream_tbEUlT_E0_NS1_11comp_targetILNS1_3genE2ELNS1_11target_archE906ELNS1_3gpuE6ELNS1_3repE0EEENS1_30default_config_static_selectorELNS0_4arch9wavefront6targetE0EEEvS11_
                                        ; -- End function
	.set _ZN7rocprim17ROCPRIM_400000_NS6detail17trampoline_kernelINS0_14default_configENS1_21merge_config_selectorINS0_5tupleIJssEEENS0_10empty_typeEEEZNS1_10merge_implIS3_NS0_12zip_iteratorINS5_IJN6thrust23THRUST_200600_302600_NS6detail15normal_iteratorINSC_10device_ptrIKsEEEESI_EEEEESK_NSA_INS5_IJNSC_16discard_iteratorINSC_11use_defaultEEESN_EEEEEPS7_SQ_SQ_NSC_11hip_rocprim7__merge17predicate_wrapperIssNSC_4lessIsEEEEEE10hipError_tPvRmT0_T1_T2_T3_T4_T5_mmT6_P12ihipStream_tbEUlT_E0_NS1_11comp_targetILNS1_3genE2ELNS1_11target_archE906ELNS1_3gpuE6ELNS1_3repE0EEENS1_30default_config_static_selectorELNS0_4arch9wavefront6targetE0EEEvS11_.num_vgpr, 0
	.set _ZN7rocprim17ROCPRIM_400000_NS6detail17trampoline_kernelINS0_14default_configENS1_21merge_config_selectorINS0_5tupleIJssEEENS0_10empty_typeEEEZNS1_10merge_implIS3_NS0_12zip_iteratorINS5_IJN6thrust23THRUST_200600_302600_NS6detail15normal_iteratorINSC_10device_ptrIKsEEEESI_EEEEESK_NSA_INS5_IJNSC_16discard_iteratorINSC_11use_defaultEEESN_EEEEEPS7_SQ_SQ_NSC_11hip_rocprim7__merge17predicate_wrapperIssNSC_4lessIsEEEEEE10hipError_tPvRmT0_T1_T2_T3_T4_T5_mmT6_P12ihipStream_tbEUlT_E0_NS1_11comp_targetILNS1_3genE2ELNS1_11target_archE906ELNS1_3gpuE6ELNS1_3repE0EEENS1_30default_config_static_selectorELNS0_4arch9wavefront6targetE0EEEvS11_.num_agpr, 0
	.set _ZN7rocprim17ROCPRIM_400000_NS6detail17trampoline_kernelINS0_14default_configENS1_21merge_config_selectorINS0_5tupleIJssEEENS0_10empty_typeEEEZNS1_10merge_implIS3_NS0_12zip_iteratorINS5_IJN6thrust23THRUST_200600_302600_NS6detail15normal_iteratorINSC_10device_ptrIKsEEEESI_EEEEESK_NSA_INS5_IJNSC_16discard_iteratorINSC_11use_defaultEEESN_EEEEEPS7_SQ_SQ_NSC_11hip_rocprim7__merge17predicate_wrapperIssNSC_4lessIsEEEEEE10hipError_tPvRmT0_T1_T2_T3_T4_T5_mmT6_P12ihipStream_tbEUlT_E0_NS1_11comp_targetILNS1_3genE2ELNS1_11target_archE906ELNS1_3gpuE6ELNS1_3repE0EEENS1_30default_config_static_selectorELNS0_4arch9wavefront6targetE0EEEvS11_.numbered_sgpr, 0
	.set _ZN7rocprim17ROCPRIM_400000_NS6detail17trampoline_kernelINS0_14default_configENS1_21merge_config_selectorINS0_5tupleIJssEEENS0_10empty_typeEEEZNS1_10merge_implIS3_NS0_12zip_iteratorINS5_IJN6thrust23THRUST_200600_302600_NS6detail15normal_iteratorINSC_10device_ptrIKsEEEESI_EEEEESK_NSA_INS5_IJNSC_16discard_iteratorINSC_11use_defaultEEESN_EEEEEPS7_SQ_SQ_NSC_11hip_rocprim7__merge17predicate_wrapperIssNSC_4lessIsEEEEEE10hipError_tPvRmT0_T1_T2_T3_T4_T5_mmT6_P12ihipStream_tbEUlT_E0_NS1_11comp_targetILNS1_3genE2ELNS1_11target_archE906ELNS1_3gpuE6ELNS1_3repE0EEENS1_30default_config_static_selectorELNS0_4arch9wavefront6targetE0EEEvS11_.num_named_barrier, 0
	.set _ZN7rocprim17ROCPRIM_400000_NS6detail17trampoline_kernelINS0_14default_configENS1_21merge_config_selectorINS0_5tupleIJssEEENS0_10empty_typeEEEZNS1_10merge_implIS3_NS0_12zip_iteratorINS5_IJN6thrust23THRUST_200600_302600_NS6detail15normal_iteratorINSC_10device_ptrIKsEEEESI_EEEEESK_NSA_INS5_IJNSC_16discard_iteratorINSC_11use_defaultEEESN_EEEEEPS7_SQ_SQ_NSC_11hip_rocprim7__merge17predicate_wrapperIssNSC_4lessIsEEEEEE10hipError_tPvRmT0_T1_T2_T3_T4_T5_mmT6_P12ihipStream_tbEUlT_E0_NS1_11comp_targetILNS1_3genE2ELNS1_11target_archE906ELNS1_3gpuE6ELNS1_3repE0EEENS1_30default_config_static_selectorELNS0_4arch9wavefront6targetE0EEEvS11_.private_seg_size, 0
	.set _ZN7rocprim17ROCPRIM_400000_NS6detail17trampoline_kernelINS0_14default_configENS1_21merge_config_selectorINS0_5tupleIJssEEENS0_10empty_typeEEEZNS1_10merge_implIS3_NS0_12zip_iteratorINS5_IJN6thrust23THRUST_200600_302600_NS6detail15normal_iteratorINSC_10device_ptrIKsEEEESI_EEEEESK_NSA_INS5_IJNSC_16discard_iteratorINSC_11use_defaultEEESN_EEEEEPS7_SQ_SQ_NSC_11hip_rocprim7__merge17predicate_wrapperIssNSC_4lessIsEEEEEE10hipError_tPvRmT0_T1_T2_T3_T4_T5_mmT6_P12ihipStream_tbEUlT_E0_NS1_11comp_targetILNS1_3genE2ELNS1_11target_archE906ELNS1_3gpuE6ELNS1_3repE0EEENS1_30default_config_static_selectorELNS0_4arch9wavefront6targetE0EEEvS11_.uses_vcc, 0
	.set _ZN7rocprim17ROCPRIM_400000_NS6detail17trampoline_kernelINS0_14default_configENS1_21merge_config_selectorINS0_5tupleIJssEEENS0_10empty_typeEEEZNS1_10merge_implIS3_NS0_12zip_iteratorINS5_IJN6thrust23THRUST_200600_302600_NS6detail15normal_iteratorINSC_10device_ptrIKsEEEESI_EEEEESK_NSA_INS5_IJNSC_16discard_iteratorINSC_11use_defaultEEESN_EEEEEPS7_SQ_SQ_NSC_11hip_rocprim7__merge17predicate_wrapperIssNSC_4lessIsEEEEEE10hipError_tPvRmT0_T1_T2_T3_T4_T5_mmT6_P12ihipStream_tbEUlT_E0_NS1_11comp_targetILNS1_3genE2ELNS1_11target_archE906ELNS1_3gpuE6ELNS1_3repE0EEENS1_30default_config_static_selectorELNS0_4arch9wavefront6targetE0EEEvS11_.uses_flat_scratch, 0
	.set _ZN7rocprim17ROCPRIM_400000_NS6detail17trampoline_kernelINS0_14default_configENS1_21merge_config_selectorINS0_5tupleIJssEEENS0_10empty_typeEEEZNS1_10merge_implIS3_NS0_12zip_iteratorINS5_IJN6thrust23THRUST_200600_302600_NS6detail15normal_iteratorINSC_10device_ptrIKsEEEESI_EEEEESK_NSA_INS5_IJNSC_16discard_iteratorINSC_11use_defaultEEESN_EEEEEPS7_SQ_SQ_NSC_11hip_rocprim7__merge17predicate_wrapperIssNSC_4lessIsEEEEEE10hipError_tPvRmT0_T1_T2_T3_T4_T5_mmT6_P12ihipStream_tbEUlT_E0_NS1_11comp_targetILNS1_3genE2ELNS1_11target_archE906ELNS1_3gpuE6ELNS1_3repE0EEENS1_30default_config_static_selectorELNS0_4arch9wavefront6targetE0EEEvS11_.has_dyn_sized_stack, 0
	.set _ZN7rocprim17ROCPRIM_400000_NS6detail17trampoline_kernelINS0_14default_configENS1_21merge_config_selectorINS0_5tupleIJssEEENS0_10empty_typeEEEZNS1_10merge_implIS3_NS0_12zip_iteratorINS5_IJN6thrust23THRUST_200600_302600_NS6detail15normal_iteratorINSC_10device_ptrIKsEEEESI_EEEEESK_NSA_INS5_IJNSC_16discard_iteratorINSC_11use_defaultEEESN_EEEEEPS7_SQ_SQ_NSC_11hip_rocprim7__merge17predicate_wrapperIssNSC_4lessIsEEEEEE10hipError_tPvRmT0_T1_T2_T3_T4_T5_mmT6_P12ihipStream_tbEUlT_E0_NS1_11comp_targetILNS1_3genE2ELNS1_11target_archE906ELNS1_3gpuE6ELNS1_3repE0EEENS1_30default_config_static_selectorELNS0_4arch9wavefront6targetE0EEEvS11_.has_recursion, 0
	.set _ZN7rocprim17ROCPRIM_400000_NS6detail17trampoline_kernelINS0_14default_configENS1_21merge_config_selectorINS0_5tupleIJssEEENS0_10empty_typeEEEZNS1_10merge_implIS3_NS0_12zip_iteratorINS5_IJN6thrust23THRUST_200600_302600_NS6detail15normal_iteratorINSC_10device_ptrIKsEEEESI_EEEEESK_NSA_INS5_IJNSC_16discard_iteratorINSC_11use_defaultEEESN_EEEEEPS7_SQ_SQ_NSC_11hip_rocprim7__merge17predicate_wrapperIssNSC_4lessIsEEEEEE10hipError_tPvRmT0_T1_T2_T3_T4_T5_mmT6_P12ihipStream_tbEUlT_E0_NS1_11comp_targetILNS1_3genE2ELNS1_11target_archE906ELNS1_3gpuE6ELNS1_3repE0EEENS1_30default_config_static_selectorELNS0_4arch9wavefront6targetE0EEEvS11_.has_indirect_call, 0
	.section	.AMDGPU.csdata,"",@progbits
; Kernel info:
; codeLenInByte = 0
; TotalNumSgprs: 0
; NumVgprs: 0
; ScratchSize: 0
; MemoryBound: 0
; FloatMode: 240
; IeeeMode: 1
; LDSByteSize: 0 bytes/workgroup (compile time only)
; SGPRBlocks: 0
; VGPRBlocks: 0
; NumSGPRsForWavesPerEU: 1
; NumVGPRsForWavesPerEU: 1
; Occupancy: 16
; WaveLimiterHint : 0
; COMPUTE_PGM_RSRC2:SCRATCH_EN: 0
; COMPUTE_PGM_RSRC2:USER_SGPR: 6
; COMPUTE_PGM_RSRC2:TRAP_HANDLER: 0
; COMPUTE_PGM_RSRC2:TGID_X_EN: 1
; COMPUTE_PGM_RSRC2:TGID_Y_EN: 0
; COMPUTE_PGM_RSRC2:TGID_Z_EN: 0
; COMPUTE_PGM_RSRC2:TIDIG_COMP_CNT: 0
	.section	.text._ZN7rocprim17ROCPRIM_400000_NS6detail17trampoline_kernelINS0_14default_configENS1_21merge_config_selectorINS0_5tupleIJssEEENS0_10empty_typeEEEZNS1_10merge_implIS3_NS0_12zip_iteratorINS5_IJN6thrust23THRUST_200600_302600_NS6detail15normal_iteratorINSC_10device_ptrIKsEEEESI_EEEEESK_NSA_INS5_IJNSC_16discard_iteratorINSC_11use_defaultEEESN_EEEEEPS7_SQ_SQ_NSC_11hip_rocprim7__merge17predicate_wrapperIssNSC_4lessIsEEEEEE10hipError_tPvRmT0_T1_T2_T3_T4_T5_mmT6_P12ihipStream_tbEUlT_E0_NS1_11comp_targetILNS1_3genE10ELNS1_11target_archE1201ELNS1_3gpuE5ELNS1_3repE0EEENS1_30default_config_static_selectorELNS0_4arch9wavefront6targetE0EEEvS11_,"axG",@progbits,_ZN7rocprim17ROCPRIM_400000_NS6detail17trampoline_kernelINS0_14default_configENS1_21merge_config_selectorINS0_5tupleIJssEEENS0_10empty_typeEEEZNS1_10merge_implIS3_NS0_12zip_iteratorINS5_IJN6thrust23THRUST_200600_302600_NS6detail15normal_iteratorINSC_10device_ptrIKsEEEESI_EEEEESK_NSA_INS5_IJNSC_16discard_iteratorINSC_11use_defaultEEESN_EEEEEPS7_SQ_SQ_NSC_11hip_rocprim7__merge17predicate_wrapperIssNSC_4lessIsEEEEEE10hipError_tPvRmT0_T1_T2_T3_T4_T5_mmT6_P12ihipStream_tbEUlT_E0_NS1_11comp_targetILNS1_3genE10ELNS1_11target_archE1201ELNS1_3gpuE5ELNS1_3repE0EEENS1_30default_config_static_selectorELNS0_4arch9wavefront6targetE0EEEvS11_,comdat
	.protected	_ZN7rocprim17ROCPRIM_400000_NS6detail17trampoline_kernelINS0_14default_configENS1_21merge_config_selectorINS0_5tupleIJssEEENS0_10empty_typeEEEZNS1_10merge_implIS3_NS0_12zip_iteratorINS5_IJN6thrust23THRUST_200600_302600_NS6detail15normal_iteratorINSC_10device_ptrIKsEEEESI_EEEEESK_NSA_INS5_IJNSC_16discard_iteratorINSC_11use_defaultEEESN_EEEEEPS7_SQ_SQ_NSC_11hip_rocprim7__merge17predicate_wrapperIssNSC_4lessIsEEEEEE10hipError_tPvRmT0_T1_T2_T3_T4_T5_mmT6_P12ihipStream_tbEUlT_E0_NS1_11comp_targetILNS1_3genE10ELNS1_11target_archE1201ELNS1_3gpuE5ELNS1_3repE0EEENS1_30default_config_static_selectorELNS0_4arch9wavefront6targetE0EEEvS11_ ; -- Begin function _ZN7rocprim17ROCPRIM_400000_NS6detail17trampoline_kernelINS0_14default_configENS1_21merge_config_selectorINS0_5tupleIJssEEENS0_10empty_typeEEEZNS1_10merge_implIS3_NS0_12zip_iteratorINS5_IJN6thrust23THRUST_200600_302600_NS6detail15normal_iteratorINSC_10device_ptrIKsEEEESI_EEEEESK_NSA_INS5_IJNSC_16discard_iteratorINSC_11use_defaultEEESN_EEEEEPS7_SQ_SQ_NSC_11hip_rocprim7__merge17predicate_wrapperIssNSC_4lessIsEEEEEE10hipError_tPvRmT0_T1_T2_T3_T4_T5_mmT6_P12ihipStream_tbEUlT_E0_NS1_11comp_targetILNS1_3genE10ELNS1_11target_archE1201ELNS1_3gpuE5ELNS1_3repE0EEENS1_30default_config_static_selectorELNS0_4arch9wavefront6targetE0EEEvS11_
	.globl	_ZN7rocprim17ROCPRIM_400000_NS6detail17trampoline_kernelINS0_14default_configENS1_21merge_config_selectorINS0_5tupleIJssEEENS0_10empty_typeEEEZNS1_10merge_implIS3_NS0_12zip_iteratorINS5_IJN6thrust23THRUST_200600_302600_NS6detail15normal_iteratorINSC_10device_ptrIKsEEEESI_EEEEESK_NSA_INS5_IJNSC_16discard_iteratorINSC_11use_defaultEEESN_EEEEEPS7_SQ_SQ_NSC_11hip_rocprim7__merge17predicate_wrapperIssNSC_4lessIsEEEEEE10hipError_tPvRmT0_T1_T2_T3_T4_T5_mmT6_P12ihipStream_tbEUlT_E0_NS1_11comp_targetILNS1_3genE10ELNS1_11target_archE1201ELNS1_3gpuE5ELNS1_3repE0EEENS1_30default_config_static_selectorELNS0_4arch9wavefront6targetE0EEEvS11_
	.p2align	8
	.type	_ZN7rocprim17ROCPRIM_400000_NS6detail17trampoline_kernelINS0_14default_configENS1_21merge_config_selectorINS0_5tupleIJssEEENS0_10empty_typeEEEZNS1_10merge_implIS3_NS0_12zip_iteratorINS5_IJN6thrust23THRUST_200600_302600_NS6detail15normal_iteratorINSC_10device_ptrIKsEEEESI_EEEEESK_NSA_INS5_IJNSC_16discard_iteratorINSC_11use_defaultEEESN_EEEEEPS7_SQ_SQ_NSC_11hip_rocprim7__merge17predicate_wrapperIssNSC_4lessIsEEEEEE10hipError_tPvRmT0_T1_T2_T3_T4_T5_mmT6_P12ihipStream_tbEUlT_E0_NS1_11comp_targetILNS1_3genE10ELNS1_11target_archE1201ELNS1_3gpuE5ELNS1_3repE0EEENS1_30default_config_static_selectorELNS0_4arch9wavefront6targetE0EEEvS11_,@function
_ZN7rocprim17ROCPRIM_400000_NS6detail17trampoline_kernelINS0_14default_configENS1_21merge_config_selectorINS0_5tupleIJssEEENS0_10empty_typeEEEZNS1_10merge_implIS3_NS0_12zip_iteratorINS5_IJN6thrust23THRUST_200600_302600_NS6detail15normal_iteratorINSC_10device_ptrIKsEEEESI_EEEEESK_NSA_INS5_IJNSC_16discard_iteratorINSC_11use_defaultEEESN_EEEEEPS7_SQ_SQ_NSC_11hip_rocprim7__merge17predicate_wrapperIssNSC_4lessIsEEEEEE10hipError_tPvRmT0_T1_T2_T3_T4_T5_mmT6_P12ihipStream_tbEUlT_E0_NS1_11comp_targetILNS1_3genE10ELNS1_11target_archE1201ELNS1_3gpuE5ELNS1_3repE0EEENS1_30default_config_static_selectorELNS0_4arch9wavefront6targetE0EEEvS11_: ; @_ZN7rocprim17ROCPRIM_400000_NS6detail17trampoline_kernelINS0_14default_configENS1_21merge_config_selectorINS0_5tupleIJssEEENS0_10empty_typeEEEZNS1_10merge_implIS3_NS0_12zip_iteratorINS5_IJN6thrust23THRUST_200600_302600_NS6detail15normal_iteratorINSC_10device_ptrIKsEEEESI_EEEEESK_NSA_INS5_IJNSC_16discard_iteratorINSC_11use_defaultEEESN_EEEEEPS7_SQ_SQ_NSC_11hip_rocprim7__merge17predicate_wrapperIssNSC_4lessIsEEEEEE10hipError_tPvRmT0_T1_T2_T3_T4_T5_mmT6_P12ihipStream_tbEUlT_E0_NS1_11comp_targetILNS1_3genE10ELNS1_11target_archE1201ELNS1_3gpuE5ELNS1_3repE0EEENS1_30default_config_static_selectorELNS0_4arch9wavefront6targetE0EEEvS11_
; %bb.0:
	.section	.rodata,"a",@progbits
	.p2align	6, 0x0
	.amdhsa_kernel _ZN7rocprim17ROCPRIM_400000_NS6detail17trampoline_kernelINS0_14default_configENS1_21merge_config_selectorINS0_5tupleIJssEEENS0_10empty_typeEEEZNS1_10merge_implIS3_NS0_12zip_iteratorINS5_IJN6thrust23THRUST_200600_302600_NS6detail15normal_iteratorINSC_10device_ptrIKsEEEESI_EEEEESK_NSA_INS5_IJNSC_16discard_iteratorINSC_11use_defaultEEESN_EEEEEPS7_SQ_SQ_NSC_11hip_rocprim7__merge17predicate_wrapperIssNSC_4lessIsEEEEEE10hipError_tPvRmT0_T1_T2_T3_T4_T5_mmT6_P12ihipStream_tbEUlT_E0_NS1_11comp_targetILNS1_3genE10ELNS1_11target_archE1201ELNS1_3gpuE5ELNS1_3repE0EEENS1_30default_config_static_selectorELNS0_4arch9wavefront6targetE0EEEvS11_
		.amdhsa_group_segment_fixed_size 0
		.amdhsa_private_segment_fixed_size 0
		.amdhsa_kernarg_size 128
		.amdhsa_user_sgpr_count 6
		.amdhsa_user_sgpr_private_segment_buffer 1
		.amdhsa_user_sgpr_dispatch_ptr 0
		.amdhsa_user_sgpr_queue_ptr 0
		.amdhsa_user_sgpr_kernarg_segment_ptr 1
		.amdhsa_user_sgpr_dispatch_id 0
		.amdhsa_user_sgpr_flat_scratch_init 0
		.amdhsa_user_sgpr_private_segment_size 0
		.amdhsa_wavefront_size32 1
		.amdhsa_uses_dynamic_stack 0
		.amdhsa_system_sgpr_private_segment_wavefront_offset 0
		.amdhsa_system_sgpr_workgroup_id_x 1
		.amdhsa_system_sgpr_workgroup_id_y 0
		.amdhsa_system_sgpr_workgroup_id_z 0
		.amdhsa_system_sgpr_workgroup_info 0
		.amdhsa_system_vgpr_workitem_id 0
		.amdhsa_next_free_vgpr 1
		.amdhsa_next_free_sgpr 1
		.amdhsa_reserve_vcc 0
		.amdhsa_reserve_flat_scratch 0
		.amdhsa_float_round_mode_32 0
		.amdhsa_float_round_mode_16_64 0
		.amdhsa_float_denorm_mode_32 3
		.amdhsa_float_denorm_mode_16_64 3
		.amdhsa_dx10_clamp 1
		.amdhsa_ieee_mode 1
		.amdhsa_fp16_overflow 0
		.amdhsa_workgroup_processor_mode 1
		.amdhsa_memory_ordered 1
		.amdhsa_forward_progress 1
		.amdhsa_shared_vgpr_count 0
		.amdhsa_exception_fp_ieee_invalid_op 0
		.amdhsa_exception_fp_denorm_src 0
		.amdhsa_exception_fp_ieee_div_zero 0
		.amdhsa_exception_fp_ieee_overflow 0
		.amdhsa_exception_fp_ieee_underflow 0
		.amdhsa_exception_fp_ieee_inexact 0
		.amdhsa_exception_int_div_zero 0
	.end_amdhsa_kernel
	.section	.text._ZN7rocprim17ROCPRIM_400000_NS6detail17trampoline_kernelINS0_14default_configENS1_21merge_config_selectorINS0_5tupleIJssEEENS0_10empty_typeEEEZNS1_10merge_implIS3_NS0_12zip_iteratorINS5_IJN6thrust23THRUST_200600_302600_NS6detail15normal_iteratorINSC_10device_ptrIKsEEEESI_EEEEESK_NSA_INS5_IJNSC_16discard_iteratorINSC_11use_defaultEEESN_EEEEEPS7_SQ_SQ_NSC_11hip_rocprim7__merge17predicate_wrapperIssNSC_4lessIsEEEEEE10hipError_tPvRmT0_T1_T2_T3_T4_T5_mmT6_P12ihipStream_tbEUlT_E0_NS1_11comp_targetILNS1_3genE10ELNS1_11target_archE1201ELNS1_3gpuE5ELNS1_3repE0EEENS1_30default_config_static_selectorELNS0_4arch9wavefront6targetE0EEEvS11_,"axG",@progbits,_ZN7rocprim17ROCPRIM_400000_NS6detail17trampoline_kernelINS0_14default_configENS1_21merge_config_selectorINS0_5tupleIJssEEENS0_10empty_typeEEEZNS1_10merge_implIS3_NS0_12zip_iteratorINS5_IJN6thrust23THRUST_200600_302600_NS6detail15normal_iteratorINSC_10device_ptrIKsEEEESI_EEEEESK_NSA_INS5_IJNSC_16discard_iteratorINSC_11use_defaultEEESN_EEEEEPS7_SQ_SQ_NSC_11hip_rocprim7__merge17predicate_wrapperIssNSC_4lessIsEEEEEE10hipError_tPvRmT0_T1_T2_T3_T4_T5_mmT6_P12ihipStream_tbEUlT_E0_NS1_11comp_targetILNS1_3genE10ELNS1_11target_archE1201ELNS1_3gpuE5ELNS1_3repE0EEENS1_30default_config_static_selectorELNS0_4arch9wavefront6targetE0EEEvS11_,comdat
.Lfunc_end619:
	.size	_ZN7rocprim17ROCPRIM_400000_NS6detail17trampoline_kernelINS0_14default_configENS1_21merge_config_selectorINS0_5tupleIJssEEENS0_10empty_typeEEEZNS1_10merge_implIS3_NS0_12zip_iteratorINS5_IJN6thrust23THRUST_200600_302600_NS6detail15normal_iteratorINSC_10device_ptrIKsEEEESI_EEEEESK_NSA_INS5_IJNSC_16discard_iteratorINSC_11use_defaultEEESN_EEEEEPS7_SQ_SQ_NSC_11hip_rocprim7__merge17predicate_wrapperIssNSC_4lessIsEEEEEE10hipError_tPvRmT0_T1_T2_T3_T4_T5_mmT6_P12ihipStream_tbEUlT_E0_NS1_11comp_targetILNS1_3genE10ELNS1_11target_archE1201ELNS1_3gpuE5ELNS1_3repE0EEENS1_30default_config_static_selectorELNS0_4arch9wavefront6targetE0EEEvS11_, .Lfunc_end619-_ZN7rocprim17ROCPRIM_400000_NS6detail17trampoline_kernelINS0_14default_configENS1_21merge_config_selectorINS0_5tupleIJssEEENS0_10empty_typeEEEZNS1_10merge_implIS3_NS0_12zip_iteratorINS5_IJN6thrust23THRUST_200600_302600_NS6detail15normal_iteratorINSC_10device_ptrIKsEEEESI_EEEEESK_NSA_INS5_IJNSC_16discard_iteratorINSC_11use_defaultEEESN_EEEEEPS7_SQ_SQ_NSC_11hip_rocprim7__merge17predicate_wrapperIssNSC_4lessIsEEEEEE10hipError_tPvRmT0_T1_T2_T3_T4_T5_mmT6_P12ihipStream_tbEUlT_E0_NS1_11comp_targetILNS1_3genE10ELNS1_11target_archE1201ELNS1_3gpuE5ELNS1_3repE0EEENS1_30default_config_static_selectorELNS0_4arch9wavefront6targetE0EEEvS11_
                                        ; -- End function
	.set _ZN7rocprim17ROCPRIM_400000_NS6detail17trampoline_kernelINS0_14default_configENS1_21merge_config_selectorINS0_5tupleIJssEEENS0_10empty_typeEEEZNS1_10merge_implIS3_NS0_12zip_iteratorINS5_IJN6thrust23THRUST_200600_302600_NS6detail15normal_iteratorINSC_10device_ptrIKsEEEESI_EEEEESK_NSA_INS5_IJNSC_16discard_iteratorINSC_11use_defaultEEESN_EEEEEPS7_SQ_SQ_NSC_11hip_rocprim7__merge17predicate_wrapperIssNSC_4lessIsEEEEEE10hipError_tPvRmT0_T1_T2_T3_T4_T5_mmT6_P12ihipStream_tbEUlT_E0_NS1_11comp_targetILNS1_3genE10ELNS1_11target_archE1201ELNS1_3gpuE5ELNS1_3repE0EEENS1_30default_config_static_selectorELNS0_4arch9wavefront6targetE0EEEvS11_.num_vgpr, 0
	.set _ZN7rocprim17ROCPRIM_400000_NS6detail17trampoline_kernelINS0_14default_configENS1_21merge_config_selectorINS0_5tupleIJssEEENS0_10empty_typeEEEZNS1_10merge_implIS3_NS0_12zip_iteratorINS5_IJN6thrust23THRUST_200600_302600_NS6detail15normal_iteratorINSC_10device_ptrIKsEEEESI_EEEEESK_NSA_INS5_IJNSC_16discard_iteratorINSC_11use_defaultEEESN_EEEEEPS7_SQ_SQ_NSC_11hip_rocprim7__merge17predicate_wrapperIssNSC_4lessIsEEEEEE10hipError_tPvRmT0_T1_T2_T3_T4_T5_mmT6_P12ihipStream_tbEUlT_E0_NS1_11comp_targetILNS1_3genE10ELNS1_11target_archE1201ELNS1_3gpuE5ELNS1_3repE0EEENS1_30default_config_static_selectorELNS0_4arch9wavefront6targetE0EEEvS11_.num_agpr, 0
	.set _ZN7rocprim17ROCPRIM_400000_NS6detail17trampoline_kernelINS0_14default_configENS1_21merge_config_selectorINS0_5tupleIJssEEENS0_10empty_typeEEEZNS1_10merge_implIS3_NS0_12zip_iteratorINS5_IJN6thrust23THRUST_200600_302600_NS6detail15normal_iteratorINSC_10device_ptrIKsEEEESI_EEEEESK_NSA_INS5_IJNSC_16discard_iteratorINSC_11use_defaultEEESN_EEEEEPS7_SQ_SQ_NSC_11hip_rocprim7__merge17predicate_wrapperIssNSC_4lessIsEEEEEE10hipError_tPvRmT0_T1_T2_T3_T4_T5_mmT6_P12ihipStream_tbEUlT_E0_NS1_11comp_targetILNS1_3genE10ELNS1_11target_archE1201ELNS1_3gpuE5ELNS1_3repE0EEENS1_30default_config_static_selectorELNS0_4arch9wavefront6targetE0EEEvS11_.numbered_sgpr, 0
	.set _ZN7rocprim17ROCPRIM_400000_NS6detail17trampoline_kernelINS0_14default_configENS1_21merge_config_selectorINS0_5tupleIJssEEENS0_10empty_typeEEEZNS1_10merge_implIS3_NS0_12zip_iteratorINS5_IJN6thrust23THRUST_200600_302600_NS6detail15normal_iteratorINSC_10device_ptrIKsEEEESI_EEEEESK_NSA_INS5_IJNSC_16discard_iteratorINSC_11use_defaultEEESN_EEEEEPS7_SQ_SQ_NSC_11hip_rocprim7__merge17predicate_wrapperIssNSC_4lessIsEEEEEE10hipError_tPvRmT0_T1_T2_T3_T4_T5_mmT6_P12ihipStream_tbEUlT_E0_NS1_11comp_targetILNS1_3genE10ELNS1_11target_archE1201ELNS1_3gpuE5ELNS1_3repE0EEENS1_30default_config_static_selectorELNS0_4arch9wavefront6targetE0EEEvS11_.num_named_barrier, 0
	.set _ZN7rocprim17ROCPRIM_400000_NS6detail17trampoline_kernelINS0_14default_configENS1_21merge_config_selectorINS0_5tupleIJssEEENS0_10empty_typeEEEZNS1_10merge_implIS3_NS0_12zip_iteratorINS5_IJN6thrust23THRUST_200600_302600_NS6detail15normal_iteratorINSC_10device_ptrIKsEEEESI_EEEEESK_NSA_INS5_IJNSC_16discard_iteratorINSC_11use_defaultEEESN_EEEEEPS7_SQ_SQ_NSC_11hip_rocprim7__merge17predicate_wrapperIssNSC_4lessIsEEEEEE10hipError_tPvRmT0_T1_T2_T3_T4_T5_mmT6_P12ihipStream_tbEUlT_E0_NS1_11comp_targetILNS1_3genE10ELNS1_11target_archE1201ELNS1_3gpuE5ELNS1_3repE0EEENS1_30default_config_static_selectorELNS0_4arch9wavefront6targetE0EEEvS11_.private_seg_size, 0
	.set _ZN7rocprim17ROCPRIM_400000_NS6detail17trampoline_kernelINS0_14default_configENS1_21merge_config_selectorINS0_5tupleIJssEEENS0_10empty_typeEEEZNS1_10merge_implIS3_NS0_12zip_iteratorINS5_IJN6thrust23THRUST_200600_302600_NS6detail15normal_iteratorINSC_10device_ptrIKsEEEESI_EEEEESK_NSA_INS5_IJNSC_16discard_iteratorINSC_11use_defaultEEESN_EEEEEPS7_SQ_SQ_NSC_11hip_rocprim7__merge17predicate_wrapperIssNSC_4lessIsEEEEEE10hipError_tPvRmT0_T1_T2_T3_T4_T5_mmT6_P12ihipStream_tbEUlT_E0_NS1_11comp_targetILNS1_3genE10ELNS1_11target_archE1201ELNS1_3gpuE5ELNS1_3repE0EEENS1_30default_config_static_selectorELNS0_4arch9wavefront6targetE0EEEvS11_.uses_vcc, 0
	.set _ZN7rocprim17ROCPRIM_400000_NS6detail17trampoline_kernelINS0_14default_configENS1_21merge_config_selectorINS0_5tupleIJssEEENS0_10empty_typeEEEZNS1_10merge_implIS3_NS0_12zip_iteratorINS5_IJN6thrust23THRUST_200600_302600_NS6detail15normal_iteratorINSC_10device_ptrIKsEEEESI_EEEEESK_NSA_INS5_IJNSC_16discard_iteratorINSC_11use_defaultEEESN_EEEEEPS7_SQ_SQ_NSC_11hip_rocprim7__merge17predicate_wrapperIssNSC_4lessIsEEEEEE10hipError_tPvRmT0_T1_T2_T3_T4_T5_mmT6_P12ihipStream_tbEUlT_E0_NS1_11comp_targetILNS1_3genE10ELNS1_11target_archE1201ELNS1_3gpuE5ELNS1_3repE0EEENS1_30default_config_static_selectorELNS0_4arch9wavefront6targetE0EEEvS11_.uses_flat_scratch, 0
	.set _ZN7rocprim17ROCPRIM_400000_NS6detail17trampoline_kernelINS0_14default_configENS1_21merge_config_selectorINS0_5tupleIJssEEENS0_10empty_typeEEEZNS1_10merge_implIS3_NS0_12zip_iteratorINS5_IJN6thrust23THRUST_200600_302600_NS6detail15normal_iteratorINSC_10device_ptrIKsEEEESI_EEEEESK_NSA_INS5_IJNSC_16discard_iteratorINSC_11use_defaultEEESN_EEEEEPS7_SQ_SQ_NSC_11hip_rocprim7__merge17predicate_wrapperIssNSC_4lessIsEEEEEE10hipError_tPvRmT0_T1_T2_T3_T4_T5_mmT6_P12ihipStream_tbEUlT_E0_NS1_11comp_targetILNS1_3genE10ELNS1_11target_archE1201ELNS1_3gpuE5ELNS1_3repE0EEENS1_30default_config_static_selectorELNS0_4arch9wavefront6targetE0EEEvS11_.has_dyn_sized_stack, 0
	.set _ZN7rocprim17ROCPRIM_400000_NS6detail17trampoline_kernelINS0_14default_configENS1_21merge_config_selectorINS0_5tupleIJssEEENS0_10empty_typeEEEZNS1_10merge_implIS3_NS0_12zip_iteratorINS5_IJN6thrust23THRUST_200600_302600_NS6detail15normal_iteratorINSC_10device_ptrIKsEEEESI_EEEEESK_NSA_INS5_IJNSC_16discard_iteratorINSC_11use_defaultEEESN_EEEEEPS7_SQ_SQ_NSC_11hip_rocprim7__merge17predicate_wrapperIssNSC_4lessIsEEEEEE10hipError_tPvRmT0_T1_T2_T3_T4_T5_mmT6_P12ihipStream_tbEUlT_E0_NS1_11comp_targetILNS1_3genE10ELNS1_11target_archE1201ELNS1_3gpuE5ELNS1_3repE0EEENS1_30default_config_static_selectorELNS0_4arch9wavefront6targetE0EEEvS11_.has_recursion, 0
	.set _ZN7rocprim17ROCPRIM_400000_NS6detail17trampoline_kernelINS0_14default_configENS1_21merge_config_selectorINS0_5tupleIJssEEENS0_10empty_typeEEEZNS1_10merge_implIS3_NS0_12zip_iteratorINS5_IJN6thrust23THRUST_200600_302600_NS6detail15normal_iteratorINSC_10device_ptrIKsEEEESI_EEEEESK_NSA_INS5_IJNSC_16discard_iteratorINSC_11use_defaultEEESN_EEEEEPS7_SQ_SQ_NSC_11hip_rocprim7__merge17predicate_wrapperIssNSC_4lessIsEEEEEE10hipError_tPvRmT0_T1_T2_T3_T4_T5_mmT6_P12ihipStream_tbEUlT_E0_NS1_11comp_targetILNS1_3genE10ELNS1_11target_archE1201ELNS1_3gpuE5ELNS1_3repE0EEENS1_30default_config_static_selectorELNS0_4arch9wavefront6targetE0EEEvS11_.has_indirect_call, 0
	.section	.AMDGPU.csdata,"",@progbits
; Kernel info:
; codeLenInByte = 0
; TotalNumSgprs: 0
; NumVgprs: 0
; ScratchSize: 0
; MemoryBound: 0
; FloatMode: 240
; IeeeMode: 1
; LDSByteSize: 0 bytes/workgroup (compile time only)
; SGPRBlocks: 0
; VGPRBlocks: 0
; NumSGPRsForWavesPerEU: 1
; NumVGPRsForWavesPerEU: 1
; Occupancy: 16
; WaveLimiterHint : 0
; COMPUTE_PGM_RSRC2:SCRATCH_EN: 0
; COMPUTE_PGM_RSRC2:USER_SGPR: 6
; COMPUTE_PGM_RSRC2:TRAP_HANDLER: 0
; COMPUTE_PGM_RSRC2:TGID_X_EN: 1
; COMPUTE_PGM_RSRC2:TGID_Y_EN: 0
; COMPUTE_PGM_RSRC2:TGID_Z_EN: 0
; COMPUTE_PGM_RSRC2:TIDIG_COMP_CNT: 0
	.section	.text._ZN7rocprim17ROCPRIM_400000_NS6detail17trampoline_kernelINS0_14default_configENS1_21merge_config_selectorINS0_5tupleIJssEEENS0_10empty_typeEEEZNS1_10merge_implIS3_NS0_12zip_iteratorINS5_IJN6thrust23THRUST_200600_302600_NS6detail15normal_iteratorINSC_10device_ptrIKsEEEESI_EEEEESK_NSA_INS5_IJNSC_16discard_iteratorINSC_11use_defaultEEESN_EEEEEPS7_SQ_SQ_NSC_11hip_rocprim7__merge17predicate_wrapperIssNSC_4lessIsEEEEEE10hipError_tPvRmT0_T1_T2_T3_T4_T5_mmT6_P12ihipStream_tbEUlT_E0_NS1_11comp_targetILNS1_3genE10ELNS1_11target_archE1200ELNS1_3gpuE4ELNS1_3repE0EEENS1_30default_config_static_selectorELNS0_4arch9wavefront6targetE0EEEvS11_,"axG",@progbits,_ZN7rocprim17ROCPRIM_400000_NS6detail17trampoline_kernelINS0_14default_configENS1_21merge_config_selectorINS0_5tupleIJssEEENS0_10empty_typeEEEZNS1_10merge_implIS3_NS0_12zip_iteratorINS5_IJN6thrust23THRUST_200600_302600_NS6detail15normal_iteratorINSC_10device_ptrIKsEEEESI_EEEEESK_NSA_INS5_IJNSC_16discard_iteratorINSC_11use_defaultEEESN_EEEEEPS7_SQ_SQ_NSC_11hip_rocprim7__merge17predicate_wrapperIssNSC_4lessIsEEEEEE10hipError_tPvRmT0_T1_T2_T3_T4_T5_mmT6_P12ihipStream_tbEUlT_E0_NS1_11comp_targetILNS1_3genE10ELNS1_11target_archE1200ELNS1_3gpuE4ELNS1_3repE0EEENS1_30default_config_static_selectorELNS0_4arch9wavefront6targetE0EEEvS11_,comdat
	.protected	_ZN7rocprim17ROCPRIM_400000_NS6detail17trampoline_kernelINS0_14default_configENS1_21merge_config_selectorINS0_5tupleIJssEEENS0_10empty_typeEEEZNS1_10merge_implIS3_NS0_12zip_iteratorINS5_IJN6thrust23THRUST_200600_302600_NS6detail15normal_iteratorINSC_10device_ptrIKsEEEESI_EEEEESK_NSA_INS5_IJNSC_16discard_iteratorINSC_11use_defaultEEESN_EEEEEPS7_SQ_SQ_NSC_11hip_rocprim7__merge17predicate_wrapperIssNSC_4lessIsEEEEEE10hipError_tPvRmT0_T1_T2_T3_T4_T5_mmT6_P12ihipStream_tbEUlT_E0_NS1_11comp_targetILNS1_3genE10ELNS1_11target_archE1200ELNS1_3gpuE4ELNS1_3repE0EEENS1_30default_config_static_selectorELNS0_4arch9wavefront6targetE0EEEvS11_ ; -- Begin function _ZN7rocprim17ROCPRIM_400000_NS6detail17trampoline_kernelINS0_14default_configENS1_21merge_config_selectorINS0_5tupleIJssEEENS0_10empty_typeEEEZNS1_10merge_implIS3_NS0_12zip_iteratorINS5_IJN6thrust23THRUST_200600_302600_NS6detail15normal_iteratorINSC_10device_ptrIKsEEEESI_EEEEESK_NSA_INS5_IJNSC_16discard_iteratorINSC_11use_defaultEEESN_EEEEEPS7_SQ_SQ_NSC_11hip_rocprim7__merge17predicate_wrapperIssNSC_4lessIsEEEEEE10hipError_tPvRmT0_T1_T2_T3_T4_T5_mmT6_P12ihipStream_tbEUlT_E0_NS1_11comp_targetILNS1_3genE10ELNS1_11target_archE1200ELNS1_3gpuE4ELNS1_3repE0EEENS1_30default_config_static_selectorELNS0_4arch9wavefront6targetE0EEEvS11_
	.globl	_ZN7rocprim17ROCPRIM_400000_NS6detail17trampoline_kernelINS0_14default_configENS1_21merge_config_selectorINS0_5tupleIJssEEENS0_10empty_typeEEEZNS1_10merge_implIS3_NS0_12zip_iteratorINS5_IJN6thrust23THRUST_200600_302600_NS6detail15normal_iteratorINSC_10device_ptrIKsEEEESI_EEEEESK_NSA_INS5_IJNSC_16discard_iteratorINSC_11use_defaultEEESN_EEEEEPS7_SQ_SQ_NSC_11hip_rocprim7__merge17predicate_wrapperIssNSC_4lessIsEEEEEE10hipError_tPvRmT0_T1_T2_T3_T4_T5_mmT6_P12ihipStream_tbEUlT_E0_NS1_11comp_targetILNS1_3genE10ELNS1_11target_archE1200ELNS1_3gpuE4ELNS1_3repE0EEENS1_30default_config_static_selectorELNS0_4arch9wavefront6targetE0EEEvS11_
	.p2align	8
	.type	_ZN7rocprim17ROCPRIM_400000_NS6detail17trampoline_kernelINS0_14default_configENS1_21merge_config_selectorINS0_5tupleIJssEEENS0_10empty_typeEEEZNS1_10merge_implIS3_NS0_12zip_iteratorINS5_IJN6thrust23THRUST_200600_302600_NS6detail15normal_iteratorINSC_10device_ptrIKsEEEESI_EEEEESK_NSA_INS5_IJNSC_16discard_iteratorINSC_11use_defaultEEESN_EEEEEPS7_SQ_SQ_NSC_11hip_rocprim7__merge17predicate_wrapperIssNSC_4lessIsEEEEEE10hipError_tPvRmT0_T1_T2_T3_T4_T5_mmT6_P12ihipStream_tbEUlT_E0_NS1_11comp_targetILNS1_3genE10ELNS1_11target_archE1200ELNS1_3gpuE4ELNS1_3repE0EEENS1_30default_config_static_selectorELNS0_4arch9wavefront6targetE0EEEvS11_,@function
_ZN7rocprim17ROCPRIM_400000_NS6detail17trampoline_kernelINS0_14default_configENS1_21merge_config_selectorINS0_5tupleIJssEEENS0_10empty_typeEEEZNS1_10merge_implIS3_NS0_12zip_iteratorINS5_IJN6thrust23THRUST_200600_302600_NS6detail15normal_iteratorINSC_10device_ptrIKsEEEESI_EEEEESK_NSA_INS5_IJNSC_16discard_iteratorINSC_11use_defaultEEESN_EEEEEPS7_SQ_SQ_NSC_11hip_rocprim7__merge17predicate_wrapperIssNSC_4lessIsEEEEEE10hipError_tPvRmT0_T1_T2_T3_T4_T5_mmT6_P12ihipStream_tbEUlT_E0_NS1_11comp_targetILNS1_3genE10ELNS1_11target_archE1200ELNS1_3gpuE4ELNS1_3repE0EEENS1_30default_config_static_selectorELNS0_4arch9wavefront6targetE0EEEvS11_: ; @_ZN7rocprim17ROCPRIM_400000_NS6detail17trampoline_kernelINS0_14default_configENS1_21merge_config_selectorINS0_5tupleIJssEEENS0_10empty_typeEEEZNS1_10merge_implIS3_NS0_12zip_iteratorINS5_IJN6thrust23THRUST_200600_302600_NS6detail15normal_iteratorINSC_10device_ptrIKsEEEESI_EEEEESK_NSA_INS5_IJNSC_16discard_iteratorINSC_11use_defaultEEESN_EEEEEPS7_SQ_SQ_NSC_11hip_rocprim7__merge17predicate_wrapperIssNSC_4lessIsEEEEEE10hipError_tPvRmT0_T1_T2_T3_T4_T5_mmT6_P12ihipStream_tbEUlT_E0_NS1_11comp_targetILNS1_3genE10ELNS1_11target_archE1200ELNS1_3gpuE4ELNS1_3repE0EEENS1_30default_config_static_selectorELNS0_4arch9wavefront6targetE0EEEvS11_
; %bb.0:
	.section	.rodata,"a",@progbits
	.p2align	6, 0x0
	.amdhsa_kernel _ZN7rocprim17ROCPRIM_400000_NS6detail17trampoline_kernelINS0_14default_configENS1_21merge_config_selectorINS0_5tupleIJssEEENS0_10empty_typeEEEZNS1_10merge_implIS3_NS0_12zip_iteratorINS5_IJN6thrust23THRUST_200600_302600_NS6detail15normal_iteratorINSC_10device_ptrIKsEEEESI_EEEEESK_NSA_INS5_IJNSC_16discard_iteratorINSC_11use_defaultEEESN_EEEEEPS7_SQ_SQ_NSC_11hip_rocprim7__merge17predicate_wrapperIssNSC_4lessIsEEEEEE10hipError_tPvRmT0_T1_T2_T3_T4_T5_mmT6_P12ihipStream_tbEUlT_E0_NS1_11comp_targetILNS1_3genE10ELNS1_11target_archE1200ELNS1_3gpuE4ELNS1_3repE0EEENS1_30default_config_static_selectorELNS0_4arch9wavefront6targetE0EEEvS11_
		.amdhsa_group_segment_fixed_size 0
		.amdhsa_private_segment_fixed_size 0
		.amdhsa_kernarg_size 128
		.amdhsa_user_sgpr_count 6
		.amdhsa_user_sgpr_private_segment_buffer 1
		.amdhsa_user_sgpr_dispatch_ptr 0
		.amdhsa_user_sgpr_queue_ptr 0
		.amdhsa_user_sgpr_kernarg_segment_ptr 1
		.amdhsa_user_sgpr_dispatch_id 0
		.amdhsa_user_sgpr_flat_scratch_init 0
		.amdhsa_user_sgpr_private_segment_size 0
		.amdhsa_wavefront_size32 1
		.amdhsa_uses_dynamic_stack 0
		.amdhsa_system_sgpr_private_segment_wavefront_offset 0
		.amdhsa_system_sgpr_workgroup_id_x 1
		.amdhsa_system_sgpr_workgroup_id_y 0
		.amdhsa_system_sgpr_workgroup_id_z 0
		.amdhsa_system_sgpr_workgroup_info 0
		.amdhsa_system_vgpr_workitem_id 0
		.amdhsa_next_free_vgpr 1
		.amdhsa_next_free_sgpr 1
		.amdhsa_reserve_vcc 0
		.amdhsa_reserve_flat_scratch 0
		.amdhsa_float_round_mode_32 0
		.amdhsa_float_round_mode_16_64 0
		.amdhsa_float_denorm_mode_32 3
		.amdhsa_float_denorm_mode_16_64 3
		.amdhsa_dx10_clamp 1
		.amdhsa_ieee_mode 1
		.amdhsa_fp16_overflow 0
		.amdhsa_workgroup_processor_mode 1
		.amdhsa_memory_ordered 1
		.amdhsa_forward_progress 1
		.amdhsa_shared_vgpr_count 0
		.amdhsa_exception_fp_ieee_invalid_op 0
		.amdhsa_exception_fp_denorm_src 0
		.amdhsa_exception_fp_ieee_div_zero 0
		.amdhsa_exception_fp_ieee_overflow 0
		.amdhsa_exception_fp_ieee_underflow 0
		.amdhsa_exception_fp_ieee_inexact 0
		.amdhsa_exception_int_div_zero 0
	.end_amdhsa_kernel
	.section	.text._ZN7rocprim17ROCPRIM_400000_NS6detail17trampoline_kernelINS0_14default_configENS1_21merge_config_selectorINS0_5tupleIJssEEENS0_10empty_typeEEEZNS1_10merge_implIS3_NS0_12zip_iteratorINS5_IJN6thrust23THRUST_200600_302600_NS6detail15normal_iteratorINSC_10device_ptrIKsEEEESI_EEEEESK_NSA_INS5_IJNSC_16discard_iteratorINSC_11use_defaultEEESN_EEEEEPS7_SQ_SQ_NSC_11hip_rocprim7__merge17predicate_wrapperIssNSC_4lessIsEEEEEE10hipError_tPvRmT0_T1_T2_T3_T4_T5_mmT6_P12ihipStream_tbEUlT_E0_NS1_11comp_targetILNS1_3genE10ELNS1_11target_archE1200ELNS1_3gpuE4ELNS1_3repE0EEENS1_30default_config_static_selectorELNS0_4arch9wavefront6targetE0EEEvS11_,"axG",@progbits,_ZN7rocprim17ROCPRIM_400000_NS6detail17trampoline_kernelINS0_14default_configENS1_21merge_config_selectorINS0_5tupleIJssEEENS0_10empty_typeEEEZNS1_10merge_implIS3_NS0_12zip_iteratorINS5_IJN6thrust23THRUST_200600_302600_NS6detail15normal_iteratorINSC_10device_ptrIKsEEEESI_EEEEESK_NSA_INS5_IJNSC_16discard_iteratorINSC_11use_defaultEEESN_EEEEEPS7_SQ_SQ_NSC_11hip_rocprim7__merge17predicate_wrapperIssNSC_4lessIsEEEEEE10hipError_tPvRmT0_T1_T2_T3_T4_T5_mmT6_P12ihipStream_tbEUlT_E0_NS1_11comp_targetILNS1_3genE10ELNS1_11target_archE1200ELNS1_3gpuE4ELNS1_3repE0EEENS1_30default_config_static_selectorELNS0_4arch9wavefront6targetE0EEEvS11_,comdat
.Lfunc_end620:
	.size	_ZN7rocprim17ROCPRIM_400000_NS6detail17trampoline_kernelINS0_14default_configENS1_21merge_config_selectorINS0_5tupleIJssEEENS0_10empty_typeEEEZNS1_10merge_implIS3_NS0_12zip_iteratorINS5_IJN6thrust23THRUST_200600_302600_NS6detail15normal_iteratorINSC_10device_ptrIKsEEEESI_EEEEESK_NSA_INS5_IJNSC_16discard_iteratorINSC_11use_defaultEEESN_EEEEEPS7_SQ_SQ_NSC_11hip_rocprim7__merge17predicate_wrapperIssNSC_4lessIsEEEEEE10hipError_tPvRmT0_T1_T2_T3_T4_T5_mmT6_P12ihipStream_tbEUlT_E0_NS1_11comp_targetILNS1_3genE10ELNS1_11target_archE1200ELNS1_3gpuE4ELNS1_3repE0EEENS1_30default_config_static_selectorELNS0_4arch9wavefront6targetE0EEEvS11_, .Lfunc_end620-_ZN7rocprim17ROCPRIM_400000_NS6detail17trampoline_kernelINS0_14default_configENS1_21merge_config_selectorINS0_5tupleIJssEEENS0_10empty_typeEEEZNS1_10merge_implIS3_NS0_12zip_iteratorINS5_IJN6thrust23THRUST_200600_302600_NS6detail15normal_iteratorINSC_10device_ptrIKsEEEESI_EEEEESK_NSA_INS5_IJNSC_16discard_iteratorINSC_11use_defaultEEESN_EEEEEPS7_SQ_SQ_NSC_11hip_rocprim7__merge17predicate_wrapperIssNSC_4lessIsEEEEEE10hipError_tPvRmT0_T1_T2_T3_T4_T5_mmT6_P12ihipStream_tbEUlT_E0_NS1_11comp_targetILNS1_3genE10ELNS1_11target_archE1200ELNS1_3gpuE4ELNS1_3repE0EEENS1_30default_config_static_selectorELNS0_4arch9wavefront6targetE0EEEvS11_
                                        ; -- End function
	.set _ZN7rocprim17ROCPRIM_400000_NS6detail17trampoline_kernelINS0_14default_configENS1_21merge_config_selectorINS0_5tupleIJssEEENS0_10empty_typeEEEZNS1_10merge_implIS3_NS0_12zip_iteratorINS5_IJN6thrust23THRUST_200600_302600_NS6detail15normal_iteratorINSC_10device_ptrIKsEEEESI_EEEEESK_NSA_INS5_IJNSC_16discard_iteratorINSC_11use_defaultEEESN_EEEEEPS7_SQ_SQ_NSC_11hip_rocprim7__merge17predicate_wrapperIssNSC_4lessIsEEEEEE10hipError_tPvRmT0_T1_T2_T3_T4_T5_mmT6_P12ihipStream_tbEUlT_E0_NS1_11comp_targetILNS1_3genE10ELNS1_11target_archE1200ELNS1_3gpuE4ELNS1_3repE0EEENS1_30default_config_static_selectorELNS0_4arch9wavefront6targetE0EEEvS11_.num_vgpr, 0
	.set _ZN7rocprim17ROCPRIM_400000_NS6detail17trampoline_kernelINS0_14default_configENS1_21merge_config_selectorINS0_5tupleIJssEEENS0_10empty_typeEEEZNS1_10merge_implIS3_NS0_12zip_iteratorINS5_IJN6thrust23THRUST_200600_302600_NS6detail15normal_iteratorINSC_10device_ptrIKsEEEESI_EEEEESK_NSA_INS5_IJNSC_16discard_iteratorINSC_11use_defaultEEESN_EEEEEPS7_SQ_SQ_NSC_11hip_rocprim7__merge17predicate_wrapperIssNSC_4lessIsEEEEEE10hipError_tPvRmT0_T1_T2_T3_T4_T5_mmT6_P12ihipStream_tbEUlT_E0_NS1_11comp_targetILNS1_3genE10ELNS1_11target_archE1200ELNS1_3gpuE4ELNS1_3repE0EEENS1_30default_config_static_selectorELNS0_4arch9wavefront6targetE0EEEvS11_.num_agpr, 0
	.set _ZN7rocprim17ROCPRIM_400000_NS6detail17trampoline_kernelINS0_14default_configENS1_21merge_config_selectorINS0_5tupleIJssEEENS0_10empty_typeEEEZNS1_10merge_implIS3_NS0_12zip_iteratorINS5_IJN6thrust23THRUST_200600_302600_NS6detail15normal_iteratorINSC_10device_ptrIKsEEEESI_EEEEESK_NSA_INS5_IJNSC_16discard_iteratorINSC_11use_defaultEEESN_EEEEEPS7_SQ_SQ_NSC_11hip_rocprim7__merge17predicate_wrapperIssNSC_4lessIsEEEEEE10hipError_tPvRmT0_T1_T2_T3_T4_T5_mmT6_P12ihipStream_tbEUlT_E0_NS1_11comp_targetILNS1_3genE10ELNS1_11target_archE1200ELNS1_3gpuE4ELNS1_3repE0EEENS1_30default_config_static_selectorELNS0_4arch9wavefront6targetE0EEEvS11_.numbered_sgpr, 0
	.set _ZN7rocprim17ROCPRIM_400000_NS6detail17trampoline_kernelINS0_14default_configENS1_21merge_config_selectorINS0_5tupleIJssEEENS0_10empty_typeEEEZNS1_10merge_implIS3_NS0_12zip_iteratorINS5_IJN6thrust23THRUST_200600_302600_NS6detail15normal_iteratorINSC_10device_ptrIKsEEEESI_EEEEESK_NSA_INS5_IJNSC_16discard_iteratorINSC_11use_defaultEEESN_EEEEEPS7_SQ_SQ_NSC_11hip_rocprim7__merge17predicate_wrapperIssNSC_4lessIsEEEEEE10hipError_tPvRmT0_T1_T2_T3_T4_T5_mmT6_P12ihipStream_tbEUlT_E0_NS1_11comp_targetILNS1_3genE10ELNS1_11target_archE1200ELNS1_3gpuE4ELNS1_3repE0EEENS1_30default_config_static_selectorELNS0_4arch9wavefront6targetE0EEEvS11_.num_named_barrier, 0
	.set _ZN7rocprim17ROCPRIM_400000_NS6detail17trampoline_kernelINS0_14default_configENS1_21merge_config_selectorINS0_5tupleIJssEEENS0_10empty_typeEEEZNS1_10merge_implIS3_NS0_12zip_iteratorINS5_IJN6thrust23THRUST_200600_302600_NS6detail15normal_iteratorINSC_10device_ptrIKsEEEESI_EEEEESK_NSA_INS5_IJNSC_16discard_iteratorINSC_11use_defaultEEESN_EEEEEPS7_SQ_SQ_NSC_11hip_rocprim7__merge17predicate_wrapperIssNSC_4lessIsEEEEEE10hipError_tPvRmT0_T1_T2_T3_T4_T5_mmT6_P12ihipStream_tbEUlT_E0_NS1_11comp_targetILNS1_3genE10ELNS1_11target_archE1200ELNS1_3gpuE4ELNS1_3repE0EEENS1_30default_config_static_selectorELNS0_4arch9wavefront6targetE0EEEvS11_.private_seg_size, 0
	.set _ZN7rocprim17ROCPRIM_400000_NS6detail17trampoline_kernelINS0_14default_configENS1_21merge_config_selectorINS0_5tupleIJssEEENS0_10empty_typeEEEZNS1_10merge_implIS3_NS0_12zip_iteratorINS5_IJN6thrust23THRUST_200600_302600_NS6detail15normal_iteratorINSC_10device_ptrIKsEEEESI_EEEEESK_NSA_INS5_IJNSC_16discard_iteratorINSC_11use_defaultEEESN_EEEEEPS7_SQ_SQ_NSC_11hip_rocprim7__merge17predicate_wrapperIssNSC_4lessIsEEEEEE10hipError_tPvRmT0_T1_T2_T3_T4_T5_mmT6_P12ihipStream_tbEUlT_E0_NS1_11comp_targetILNS1_3genE10ELNS1_11target_archE1200ELNS1_3gpuE4ELNS1_3repE0EEENS1_30default_config_static_selectorELNS0_4arch9wavefront6targetE0EEEvS11_.uses_vcc, 0
	.set _ZN7rocprim17ROCPRIM_400000_NS6detail17trampoline_kernelINS0_14default_configENS1_21merge_config_selectorINS0_5tupleIJssEEENS0_10empty_typeEEEZNS1_10merge_implIS3_NS0_12zip_iteratorINS5_IJN6thrust23THRUST_200600_302600_NS6detail15normal_iteratorINSC_10device_ptrIKsEEEESI_EEEEESK_NSA_INS5_IJNSC_16discard_iteratorINSC_11use_defaultEEESN_EEEEEPS7_SQ_SQ_NSC_11hip_rocprim7__merge17predicate_wrapperIssNSC_4lessIsEEEEEE10hipError_tPvRmT0_T1_T2_T3_T4_T5_mmT6_P12ihipStream_tbEUlT_E0_NS1_11comp_targetILNS1_3genE10ELNS1_11target_archE1200ELNS1_3gpuE4ELNS1_3repE0EEENS1_30default_config_static_selectorELNS0_4arch9wavefront6targetE0EEEvS11_.uses_flat_scratch, 0
	.set _ZN7rocprim17ROCPRIM_400000_NS6detail17trampoline_kernelINS0_14default_configENS1_21merge_config_selectorINS0_5tupleIJssEEENS0_10empty_typeEEEZNS1_10merge_implIS3_NS0_12zip_iteratorINS5_IJN6thrust23THRUST_200600_302600_NS6detail15normal_iteratorINSC_10device_ptrIKsEEEESI_EEEEESK_NSA_INS5_IJNSC_16discard_iteratorINSC_11use_defaultEEESN_EEEEEPS7_SQ_SQ_NSC_11hip_rocprim7__merge17predicate_wrapperIssNSC_4lessIsEEEEEE10hipError_tPvRmT0_T1_T2_T3_T4_T5_mmT6_P12ihipStream_tbEUlT_E0_NS1_11comp_targetILNS1_3genE10ELNS1_11target_archE1200ELNS1_3gpuE4ELNS1_3repE0EEENS1_30default_config_static_selectorELNS0_4arch9wavefront6targetE0EEEvS11_.has_dyn_sized_stack, 0
	.set _ZN7rocprim17ROCPRIM_400000_NS6detail17trampoline_kernelINS0_14default_configENS1_21merge_config_selectorINS0_5tupleIJssEEENS0_10empty_typeEEEZNS1_10merge_implIS3_NS0_12zip_iteratorINS5_IJN6thrust23THRUST_200600_302600_NS6detail15normal_iteratorINSC_10device_ptrIKsEEEESI_EEEEESK_NSA_INS5_IJNSC_16discard_iteratorINSC_11use_defaultEEESN_EEEEEPS7_SQ_SQ_NSC_11hip_rocprim7__merge17predicate_wrapperIssNSC_4lessIsEEEEEE10hipError_tPvRmT0_T1_T2_T3_T4_T5_mmT6_P12ihipStream_tbEUlT_E0_NS1_11comp_targetILNS1_3genE10ELNS1_11target_archE1200ELNS1_3gpuE4ELNS1_3repE0EEENS1_30default_config_static_selectorELNS0_4arch9wavefront6targetE0EEEvS11_.has_recursion, 0
	.set _ZN7rocprim17ROCPRIM_400000_NS6detail17trampoline_kernelINS0_14default_configENS1_21merge_config_selectorINS0_5tupleIJssEEENS0_10empty_typeEEEZNS1_10merge_implIS3_NS0_12zip_iteratorINS5_IJN6thrust23THRUST_200600_302600_NS6detail15normal_iteratorINSC_10device_ptrIKsEEEESI_EEEEESK_NSA_INS5_IJNSC_16discard_iteratorINSC_11use_defaultEEESN_EEEEEPS7_SQ_SQ_NSC_11hip_rocprim7__merge17predicate_wrapperIssNSC_4lessIsEEEEEE10hipError_tPvRmT0_T1_T2_T3_T4_T5_mmT6_P12ihipStream_tbEUlT_E0_NS1_11comp_targetILNS1_3genE10ELNS1_11target_archE1200ELNS1_3gpuE4ELNS1_3repE0EEENS1_30default_config_static_selectorELNS0_4arch9wavefront6targetE0EEEvS11_.has_indirect_call, 0
	.section	.AMDGPU.csdata,"",@progbits
; Kernel info:
; codeLenInByte = 0
; TotalNumSgprs: 0
; NumVgprs: 0
; ScratchSize: 0
; MemoryBound: 0
; FloatMode: 240
; IeeeMode: 1
; LDSByteSize: 0 bytes/workgroup (compile time only)
; SGPRBlocks: 0
; VGPRBlocks: 0
; NumSGPRsForWavesPerEU: 1
; NumVGPRsForWavesPerEU: 1
; Occupancy: 16
; WaveLimiterHint : 0
; COMPUTE_PGM_RSRC2:SCRATCH_EN: 0
; COMPUTE_PGM_RSRC2:USER_SGPR: 6
; COMPUTE_PGM_RSRC2:TRAP_HANDLER: 0
; COMPUTE_PGM_RSRC2:TGID_X_EN: 1
; COMPUTE_PGM_RSRC2:TGID_Y_EN: 0
; COMPUTE_PGM_RSRC2:TGID_Z_EN: 0
; COMPUTE_PGM_RSRC2:TIDIG_COMP_CNT: 0
	.section	.text._ZN7rocprim17ROCPRIM_400000_NS6detail17trampoline_kernelINS0_14default_configENS1_21merge_config_selectorINS0_5tupleIJssEEENS0_10empty_typeEEEZNS1_10merge_implIS3_NS0_12zip_iteratorINS5_IJN6thrust23THRUST_200600_302600_NS6detail15normal_iteratorINSC_10device_ptrIKsEEEESI_EEEEESK_NSA_INS5_IJNSC_16discard_iteratorINSC_11use_defaultEEESN_EEEEEPS7_SQ_SQ_NSC_11hip_rocprim7__merge17predicate_wrapperIssNSC_4lessIsEEEEEE10hipError_tPvRmT0_T1_T2_T3_T4_T5_mmT6_P12ihipStream_tbEUlT_E0_NS1_11comp_targetILNS1_3genE9ELNS1_11target_archE1100ELNS1_3gpuE3ELNS1_3repE0EEENS1_30default_config_static_selectorELNS0_4arch9wavefront6targetE0EEEvS11_,"axG",@progbits,_ZN7rocprim17ROCPRIM_400000_NS6detail17trampoline_kernelINS0_14default_configENS1_21merge_config_selectorINS0_5tupleIJssEEENS0_10empty_typeEEEZNS1_10merge_implIS3_NS0_12zip_iteratorINS5_IJN6thrust23THRUST_200600_302600_NS6detail15normal_iteratorINSC_10device_ptrIKsEEEESI_EEEEESK_NSA_INS5_IJNSC_16discard_iteratorINSC_11use_defaultEEESN_EEEEEPS7_SQ_SQ_NSC_11hip_rocprim7__merge17predicate_wrapperIssNSC_4lessIsEEEEEE10hipError_tPvRmT0_T1_T2_T3_T4_T5_mmT6_P12ihipStream_tbEUlT_E0_NS1_11comp_targetILNS1_3genE9ELNS1_11target_archE1100ELNS1_3gpuE3ELNS1_3repE0EEENS1_30default_config_static_selectorELNS0_4arch9wavefront6targetE0EEEvS11_,comdat
	.protected	_ZN7rocprim17ROCPRIM_400000_NS6detail17trampoline_kernelINS0_14default_configENS1_21merge_config_selectorINS0_5tupleIJssEEENS0_10empty_typeEEEZNS1_10merge_implIS3_NS0_12zip_iteratorINS5_IJN6thrust23THRUST_200600_302600_NS6detail15normal_iteratorINSC_10device_ptrIKsEEEESI_EEEEESK_NSA_INS5_IJNSC_16discard_iteratorINSC_11use_defaultEEESN_EEEEEPS7_SQ_SQ_NSC_11hip_rocprim7__merge17predicate_wrapperIssNSC_4lessIsEEEEEE10hipError_tPvRmT0_T1_T2_T3_T4_T5_mmT6_P12ihipStream_tbEUlT_E0_NS1_11comp_targetILNS1_3genE9ELNS1_11target_archE1100ELNS1_3gpuE3ELNS1_3repE0EEENS1_30default_config_static_selectorELNS0_4arch9wavefront6targetE0EEEvS11_ ; -- Begin function _ZN7rocprim17ROCPRIM_400000_NS6detail17trampoline_kernelINS0_14default_configENS1_21merge_config_selectorINS0_5tupleIJssEEENS0_10empty_typeEEEZNS1_10merge_implIS3_NS0_12zip_iteratorINS5_IJN6thrust23THRUST_200600_302600_NS6detail15normal_iteratorINSC_10device_ptrIKsEEEESI_EEEEESK_NSA_INS5_IJNSC_16discard_iteratorINSC_11use_defaultEEESN_EEEEEPS7_SQ_SQ_NSC_11hip_rocprim7__merge17predicate_wrapperIssNSC_4lessIsEEEEEE10hipError_tPvRmT0_T1_T2_T3_T4_T5_mmT6_P12ihipStream_tbEUlT_E0_NS1_11comp_targetILNS1_3genE9ELNS1_11target_archE1100ELNS1_3gpuE3ELNS1_3repE0EEENS1_30default_config_static_selectorELNS0_4arch9wavefront6targetE0EEEvS11_
	.globl	_ZN7rocprim17ROCPRIM_400000_NS6detail17trampoline_kernelINS0_14default_configENS1_21merge_config_selectorINS0_5tupleIJssEEENS0_10empty_typeEEEZNS1_10merge_implIS3_NS0_12zip_iteratorINS5_IJN6thrust23THRUST_200600_302600_NS6detail15normal_iteratorINSC_10device_ptrIKsEEEESI_EEEEESK_NSA_INS5_IJNSC_16discard_iteratorINSC_11use_defaultEEESN_EEEEEPS7_SQ_SQ_NSC_11hip_rocprim7__merge17predicate_wrapperIssNSC_4lessIsEEEEEE10hipError_tPvRmT0_T1_T2_T3_T4_T5_mmT6_P12ihipStream_tbEUlT_E0_NS1_11comp_targetILNS1_3genE9ELNS1_11target_archE1100ELNS1_3gpuE3ELNS1_3repE0EEENS1_30default_config_static_selectorELNS0_4arch9wavefront6targetE0EEEvS11_
	.p2align	8
	.type	_ZN7rocprim17ROCPRIM_400000_NS6detail17trampoline_kernelINS0_14default_configENS1_21merge_config_selectorINS0_5tupleIJssEEENS0_10empty_typeEEEZNS1_10merge_implIS3_NS0_12zip_iteratorINS5_IJN6thrust23THRUST_200600_302600_NS6detail15normal_iteratorINSC_10device_ptrIKsEEEESI_EEEEESK_NSA_INS5_IJNSC_16discard_iteratorINSC_11use_defaultEEESN_EEEEEPS7_SQ_SQ_NSC_11hip_rocprim7__merge17predicate_wrapperIssNSC_4lessIsEEEEEE10hipError_tPvRmT0_T1_T2_T3_T4_T5_mmT6_P12ihipStream_tbEUlT_E0_NS1_11comp_targetILNS1_3genE9ELNS1_11target_archE1100ELNS1_3gpuE3ELNS1_3repE0EEENS1_30default_config_static_selectorELNS0_4arch9wavefront6targetE0EEEvS11_,@function
_ZN7rocprim17ROCPRIM_400000_NS6detail17trampoline_kernelINS0_14default_configENS1_21merge_config_selectorINS0_5tupleIJssEEENS0_10empty_typeEEEZNS1_10merge_implIS3_NS0_12zip_iteratorINS5_IJN6thrust23THRUST_200600_302600_NS6detail15normal_iteratorINSC_10device_ptrIKsEEEESI_EEEEESK_NSA_INS5_IJNSC_16discard_iteratorINSC_11use_defaultEEESN_EEEEEPS7_SQ_SQ_NSC_11hip_rocprim7__merge17predicate_wrapperIssNSC_4lessIsEEEEEE10hipError_tPvRmT0_T1_T2_T3_T4_T5_mmT6_P12ihipStream_tbEUlT_E0_NS1_11comp_targetILNS1_3genE9ELNS1_11target_archE1100ELNS1_3gpuE3ELNS1_3repE0EEENS1_30default_config_static_selectorELNS0_4arch9wavefront6targetE0EEEvS11_: ; @_ZN7rocprim17ROCPRIM_400000_NS6detail17trampoline_kernelINS0_14default_configENS1_21merge_config_selectorINS0_5tupleIJssEEENS0_10empty_typeEEEZNS1_10merge_implIS3_NS0_12zip_iteratorINS5_IJN6thrust23THRUST_200600_302600_NS6detail15normal_iteratorINSC_10device_ptrIKsEEEESI_EEEEESK_NSA_INS5_IJNSC_16discard_iteratorINSC_11use_defaultEEESN_EEEEEPS7_SQ_SQ_NSC_11hip_rocprim7__merge17predicate_wrapperIssNSC_4lessIsEEEEEE10hipError_tPvRmT0_T1_T2_T3_T4_T5_mmT6_P12ihipStream_tbEUlT_E0_NS1_11comp_targetILNS1_3genE9ELNS1_11target_archE1100ELNS1_3gpuE3ELNS1_3repE0EEENS1_30default_config_static_selectorELNS0_4arch9wavefront6targetE0EEEvS11_
; %bb.0:
	.section	.rodata,"a",@progbits
	.p2align	6, 0x0
	.amdhsa_kernel _ZN7rocprim17ROCPRIM_400000_NS6detail17trampoline_kernelINS0_14default_configENS1_21merge_config_selectorINS0_5tupleIJssEEENS0_10empty_typeEEEZNS1_10merge_implIS3_NS0_12zip_iteratorINS5_IJN6thrust23THRUST_200600_302600_NS6detail15normal_iteratorINSC_10device_ptrIKsEEEESI_EEEEESK_NSA_INS5_IJNSC_16discard_iteratorINSC_11use_defaultEEESN_EEEEEPS7_SQ_SQ_NSC_11hip_rocprim7__merge17predicate_wrapperIssNSC_4lessIsEEEEEE10hipError_tPvRmT0_T1_T2_T3_T4_T5_mmT6_P12ihipStream_tbEUlT_E0_NS1_11comp_targetILNS1_3genE9ELNS1_11target_archE1100ELNS1_3gpuE3ELNS1_3repE0EEENS1_30default_config_static_selectorELNS0_4arch9wavefront6targetE0EEEvS11_
		.amdhsa_group_segment_fixed_size 0
		.amdhsa_private_segment_fixed_size 0
		.amdhsa_kernarg_size 128
		.amdhsa_user_sgpr_count 6
		.amdhsa_user_sgpr_private_segment_buffer 1
		.amdhsa_user_sgpr_dispatch_ptr 0
		.amdhsa_user_sgpr_queue_ptr 0
		.amdhsa_user_sgpr_kernarg_segment_ptr 1
		.amdhsa_user_sgpr_dispatch_id 0
		.amdhsa_user_sgpr_flat_scratch_init 0
		.amdhsa_user_sgpr_private_segment_size 0
		.amdhsa_wavefront_size32 1
		.amdhsa_uses_dynamic_stack 0
		.amdhsa_system_sgpr_private_segment_wavefront_offset 0
		.amdhsa_system_sgpr_workgroup_id_x 1
		.amdhsa_system_sgpr_workgroup_id_y 0
		.amdhsa_system_sgpr_workgroup_id_z 0
		.amdhsa_system_sgpr_workgroup_info 0
		.amdhsa_system_vgpr_workitem_id 0
		.amdhsa_next_free_vgpr 1
		.amdhsa_next_free_sgpr 1
		.amdhsa_reserve_vcc 0
		.amdhsa_reserve_flat_scratch 0
		.amdhsa_float_round_mode_32 0
		.amdhsa_float_round_mode_16_64 0
		.amdhsa_float_denorm_mode_32 3
		.amdhsa_float_denorm_mode_16_64 3
		.amdhsa_dx10_clamp 1
		.amdhsa_ieee_mode 1
		.amdhsa_fp16_overflow 0
		.amdhsa_workgroup_processor_mode 1
		.amdhsa_memory_ordered 1
		.amdhsa_forward_progress 1
		.amdhsa_shared_vgpr_count 0
		.amdhsa_exception_fp_ieee_invalid_op 0
		.amdhsa_exception_fp_denorm_src 0
		.amdhsa_exception_fp_ieee_div_zero 0
		.amdhsa_exception_fp_ieee_overflow 0
		.amdhsa_exception_fp_ieee_underflow 0
		.amdhsa_exception_fp_ieee_inexact 0
		.amdhsa_exception_int_div_zero 0
	.end_amdhsa_kernel
	.section	.text._ZN7rocprim17ROCPRIM_400000_NS6detail17trampoline_kernelINS0_14default_configENS1_21merge_config_selectorINS0_5tupleIJssEEENS0_10empty_typeEEEZNS1_10merge_implIS3_NS0_12zip_iteratorINS5_IJN6thrust23THRUST_200600_302600_NS6detail15normal_iteratorINSC_10device_ptrIKsEEEESI_EEEEESK_NSA_INS5_IJNSC_16discard_iteratorINSC_11use_defaultEEESN_EEEEEPS7_SQ_SQ_NSC_11hip_rocprim7__merge17predicate_wrapperIssNSC_4lessIsEEEEEE10hipError_tPvRmT0_T1_T2_T3_T4_T5_mmT6_P12ihipStream_tbEUlT_E0_NS1_11comp_targetILNS1_3genE9ELNS1_11target_archE1100ELNS1_3gpuE3ELNS1_3repE0EEENS1_30default_config_static_selectorELNS0_4arch9wavefront6targetE0EEEvS11_,"axG",@progbits,_ZN7rocprim17ROCPRIM_400000_NS6detail17trampoline_kernelINS0_14default_configENS1_21merge_config_selectorINS0_5tupleIJssEEENS0_10empty_typeEEEZNS1_10merge_implIS3_NS0_12zip_iteratorINS5_IJN6thrust23THRUST_200600_302600_NS6detail15normal_iteratorINSC_10device_ptrIKsEEEESI_EEEEESK_NSA_INS5_IJNSC_16discard_iteratorINSC_11use_defaultEEESN_EEEEEPS7_SQ_SQ_NSC_11hip_rocprim7__merge17predicate_wrapperIssNSC_4lessIsEEEEEE10hipError_tPvRmT0_T1_T2_T3_T4_T5_mmT6_P12ihipStream_tbEUlT_E0_NS1_11comp_targetILNS1_3genE9ELNS1_11target_archE1100ELNS1_3gpuE3ELNS1_3repE0EEENS1_30default_config_static_selectorELNS0_4arch9wavefront6targetE0EEEvS11_,comdat
.Lfunc_end621:
	.size	_ZN7rocprim17ROCPRIM_400000_NS6detail17trampoline_kernelINS0_14default_configENS1_21merge_config_selectorINS0_5tupleIJssEEENS0_10empty_typeEEEZNS1_10merge_implIS3_NS0_12zip_iteratorINS5_IJN6thrust23THRUST_200600_302600_NS6detail15normal_iteratorINSC_10device_ptrIKsEEEESI_EEEEESK_NSA_INS5_IJNSC_16discard_iteratorINSC_11use_defaultEEESN_EEEEEPS7_SQ_SQ_NSC_11hip_rocprim7__merge17predicate_wrapperIssNSC_4lessIsEEEEEE10hipError_tPvRmT0_T1_T2_T3_T4_T5_mmT6_P12ihipStream_tbEUlT_E0_NS1_11comp_targetILNS1_3genE9ELNS1_11target_archE1100ELNS1_3gpuE3ELNS1_3repE0EEENS1_30default_config_static_selectorELNS0_4arch9wavefront6targetE0EEEvS11_, .Lfunc_end621-_ZN7rocprim17ROCPRIM_400000_NS6detail17trampoline_kernelINS0_14default_configENS1_21merge_config_selectorINS0_5tupleIJssEEENS0_10empty_typeEEEZNS1_10merge_implIS3_NS0_12zip_iteratorINS5_IJN6thrust23THRUST_200600_302600_NS6detail15normal_iteratorINSC_10device_ptrIKsEEEESI_EEEEESK_NSA_INS5_IJNSC_16discard_iteratorINSC_11use_defaultEEESN_EEEEEPS7_SQ_SQ_NSC_11hip_rocprim7__merge17predicate_wrapperIssNSC_4lessIsEEEEEE10hipError_tPvRmT0_T1_T2_T3_T4_T5_mmT6_P12ihipStream_tbEUlT_E0_NS1_11comp_targetILNS1_3genE9ELNS1_11target_archE1100ELNS1_3gpuE3ELNS1_3repE0EEENS1_30default_config_static_selectorELNS0_4arch9wavefront6targetE0EEEvS11_
                                        ; -- End function
	.set _ZN7rocprim17ROCPRIM_400000_NS6detail17trampoline_kernelINS0_14default_configENS1_21merge_config_selectorINS0_5tupleIJssEEENS0_10empty_typeEEEZNS1_10merge_implIS3_NS0_12zip_iteratorINS5_IJN6thrust23THRUST_200600_302600_NS6detail15normal_iteratorINSC_10device_ptrIKsEEEESI_EEEEESK_NSA_INS5_IJNSC_16discard_iteratorINSC_11use_defaultEEESN_EEEEEPS7_SQ_SQ_NSC_11hip_rocprim7__merge17predicate_wrapperIssNSC_4lessIsEEEEEE10hipError_tPvRmT0_T1_T2_T3_T4_T5_mmT6_P12ihipStream_tbEUlT_E0_NS1_11comp_targetILNS1_3genE9ELNS1_11target_archE1100ELNS1_3gpuE3ELNS1_3repE0EEENS1_30default_config_static_selectorELNS0_4arch9wavefront6targetE0EEEvS11_.num_vgpr, 0
	.set _ZN7rocprim17ROCPRIM_400000_NS6detail17trampoline_kernelINS0_14default_configENS1_21merge_config_selectorINS0_5tupleIJssEEENS0_10empty_typeEEEZNS1_10merge_implIS3_NS0_12zip_iteratorINS5_IJN6thrust23THRUST_200600_302600_NS6detail15normal_iteratorINSC_10device_ptrIKsEEEESI_EEEEESK_NSA_INS5_IJNSC_16discard_iteratorINSC_11use_defaultEEESN_EEEEEPS7_SQ_SQ_NSC_11hip_rocprim7__merge17predicate_wrapperIssNSC_4lessIsEEEEEE10hipError_tPvRmT0_T1_T2_T3_T4_T5_mmT6_P12ihipStream_tbEUlT_E0_NS1_11comp_targetILNS1_3genE9ELNS1_11target_archE1100ELNS1_3gpuE3ELNS1_3repE0EEENS1_30default_config_static_selectorELNS0_4arch9wavefront6targetE0EEEvS11_.num_agpr, 0
	.set _ZN7rocprim17ROCPRIM_400000_NS6detail17trampoline_kernelINS0_14default_configENS1_21merge_config_selectorINS0_5tupleIJssEEENS0_10empty_typeEEEZNS1_10merge_implIS3_NS0_12zip_iteratorINS5_IJN6thrust23THRUST_200600_302600_NS6detail15normal_iteratorINSC_10device_ptrIKsEEEESI_EEEEESK_NSA_INS5_IJNSC_16discard_iteratorINSC_11use_defaultEEESN_EEEEEPS7_SQ_SQ_NSC_11hip_rocprim7__merge17predicate_wrapperIssNSC_4lessIsEEEEEE10hipError_tPvRmT0_T1_T2_T3_T4_T5_mmT6_P12ihipStream_tbEUlT_E0_NS1_11comp_targetILNS1_3genE9ELNS1_11target_archE1100ELNS1_3gpuE3ELNS1_3repE0EEENS1_30default_config_static_selectorELNS0_4arch9wavefront6targetE0EEEvS11_.numbered_sgpr, 0
	.set _ZN7rocprim17ROCPRIM_400000_NS6detail17trampoline_kernelINS0_14default_configENS1_21merge_config_selectorINS0_5tupleIJssEEENS0_10empty_typeEEEZNS1_10merge_implIS3_NS0_12zip_iteratorINS5_IJN6thrust23THRUST_200600_302600_NS6detail15normal_iteratorINSC_10device_ptrIKsEEEESI_EEEEESK_NSA_INS5_IJNSC_16discard_iteratorINSC_11use_defaultEEESN_EEEEEPS7_SQ_SQ_NSC_11hip_rocprim7__merge17predicate_wrapperIssNSC_4lessIsEEEEEE10hipError_tPvRmT0_T1_T2_T3_T4_T5_mmT6_P12ihipStream_tbEUlT_E0_NS1_11comp_targetILNS1_3genE9ELNS1_11target_archE1100ELNS1_3gpuE3ELNS1_3repE0EEENS1_30default_config_static_selectorELNS0_4arch9wavefront6targetE0EEEvS11_.num_named_barrier, 0
	.set _ZN7rocprim17ROCPRIM_400000_NS6detail17trampoline_kernelINS0_14default_configENS1_21merge_config_selectorINS0_5tupleIJssEEENS0_10empty_typeEEEZNS1_10merge_implIS3_NS0_12zip_iteratorINS5_IJN6thrust23THRUST_200600_302600_NS6detail15normal_iteratorINSC_10device_ptrIKsEEEESI_EEEEESK_NSA_INS5_IJNSC_16discard_iteratorINSC_11use_defaultEEESN_EEEEEPS7_SQ_SQ_NSC_11hip_rocprim7__merge17predicate_wrapperIssNSC_4lessIsEEEEEE10hipError_tPvRmT0_T1_T2_T3_T4_T5_mmT6_P12ihipStream_tbEUlT_E0_NS1_11comp_targetILNS1_3genE9ELNS1_11target_archE1100ELNS1_3gpuE3ELNS1_3repE0EEENS1_30default_config_static_selectorELNS0_4arch9wavefront6targetE0EEEvS11_.private_seg_size, 0
	.set _ZN7rocprim17ROCPRIM_400000_NS6detail17trampoline_kernelINS0_14default_configENS1_21merge_config_selectorINS0_5tupleIJssEEENS0_10empty_typeEEEZNS1_10merge_implIS3_NS0_12zip_iteratorINS5_IJN6thrust23THRUST_200600_302600_NS6detail15normal_iteratorINSC_10device_ptrIKsEEEESI_EEEEESK_NSA_INS5_IJNSC_16discard_iteratorINSC_11use_defaultEEESN_EEEEEPS7_SQ_SQ_NSC_11hip_rocprim7__merge17predicate_wrapperIssNSC_4lessIsEEEEEE10hipError_tPvRmT0_T1_T2_T3_T4_T5_mmT6_P12ihipStream_tbEUlT_E0_NS1_11comp_targetILNS1_3genE9ELNS1_11target_archE1100ELNS1_3gpuE3ELNS1_3repE0EEENS1_30default_config_static_selectorELNS0_4arch9wavefront6targetE0EEEvS11_.uses_vcc, 0
	.set _ZN7rocprim17ROCPRIM_400000_NS6detail17trampoline_kernelINS0_14default_configENS1_21merge_config_selectorINS0_5tupleIJssEEENS0_10empty_typeEEEZNS1_10merge_implIS3_NS0_12zip_iteratorINS5_IJN6thrust23THRUST_200600_302600_NS6detail15normal_iteratorINSC_10device_ptrIKsEEEESI_EEEEESK_NSA_INS5_IJNSC_16discard_iteratorINSC_11use_defaultEEESN_EEEEEPS7_SQ_SQ_NSC_11hip_rocprim7__merge17predicate_wrapperIssNSC_4lessIsEEEEEE10hipError_tPvRmT0_T1_T2_T3_T4_T5_mmT6_P12ihipStream_tbEUlT_E0_NS1_11comp_targetILNS1_3genE9ELNS1_11target_archE1100ELNS1_3gpuE3ELNS1_3repE0EEENS1_30default_config_static_selectorELNS0_4arch9wavefront6targetE0EEEvS11_.uses_flat_scratch, 0
	.set _ZN7rocprim17ROCPRIM_400000_NS6detail17trampoline_kernelINS0_14default_configENS1_21merge_config_selectorINS0_5tupleIJssEEENS0_10empty_typeEEEZNS1_10merge_implIS3_NS0_12zip_iteratorINS5_IJN6thrust23THRUST_200600_302600_NS6detail15normal_iteratorINSC_10device_ptrIKsEEEESI_EEEEESK_NSA_INS5_IJNSC_16discard_iteratorINSC_11use_defaultEEESN_EEEEEPS7_SQ_SQ_NSC_11hip_rocprim7__merge17predicate_wrapperIssNSC_4lessIsEEEEEE10hipError_tPvRmT0_T1_T2_T3_T4_T5_mmT6_P12ihipStream_tbEUlT_E0_NS1_11comp_targetILNS1_3genE9ELNS1_11target_archE1100ELNS1_3gpuE3ELNS1_3repE0EEENS1_30default_config_static_selectorELNS0_4arch9wavefront6targetE0EEEvS11_.has_dyn_sized_stack, 0
	.set _ZN7rocprim17ROCPRIM_400000_NS6detail17trampoline_kernelINS0_14default_configENS1_21merge_config_selectorINS0_5tupleIJssEEENS0_10empty_typeEEEZNS1_10merge_implIS3_NS0_12zip_iteratorINS5_IJN6thrust23THRUST_200600_302600_NS6detail15normal_iteratorINSC_10device_ptrIKsEEEESI_EEEEESK_NSA_INS5_IJNSC_16discard_iteratorINSC_11use_defaultEEESN_EEEEEPS7_SQ_SQ_NSC_11hip_rocprim7__merge17predicate_wrapperIssNSC_4lessIsEEEEEE10hipError_tPvRmT0_T1_T2_T3_T4_T5_mmT6_P12ihipStream_tbEUlT_E0_NS1_11comp_targetILNS1_3genE9ELNS1_11target_archE1100ELNS1_3gpuE3ELNS1_3repE0EEENS1_30default_config_static_selectorELNS0_4arch9wavefront6targetE0EEEvS11_.has_recursion, 0
	.set _ZN7rocprim17ROCPRIM_400000_NS6detail17trampoline_kernelINS0_14default_configENS1_21merge_config_selectorINS0_5tupleIJssEEENS0_10empty_typeEEEZNS1_10merge_implIS3_NS0_12zip_iteratorINS5_IJN6thrust23THRUST_200600_302600_NS6detail15normal_iteratorINSC_10device_ptrIKsEEEESI_EEEEESK_NSA_INS5_IJNSC_16discard_iteratorINSC_11use_defaultEEESN_EEEEEPS7_SQ_SQ_NSC_11hip_rocprim7__merge17predicate_wrapperIssNSC_4lessIsEEEEEE10hipError_tPvRmT0_T1_T2_T3_T4_T5_mmT6_P12ihipStream_tbEUlT_E0_NS1_11comp_targetILNS1_3genE9ELNS1_11target_archE1100ELNS1_3gpuE3ELNS1_3repE0EEENS1_30default_config_static_selectorELNS0_4arch9wavefront6targetE0EEEvS11_.has_indirect_call, 0
	.section	.AMDGPU.csdata,"",@progbits
; Kernel info:
; codeLenInByte = 0
; TotalNumSgprs: 0
; NumVgprs: 0
; ScratchSize: 0
; MemoryBound: 0
; FloatMode: 240
; IeeeMode: 1
; LDSByteSize: 0 bytes/workgroup (compile time only)
; SGPRBlocks: 0
; VGPRBlocks: 0
; NumSGPRsForWavesPerEU: 1
; NumVGPRsForWavesPerEU: 1
; Occupancy: 16
; WaveLimiterHint : 0
; COMPUTE_PGM_RSRC2:SCRATCH_EN: 0
; COMPUTE_PGM_RSRC2:USER_SGPR: 6
; COMPUTE_PGM_RSRC2:TRAP_HANDLER: 0
; COMPUTE_PGM_RSRC2:TGID_X_EN: 1
; COMPUTE_PGM_RSRC2:TGID_Y_EN: 0
; COMPUTE_PGM_RSRC2:TGID_Z_EN: 0
; COMPUTE_PGM_RSRC2:TIDIG_COMP_CNT: 0
	.section	.text._ZN7rocprim17ROCPRIM_400000_NS6detail17trampoline_kernelINS0_14default_configENS1_21merge_config_selectorINS0_5tupleIJssEEENS0_10empty_typeEEEZNS1_10merge_implIS3_NS0_12zip_iteratorINS5_IJN6thrust23THRUST_200600_302600_NS6detail15normal_iteratorINSC_10device_ptrIKsEEEESI_EEEEESK_NSA_INS5_IJNSC_16discard_iteratorINSC_11use_defaultEEESN_EEEEEPS7_SQ_SQ_NSC_11hip_rocprim7__merge17predicate_wrapperIssNSC_4lessIsEEEEEE10hipError_tPvRmT0_T1_T2_T3_T4_T5_mmT6_P12ihipStream_tbEUlT_E0_NS1_11comp_targetILNS1_3genE8ELNS1_11target_archE1030ELNS1_3gpuE2ELNS1_3repE0EEENS1_30default_config_static_selectorELNS0_4arch9wavefront6targetE0EEEvS11_,"axG",@progbits,_ZN7rocprim17ROCPRIM_400000_NS6detail17trampoline_kernelINS0_14default_configENS1_21merge_config_selectorINS0_5tupleIJssEEENS0_10empty_typeEEEZNS1_10merge_implIS3_NS0_12zip_iteratorINS5_IJN6thrust23THRUST_200600_302600_NS6detail15normal_iteratorINSC_10device_ptrIKsEEEESI_EEEEESK_NSA_INS5_IJNSC_16discard_iteratorINSC_11use_defaultEEESN_EEEEEPS7_SQ_SQ_NSC_11hip_rocprim7__merge17predicate_wrapperIssNSC_4lessIsEEEEEE10hipError_tPvRmT0_T1_T2_T3_T4_T5_mmT6_P12ihipStream_tbEUlT_E0_NS1_11comp_targetILNS1_3genE8ELNS1_11target_archE1030ELNS1_3gpuE2ELNS1_3repE0EEENS1_30default_config_static_selectorELNS0_4arch9wavefront6targetE0EEEvS11_,comdat
	.protected	_ZN7rocprim17ROCPRIM_400000_NS6detail17trampoline_kernelINS0_14default_configENS1_21merge_config_selectorINS0_5tupleIJssEEENS0_10empty_typeEEEZNS1_10merge_implIS3_NS0_12zip_iteratorINS5_IJN6thrust23THRUST_200600_302600_NS6detail15normal_iteratorINSC_10device_ptrIKsEEEESI_EEEEESK_NSA_INS5_IJNSC_16discard_iteratorINSC_11use_defaultEEESN_EEEEEPS7_SQ_SQ_NSC_11hip_rocprim7__merge17predicate_wrapperIssNSC_4lessIsEEEEEE10hipError_tPvRmT0_T1_T2_T3_T4_T5_mmT6_P12ihipStream_tbEUlT_E0_NS1_11comp_targetILNS1_3genE8ELNS1_11target_archE1030ELNS1_3gpuE2ELNS1_3repE0EEENS1_30default_config_static_selectorELNS0_4arch9wavefront6targetE0EEEvS11_ ; -- Begin function _ZN7rocprim17ROCPRIM_400000_NS6detail17trampoline_kernelINS0_14default_configENS1_21merge_config_selectorINS0_5tupleIJssEEENS0_10empty_typeEEEZNS1_10merge_implIS3_NS0_12zip_iteratorINS5_IJN6thrust23THRUST_200600_302600_NS6detail15normal_iteratorINSC_10device_ptrIKsEEEESI_EEEEESK_NSA_INS5_IJNSC_16discard_iteratorINSC_11use_defaultEEESN_EEEEEPS7_SQ_SQ_NSC_11hip_rocprim7__merge17predicate_wrapperIssNSC_4lessIsEEEEEE10hipError_tPvRmT0_T1_T2_T3_T4_T5_mmT6_P12ihipStream_tbEUlT_E0_NS1_11comp_targetILNS1_3genE8ELNS1_11target_archE1030ELNS1_3gpuE2ELNS1_3repE0EEENS1_30default_config_static_selectorELNS0_4arch9wavefront6targetE0EEEvS11_
	.globl	_ZN7rocprim17ROCPRIM_400000_NS6detail17trampoline_kernelINS0_14default_configENS1_21merge_config_selectorINS0_5tupleIJssEEENS0_10empty_typeEEEZNS1_10merge_implIS3_NS0_12zip_iteratorINS5_IJN6thrust23THRUST_200600_302600_NS6detail15normal_iteratorINSC_10device_ptrIKsEEEESI_EEEEESK_NSA_INS5_IJNSC_16discard_iteratorINSC_11use_defaultEEESN_EEEEEPS7_SQ_SQ_NSC_11hip_rocprim7__merge17predicate_wrapperIssNSC_4lessIsEEEEEE10hipError_tPvRmT0_T1_T2_T3_T4_T5_mmT6_P12ihipStream_tbEUlT_E0_NS1_11comp_targetILNS1_3genE8ELNS1_11target_archE1030ELNS1_3gpuE2ELNS1_3repE0EEENS1_30default_config_static_selectorELNS0_4arch9wavefront6targetE0EEEvS11_
	.p2align	8
	.type	_ZN7rocprim17ROCPRIM_400000_NS6detail17trampoline_kernelINS0_14default_configENS1_21merge_config_selectorINS0_5tupleIJssEEENS0_10empty_typeEEEZNS1_10merge_implIS3_NS0_12zip_iteratorINS5_IJN6thrust23THRUST_200600_302600_NS6detail15normal_iteratorINSC_10device_ptrIKsEEEESI_EEEEESK_NSA_INS5_IJNSC_16discard_iteratorINSC_11use_defaultEEESN_EEEEEPS7_SQ_SQ_NSC_11hip_rocprim7__merge17predicate_wrapperIssNSC_4lessIsEEEEEE10hipError_tPvRmT0_T1_T2_T3_T4_T5_mmT6_P12ihipStream_tbEUlT_E0_NS1_11comp_targetILNS1_3genE8ELNS1_11target_archE1030ELNS1_3gpuE2ELNS1_3repE0EEENS1_30default_config_static_selectorELNS0_4arch9wavefront6targetE0EEEvS11_,@function
_ZN7rocprim17ROCPRIM_400000_NS6detail17trampoline_kernelINS0_14default_configENS1_21merge_config_selectorINS0_5tupleIJssEEENS0_10empty_typeEEEZNS1_10merge_implIS3_NS0_12zip_iteratorINS5_IJN6thrust23THRUST_200600_302600_NS6detail15normal_iteratorINSC_10device_ptrIKsEEEESI_EEEEESK_NSA_INS5_IJNSC_16discard_iteratorINSC_11use_defaultEEESN_EEEEEPS7_SQ_SQ_NSC_11hip_rocprim7__merge17predicate_wrapperIssNSC_4lessIsEEEEEE10hipError_tPvRmT0_T1_T2_T3_T4_T5_mmT6_P12ihipStream_tbEUlT_E0_NS1_11comp_targetILNS1_3genE8ELNS1_11target_archE1030ELNS1_3gpuE2ELNS1_3repE0EEENS1_30default_config_static_selectorELNS0_4arch9wavefront6targetE0EEEvS11_: ; @_ZN7rocprim17ROCPRIM_400000_NS6detail17trampoline_kernelINS0_14default_configENS1_21merge_config_selectorINS0_5tupleIJssEEENS0_10empty_typeEEEZNS1_10merge_implIS3_NS0_12zip_iteratorINS5_IJN6thrust23THRUST_200600_302600_NS6detail15normal_iteratorINSC_10device_ptrIKsEEEESI_EEEEESK_NSA_INS5_IJNSC_16discard_iteratorINSC_11use_defaultEEESN_EEEEEPS7_SQ_SQ_NSC_11hip_rocprim7__merge17predicate_wrapperIssNSC_4lessIsEEEEEE10hipError_tPvRmT0_T1_T2_T3_T4_T5_mmT6_P12ihipStream_tbEUlT_E0_NS1_11comp_targetILNS1_3genE8ELNS1_11target_archE1030ELNS1_3gpuE2ELNS1_3repE0EEENS1_30default_config_static_selectorELNS0_4arch9wavefront6targetE0EEEvS11_
; %bb.0:
	s_clause 0x2
	s_load_dwordx4 s[0:3], s[4:5], 0x68
	s_load_dwordx8 s[8:15], s[4:5], 0x8
	s_load_dwordx2 s[20:21], s[4:5], 0x28
	s_lshl_b32 s17, s6, 13
	s_mov_b32 s19, 0
	v_mov_b32_e32 v1, 0
	s_waitcnt lgkmcnt(0)
	s_add_i32 s16, s2, s0
	s_add_i32 s0, s16, 0x1fff
	s_lshr_b32 s0, s0, 13
	s_min_u32 s1, s6, s0
	s_lshl_b32 s1, s1, 2
	s_load_dword s18, s[8:9], s1 offset:0x0
	s_add_i32 s1, s6, 1
	s_min_u32 s0, s1, s0
	s_lshl_b32 s0, s0, 2
	s_load_dword s22, s[8:9], s0 offset:0x0
	s_add_i32 s0, s17, 0x2000
	s_mov_b32 s9, s19
	s_min_u32 s23, s16, s0
	s_waitcnt lgkmcnt(0)
	s_lshl_b64 s[2:3], s[18:19], 1
	s_sub_i32 s8, s17, s18
	s_add_u32 s0, s10, s2
	s_addc_u32 s1, s11, s3
	s_add_u32 s2, s12, s2
	s_addc_u32 s3, s13, s3
	s_lshl_b64 s[6:7], s[8:9], 1
	s_mov_b32 s12, exec_lo
	s_add_u32 s4, s14, s6
	s_addc_u32 s5, s15, s7
	s_add_u32 s6, s20, s6
	s_addc_u32 s7, s21, s7
	s_add_i32 s8, s8, s22
	s_sub_i32 s10, s22, s18
	s_sub_i32 s11, s23, s8
	s_add_u32 s8, s11, s10
	s_addc_u32 s9, 0, 0
	v_cmpx_le_u32_e64 s10, v0
	s_xor_b32 s12, exec_lo, s12
	s_cbranch_execz .LBB622_4
; %bb.1:
	s_mov_b32 s13, exec_lo
	v_cmpx_gt_u64_e64 s[8:9], v[0:1]
	s_cbranch_execz .LBB622_3
; %bb.2:
	v_subrev_nc_u32_e32 v1, s10, v0
	v_lshlrev_b32_e32 v1, 1, v1
	s_clause 0x1
	global_load_ushort v2, v1, s[4:5]
	global_load_short_d16_hi v2, v1, s[6:7]
	v_lshlrev_b32_e32 v1, 2, v0
	s_waitcnt vmcnt(0)
	ds_write_b32 v1, v2
.LBB622_3:
	s_or_b32 exec_lo, exec_lo, s13
.LBB622_4:
	s_or_saveexec_b32 s12, s12
	v_lshlrev_b32_e32 v3, 2, v0
	s_xor_b32 exec_lo, exec_lo, s12
	s_cbranch_execz .LBB622_6
; %bb.5:
	v_lshlrev_b32_e32 v1, 1, v0
	s_clause 0x1
	global_load_ushort v2, v1, s[0:1]
	global_load_short_d16_hi v2, v1, s[2:3]
	s_waitcnt vmcnt(0)
	ds_write_b32 v3, v2
.LBB622_6:
	s_or_b32 exec_lo, exec_lo, s12
	v_or_b32_e32 v1, 0x400, v0
	v_mov_b32_e32 v2, 0
	s_mov_b32 s12, exec_lo
	v_cmpx_le_u32_e64 s10, v1
	s_xor_b32 s12, exec_lo, s12
	s_cbranch_execz .LBB622_10
; %bb.7:
	s_mov_b32 s13, exec_lo
	v_cmpx_gt_u64_e64 s[8:9], v[1:2]
	s_cbranch_execz .LBB622_9
; %bb.8:
	v_subrev_nc_u32_e32 v1, s10, v1
	v_lshlrev_b32_e32 v1, 1, v1
	s_clause 0x1
	global_load_ushort v2, v1, s[4:5]
	global_load_short_d16_hi v2, v1, s[6:7]
	s_waitcnt vmcnt(0)
	ds_write_b32 v3, v2 offset:4096
.LBB622_9:
	s_or_b32 exec_lo, exec_lo, s13
                                        ; implicit-def: $vgpr1_vgpr2
.LBB622_10:
	s_andn2_saveexec_b32 s12, s12
	s_cbranch_execz .LBB622_12
; %bb.11:
	v_lshlrev_b32_e32 v1, 1, v1
	s_clause 0x1
	global_load_ushort v2, v1, s[0:1]
	global_load_short_d16_hi v2, v1, s[2:3]
	s_waitcnt vmcnt(0)
	ds_write_b32 v3, v2 offset:4096
.LBB622_12:
	s_or_b32 exec_lo, exec_lo, s12
	v_or_b32_e32 v1, 0x800, v0
	v_mov_b32_e32 v2, 0
	s_mov_b32 s12, exec_lo
	v_cmpx_le_u32_e64 s10, v1
	s_xor_b32 s12, exec_lo, s12
	s_cbranch_execz .LBB622_16
; %bb.13:
	s_mov_b32 s13, exec_lo
	v_cmpx_gt_u64_e64 s[8:9], v[1:2]
	s_cbranch_execz .LBB622_15
; %bb.14:
	v_subrev_nc_u32_e32 v1, s10, v1
	v_lshlrev_b32_e32 v1, 1, v1
	s_clause 0x1
	global_load_ushort v2, v1, s[4:5]
	global_load_short_d16_hi v2, v1, s[6:7]
	s_waitcnt vmcnt(0)
	ds_write_b32 v3, v2 offset:8192
.LBB622_15:
	s_or_b32 exec_lo, exec_lo, s13
                                        ; implicit-def: $vgpr1_vgpr2
.LBB622_16:
	s_andn2_saveexec_b32 s12, s12
	s_cbranch_execz .LBB622_18
; %bb.17:
	v_lshlrev_b32_e32 v1, 1, v1
	s_clause 0x1
	global_load_ushort v2, v1, s[0:1]
	global_load_short_d16_hi v2, v1, s[2:3]
	s_waitcnt vmcnt(0)
	ds_write_b32 v3, v2 offset:8192
.LBB622_18:
	;; [unrolled: 33-line block ×6, first 2 shown]
	s_or_b32 exec_lo, exec_lo, s12
	v_or_b32_e32 v1, 0x1c00, v0
	v_mov_b32_e32 v2, 0
	s_mov_b32 s12, exec_lo
	v_cmpx_le_u32_e64 s10, v1
	s_xor_b32 s12, exec_lo, s12
	s_cbranch_execz .LBB622_46
; %bb.43:
	v_cmp_gt_u64_e32 vcc_lo, s[8:9], v[1:2]
	s_and_saveexec_b32 s8, vcc_lo
	s_cbranch_execz .LBB622_45
; %bb.44:
	v_subrev_nc_u32_e32 v1, s10, v1
	v_lshlrev_b32_e32 v1, 1, v1
	s_clause 0x1
	global_load_ushort v2, v1, s[4:5]
	global_load_short_d16_hi v2, v1, s[6:7]
	s_waitcnt vmcnt(0)
	ds_write_b32 v3, v2 offset:28672
.LBB622_45:
	s_or_b32 exec_lo, exec_lo, s8
                                        ; implicit-def: $vgpr1_vgpr2
                                        ; implicit-def: $vgpr3
.LBB622_46:
	s_andn2_saveexec_b32 s4, s12
	s_cbranch_execz .LBB622_48
; %bb.47:
	v_lshlrev_b32_e32 v1, 1, v1
	s_clause 0x1
	global_load_ushort v2, v1, s[0:1]
	global_load_short_d16_hi v2, v1, s[2:3]
	s_waitcnt vmcnt(0)
	ds_write_b32 v3, v2 offset:28672
.LBB622_48:
	s_or_b32 exec_lo, exec_lo, s4
	v_lshlrev_b32_e32 v1, 3, v0
	s_mov_b32 s0, exec_lo
	s_waitcnt lgkmcnt(0)
	s_barrier
	buffer_gl0_inv
	v_sub_nc_u32_e64 v6, v1, s11 clamp
	v_min_u32_e32 v2, s10, v1
	v_cmpx_lt_u32_e64 v6, v2
	s_cbranch_execz .LBB622_52
; %bb.49:
	v_lshlrev_b32_e32 v3, 2, v1
	s_mov_b32 s1, 0
	v_lshl_add_u32 v3, s10, 2, v3
	.p2align	6
.LBB622_50:                             ; =>This Inner Loop Header: Depth=1
	v_add_nc_u32_e32 v4, v2, v6
	v_lshrrev_b32_e32 v4, 1, v4
	v_not_b32_e32 v5, v4
	v_lshlrev_b32_e32 v7, 2, v4
	v_add_nc_u32_e32 v8, 1, v4
	v_lshl_add_u32 v5, v5, 2, v3
	ds_read_b32 v7, v7
	ds_read_b32 v5, v5
	s_waitcnt lgkmcnt(0)
	v_cmp_lt_i16_e32 vcc_lo, v5, v7
	v_cndmask_b32_e32 v2, v2, v4, vcc_lo
	v_cndmask_b32_e32 v6, v8, v6, vcc_lo
	v_cmp_ge_u32_e32 vcc_lo, v6, v2
	s_or_b32 s1, vcc_lo, s1
	s_andn2_b32 exec_lo, exec_lo, s1
	s_cbranch_execnz .LBB622_50
; %bb.51:
	s_or_b32 exec_lo, exec_lo, s1
.LBB622_52:
	s_or_b32 exec_lo, exec_lo, s0
	v_add_nc_u32_e32 v3, s10, v1
	s_add_i32 s11, s11, s10
	v_cmp_ge_u32_e32 vcc_lo, s10, v6
	v_mov_b32_e32 v2, 0
	v_mov_b32_e32 v4, 0
	v_sub_nc_u32_e32 v7, v3, v6
	v_mov_b32_e32 v3, 0
	v_mov_b32_e32 v5, 0
	;; [unrolled: 1-line block ×4, first 2 shown]
	v_cmp_ge_u32_e64 s0, s11, v7
	v_mov_b32_e32 v10, 0
	v_mov_b32_e32 v11, 0
	s_or_b32 s0, vcc_lo, s0
	s_and_saveexec_b32 s7, s0
	s_cbranch_execz .LBB622_58
; %bb.53:
	v_cmp_gt_u32_e32 vcc_lo, s10, v6
	v_mov_b32_e32 v2, 0
	v_mov_b32_e32 v4, 0
	;; [unrolled: 1-line block ×3, first 2 shown]
	s_and_saveexec_b32 s0, vcc_lo
	s_cbranch_execz .LBB622_55
; %bb.54:
	v_lshlrev_b32_e32 v3, 2, v6
	ds_read_b32 v4, v3
	s_waitcnt lgkmcnt(0)
	v_lshrrev_b32_e32 v3, 16, v4
.LBB622_55:
	s_or_b32 exec_lo, exec_lo, s0
	v_cmp_le_u32_e64 s0, s11, v7
	v_mov_b32_e32 v5, 0
	s_mov_b32 s2, exec_lo
	v_cmpx_gt_u32_e64 s11, v7
	s_cbranch_execz .LBB622_57
; %bb.56:
	v_lshlrev_b32_e32 v2, 2, v7
	ds_read_b32 v2, v2
	s_waitcnt lgkmcnt(0)
	v_lshrrev_b32_e32 v5, 16, v2
.LBB622_57:
	s_or_b32 exec_lo, exec_lo, s2
	v_cmp_ge_i16_e64 s1, v2, v4
	v_mov_b32_e32 v8, s10
	v_lshlrev_b32_e32 v26, 16, v3
	v_lshlrev_b32_e32 v27, 16, v5
	s_and_b32 s1, vcc_lo, s1
	s_or_b32 vcc_lo, s0, s1
	v_cndmask_b32_e32 v9, v7, v6, vcc_lo
	v_cndmask_b32_e32 v10, s11, v8, vcc_lo
	v_add_nc_u32_e32 v9, 1, v9
	v_add_nc_u32_e32 v10, -1, v10
	v_cndmask_b32_e32 v6, v6, v9, vcc_lo
	v_min_u32_e32 v10, v9, v10
	v_cndmask_b32_e32 v7, v9, v7, vcc_lo
	v_cmp_gt_u32_e64 s0, s10, v6
	v_lshlrev_b32_e32 v10, 2, v10
	v_cmp_le_u32_e64 s2, s11, v7
	ds_read_b32 v10, v10
	s_waitcnt lgkmcnt(0)
	v_cndmask_b32_e32 v11, v10, v2, vcc_lo
	v_cndmask_b32_e32 v12, v4, v10, vcc_lo
	v_or_b32_sdwa v4, v26, v4 dst_sel:DWORD dst_unused:UNUSED_PAD src0_sel:DWORD src1_sel:WORD_0
	v_or_b32_sdwa v2, v27, v2 dst_sel:DWORD dst_unused:UNUSED_PAD src0_sel:DWORD src1_sel:WORD_0
	v_lshrrev_b32_e32 v10, 16, v10
	v_cmp_ge_i16_e64 s1, v11, v12
	v_cndmask_b32_e32 v2, v2, v4, vcc_lo
	v_cndmask_b32_e32 v3, v3, v10, vcc_lo
	;; [unrolled: 1-line block ×3, first 2 shown]
	s_and_b32 s0, s0, s1
	s_or_b32 s0, s2, s0
	v_lshlrev_b32_e32 v5, 16, v3
	v_cndmask_b32_e64 v9, v7, v6, s0
	v_cndmask_b32_e64 v13, s11, v8, s0
	v_or_b32_sdwa v5, v5, v12 dst_sel:DWORD dst_unused:UNUSED_PAD src0_sel:DWORD src1_sel:WORD_0
	v_add_nc_u32_e32 v9, 1, v9
	v_add_nc_u32_e32 v13, -1, v13
	v_cndmask_b32_e64 v6, v6, v9, s0
	v_min_u32_e32 v13, v9, v13
	v_cndmask_b32_e64 v7, v9, v7, s0
	v_cmp_gt_u32_e64 s1, s10, v6
	v_lshlrev_b32_e32 v13, 2, v13
	v_cmp_le_u32_e64 s3, s11, v7
	ds_read_b32 v13, v13
	s_waitcnt lgkmcnt(0)
	v_cndmask_b32_e64 v14, v13, v11, s0
	v_cndmask_b32_e64 v15, v12, v13, s0
	v_cmp_ge_i16_e64 s2, v14, v15
	s_and_b32 s1, s1, s2
	s_or_b32 s1, s3, s1
	v_cndmask_b32_e64 v9, v7, v6, s1
	v_cndmask_b32_e64 v16, s11, v8, s1
	v_add_nc_u32_e32 v9, 1, v9
	v_add_nc_u32_e32 v16, -1, v16
	v_cndmask_b32_e64 v6, v6, v9, s1
	v_min_u32_e32 v16, v9, v16
	v_cndmask_b32_e64 v7, v9, v7, s1
	v_cmp_gt_u32_e64 s2, s10, v6
	v_lshlrev_b32_e32 v16, 2, v16
	v_cmp_le_u32_e64 s4, s11, v7
	ds_read_b32 v16, v16
	s_waitcnt lgkmcnt(0)
	v_cndmask_b32_e64 v17, v16, v14, s1
	v_cndmask_b32_e64 v18, v15, v16, s1
	v_lshrrev_b32_e32 v16, 16, v16
	v_cmp_ge_i16_e64 s3, v17, v18
	s_and_b32 s2, s2, s3
	s_or_b32 s2, s4, s2
	v_cndmask_b32_e64 v9, v7, v6, s2
	v_cndmask_b32_e64 v19, s11, v8, s2
	v_add_nc_u32_e32 v9, 1, v9
	v_add_nc_u32_e32 v19, -1, v19
	v_cndmask_b32_e64 v6, v6, v9, s2
	v_min_u32_e32 v19, v9, v19
	v_cndmask_b32_e64 v7, v9, v7, s2
	v_cmp_gt_u32_e64 s3, s10, v6
	v_lshlrev_b32_e32 v19, 2, v19
	v_cmp_le_u32_e64 s5, s11, v7
	ds_read_b32 v19, v19
	s_waitcnt lgkmcnt(0)
	v_cndmask_b32_e64 v20, v19, v17, s2
	v_cndmask_b32_e64 v21, v18, v19, s2
	v_cmp_ge_i16_e64 s4, v20, v21
	s_and_b32 s3, s3, s4
	s_or_b32 s3, s5, s3
	v_cndmask_b32_e64 v9, v7, v6, s3
	v_cndmask_b32_e64 v22, s11, v8, s3
	v_add_nc_u32_e32 v9, 1, v9
	v_add_nc_u32_e32 v22, -1, v22
	v_cndmask_b32_e64 v6, v6, v9, s3
	v_min_u32_e32 v22, v9, v22
	v_cndmask_b32_e64 v7, v9, v7, s3
	v_cmp_gt_u32_e64 s4, s10, v6
	v_lshlrev_b32_e32 v22, 2, v22
	v_cmp_le_u32_e64 s6, s11, v7
	ds_read_b32 v22, v22
	s_waitcnt lgkmcnt(0)
	v_cndmask_b32_e64 v23, v22, v20, s3
	v_cndmask_b32_e64 v24, v21, v22, s3
	v_cmp_ge_i16_e64 s5, v23, v24
	s_and_b32 s4, s4, s5
	s_or_b32 s4, s6, s4
	v_cndmask_b32_e64 v9, v7, v6, s4
	v_cndmask_b32_e64 v25, s11, v8, s4
	v_add_nc_u32_e32 v9, 1, v9
	v_add_nc_u32_e32 v25, -1, v25
	v_cndmask_b32_e64 v6, v6, v9, s4
	v_min_u32_e32 v25, v9, v25
	v_cndmask_b32_e64 v7, v9, v7, s4
	v_lshrrev_b32_e32 v9, 16, v13
	v_lshlrev_b32_e32 v13, 16, v4
	v_cmp_gt_u32_e32 vcc_lo, s10, v6
	v_lshlrev_b32_e32 v25, 2, v25
	v_cmp_le_u32_e64 s6, s11, v7
	v_cndmask_b32_e64 v4, v9, v4, s0
	v_cndmask_b32_e64 v9, v3, v9, s0
	v_or_b32_sdwa v11, v13, v11 dst_sel:DWORD dst_unused:UNUSED_PAD src0_sel:DWORD src1_sel:WORD_0
	ds_read_b32 v25, v25
	v_lshlrev_b32_e32 v13, 16, v4
	v_lshlrev_b32_e32 v12, 16, v9
	v_cndmask_b32_e64 v9, v9, v16, s1
	s_waitcnt lgkmcnt(0)
	v_cndmask_b32_e64 v10, v25, v23, s4
	v_cndmask_b32_e64 v26, v24, v25, s4
	v_cmp_ge_i16_e64 s5, v10, v26
	s_and_b32 s5, vcc_lo, s5
	s_or_b32 vcc_lo, s6, s5
	v_cndmask_b32_e32 v3, v7, v6, vcc_lo
	v_cndmask_b32_e32 v8, s11, v8, vcc_lo
	v_add_nc_u32_e32 v27, 1, v3
	v_add_nc_u32_e32 v8, -1, v8
	v_cndmask_b32_e64 v3, v11, v5, s0
	v_or_b32_sdwa v5, v12, v15 dst_sel:DWORD dst_unused:UNUSED_PAD src0_sel:DWORD src1_sel:WORD_0
	v_or_b32_sdwa v11, v13, v14 dst_sel:DWORD dst_unused:UNUSED_PAD src0_sel:DWORD src1_sel:WORD_0
	v_cndmask_b32_e64 v12, v16, v4, s1
	v_min_u32_e32 v8, v27, v8
	v_lshrrev_b32_e32 v13, 16, v19
	v_lshrrev_b32_e32 v16, 16, v25
	v_cndmask_b32_e64 v4, v11, v5, s1
	v_lshlrev_b32_e32 v11, 16, v12
	v_lshlrev_b32_e32 v5, 2, v8
	v_lshlrev_b32_e32 v8, 16, v9
	v_cndmask_b32_e64 v12, v13, v12, s2
	v_cndmask_b32_e64 v9, v9, v13, s2
	v_or_b32_sdwa v11, v11, v17 dst_sel:DWORD dst_unused:UNUSED_PAD src0_sel:DWORD src1_sel:WORD_0
	ds_read_b32 v13, v5
	v_lshrrev_b32_e32 v5, 16, v22
	v_or_b32_sdwa v8, v8, v18 dst_sel:DWORD dst_unused:UNUSED_PAD src0_sel:DWORD src1_sel:WORD_0
	v_lshlrev_b32_e32 v14, 16, v9
	v_lshlrev_b32_e32 v15, 16, v12
	v_cndmask_b32_e32 v6, v6, v27, vcc_lo
	v_cndmask_b32_e64 v9, v9, v5, s3
	v_cndmask_b32_e64 v12, v5, v12, s3
	v_or_b32_sdwa v14, v14, v21 dst_sel:DWORD dst_unused:UNUSED_PAD src0_sel:DWORD src1_sel:WORD_0
	v_or_b32_sdwa v15, v15, v20 dst_sel:DWORD dst_unused:UNUSED_PAD src0_sel:DWORD src1_sel:WORD_0
	v_cndmask_b32_e64 v5, v11, v8, s2
	v_cndmask_b32_e64 v11, v9, v16, s4
	;; [unrolled: 1-line block ×3, first 2 shown]
	v_cndmask_b32_e32 v7, v27, v7, vcc_lo
	v_cndmask_b32_e64 v8, v15, v14, s3
	v_lshlrev_b32_e32 v9, 16, v9
	v_lshlrev_b32_e32 v14, 16, v11
	;; [unrolled: 1-line block ×4, first 2 shown]
	v_cmp_gt_u32_e64 s0, s10, v6
	s_waitcnt lgkmcnt(0)
	v_lshrrev_b32_e32 v17, 16, v13
	v_or_b32_sdwa v14, v14, v26 dst_sel:DWORD dst_unused:UNUSED_PAD src0_sel:DWORD src1_sel:WORD_0
	v_or_b32_sdwa v15, v15, v10 dst_sel:DWORD dst_unused:UNUSED_PAD src0_sel:DWORD src1_sel:WORD_0
	v_cndmask_b32_e32 v10, v13, v10, vcc_lo
	v_cndmask_b32_e32 v13, v26, v13, vcc_lo
	;; [unrolled: 1-line block ×4, first 2 shown]
	v_cmp_le_u32_e64 s2, s11, v7
	v_or_b32_sdwa v9, v9, v24 dst_sel:DWORD dst_unused:UNUSED_PAD src0_sel:DWORD src1_sel:WORD_0
	v_cmp_ge_i16_e64 s1, v10, v13
	v_lshlrev_b32_e32 v11, 16, v11
	v_lshlrev_b32_e32 v16, 16, v16
	v_or_b32_sdwa v12, v12, v23 dst_sel:DWORD dst_unused:UNUSED_PAD src0_sel:DWORD src1_sel:WORD_0
	s_and_b32 s0, s0, s1
	v_or_b32_sdwa v6, v11, v13 dst_sel:DWORD dst_unused:UNUSED_PAD src0_sel:DWORD src1_sel:WORD_0
	v_or_b32_sdwa v7, v16, v10 dst_sel:DWORD dst_unused:UNUSED_PAD src0_sel:DWORD src1_sel:WORD_0
	v_cndmask_b32_e32 v10, v15, v14, vcc_lo
	s_or_b32 vcc_lo, s2, s0
	v_cndmask_b32_e64 v9, v12, v9, s4
	v_cndmask_b32_e32 v11, v7, v6, vcc_lo
.LBB622_58:
	s_or_b32 exec_lo, exec_lo, s7
	v_and_b32_e32 v0, 0x3fc, v0
	s_sub_i32 s0, s16, s17
	s_cmpk_gt_u32 s0, 0x1fff
	s_mov_b32 s0, -1
	v_lshl_add_u32 v0, v1, 2, v0
	s_barrier
	buffer_gl0_inv
	ds_write2_b32 v0, v2, v3 offset1:1
	ds_write2_b32 v0, v4, v5 offset0:2 offset1:3
	ds_write2_b32 v0, v8, v9 offset0:4 offset1:5
	;; [unrolled: 1-line block ×3, first 2 shown]
	s_waitcnt lgkmcnt(0)
	s_cbranch_scc1 .LBB622_61
; %bb.59:
	s_andn2_b32 vcc_lo, exec_lo, s0
	s_cbranch_vccz .LBB622_62
.LBB622_60:
	buffer_gl0_inv
	s_endpgm
.LBB622_61:
	s_barrier
	s_cbranch_execnz .LBB622_60
.LBB622_62:
	s_barrier
	buffer_gl0_inv
	s_endpgm
	.section	.rodata,"a",@progbits
	.p2align	6, 0x0
	.amdhsa_kernel _ZN7rocprim17ROCPRIM_400000_NS6detail17trampoline_kernelINS0_14default_configENS1_21merge_config_selectorINS0_5tupleIJssEEENS0_10empty_typeEEEZNS1_10merge_implIS3_NS0_12zip_iteratorINS5_IJN6thrust23THRUST_200600_302600_NS6detail15normal_iteratorINSC_10device_ptrIKsEEEESI_EEEEESK_NSA_INS5_IJNSC_16discard_iteratorINSC_11use_defaultEEESN_EEEEEPS7_SQ_SQ_NSC_11hip_rocprim7__merge17predicate_wrapperIssNSC_4lessIsEEEEEE10hipError_tPvRmT0_T1_T2_T3_T4_T5_mmT6_P12ihipStream_tbEUlT_E0_NS1_11comp_targetILNS1_3genE8ELNS1_11target_archE1030ELNS1_3gpuE2ELNS1_3repE0EEENS1_30default_config_static_selectorELNS0_4arch9wavefront6targetE0EEEvS11_
		.amdhsa_group_segment_fixed_size 33792
		.amdhsa_private_segment_fixed_size 0
		.amdhsa_kernarg_size 128
		.amdhsa_user_sgpr_count 6
		.amdhsa_user_sgpr_private_segment_buffer 1
		.amdhsa_user_sgpr_dispatch_ptr 0
		.amdhsa_user_sgpr_queue_ptr 0
		.amdhsa_user_sgpr_kernarg_segment_ptr 1
		.amdhsa_user_sgpr_dispatch_id 0
		.amdhsa_user_sgpr_flat_scratch_init 0
		.amdhsa_user_sgpr_private_segment_size 0
		.amdhsa_wavefront_size32 1
		.amdhsa_uses_dynamic_stack 0
		.amdhsa_system_sgpr_private_segment_wavefront_offset 0
		.amdhsa_system_sgpr_workgroup_id_x 1
		.amdhsa_system_sgpr_workgroup_id_y 0
		.amdhsa_system_sgpr_workgroup_id_z 0
		.amdhsa_system_sgpr_workgroup_info 0
		.amdhsa_system_vgpr_workitem_id 0
		.amdhsa_next_free_vgpr 28
		.amdhsa_next_free_sgpr 24
		.amdhsa_reserve_vcc 1
		.amdhsa_reserve_flat_scratch 0
		.amdhsa_float_round_mode_32 0
		.amdhsa_float_round_mode_16_64 0
		.amdhsa_float_denorm_mode_32 3
		.amdhsa_float_denorm_mode_16_64 3
		.amdhsa_dx10_clamp 1
		.amdhsa_ieee_mode 1
		.amdhsa_fp16_overflow 0
		.amdhsa_workgroup_processor_mode 1
		.amdhsa_memory_ordered 1
		.amdhsa_forward_progress 1
		.amdhsa_shared_vgpr_count 0
		.amdhsa_exception_fp_ieee_invalid_op 0
		.amdhsa_exception_fp_denorm_src 0
		.amdhsa_exception_fp_ieee_div_zero 0
		.amdhsa_exception_fp_ieee_overflow 0
		.amdhsa_exception_fp_ieee_underflow 0
		.amdhsa_exception_fp_ieee_inexact 0
		.amdhsa_exception_int_div_zero 0
	.end_amdhsa_kernel
	.section	.text._ZN7rocprim17ROCPRIM_400000_NS6detail17trampoline_kernelINS0_14default_configENS1_21merge_config_selectorINS0_5tupleIJssEEENS0_10empty_typeEEEZNS1_10merge_implIS3_NS0_12zip_iteratorINS5_IJN6thrust23THRUST_200600_302600_NS6detail15normal_iteratorINSC_10device_ptrIKsEEEESI_EEEEESK_NSA_INS5_IJNSC_16discard_iteratorINSC_11use_defaultEEESN_EEEEEPS7_SQ_SQ_NSC_11hip_rocprim7__merge17predicate_wrapperIssNSC_4lessIsEEEEEE10hipError_tPvRmT0_T1_T2_T3_T4_T5_mmT6_P12ihipStream_tbEUlT_E0_NS1_11comp_targetILNS1_3genE8ELNS1_11target_archE1030ELNS1_3gpuE2ELNS1_3repE0EEENS1_30default_config_static_selectorELNS0_4arch9wavefront6targetE0EEEvS11_,"axG",@progbits,_ZN7rocprim17ROCPRIM_400000_NS6detail17trampoline_kernelINS0_14default_configENS1_21merge_config_selectorINS0_5tupleIJssEEENS0_10empty_typeEEEZNS1_10merge_implIS3_NS0_12zip_iteratorINS5_IJN6thrust23THRUST_200600_302600_NS6detail15normal_iteratorINSC_10device_ptrIKsEEEESI_EEEEESK_NSA_INS5_IJNSC_16discard_iteratorINSC_11use_defaultEEESN_EEEEEPS7_SQ_SQ_NSC_11hip_rocprim7__merge17predicate_wrapperIssNSC_4lessIsEEEEEE10hipError_tPvRmT0_T1_T2_T3_T4_T5_mmT6_P12ihipStream_tbEUlT_E0_NS1_11comp_targetILNS1_3genE8ELNS1_11target_archE1030ELNS1_3gpuE2ELNS1_3repE0EEENS1_30default_config_static_selectorELNS0_4arch9wavefront6targetE0EEEvS11_,comdat
.Lfunc_end622:
	.size	_ZN7rocprim17ROCPRIM_400000_NS6detail17trampoline_kernelINS0_14default_configENS1_21merge_config_selectorINS0_5tupleIJssEEENS0_10empty_typeEEEZNS1_10merge_implIS3_NS0_12zip_iteratorINS5_IJN6thrust23THRUST_200600_302600_NS6detail15normal_iteratorINSC_10device_ptrIKsEEEESI_EEEEESK_NSA_INS5_IJNSC_16discard_iteratorINSC_11use_defaultEEESN_EEEEEPS7_SQ_SQ_NSC_11hip_rocprim7__merge17predicate_wrapperIssNSC_4lessIsEEEEEE10hipError_tPvRmT0_T1_T2_T3_T4_T5_mmT6_P12ihipStream_tbEUlT_E0_NS1_11comp_targetILNS1_3genE8ELNS1_11target_archE1030ELNS1_3gpuE2ELNS1_3repE0EEENS1_30default_config_static_selectorELNS0_4arch9wavefront6targetE0EEEvS11_, .Lfunc_end622-_ZN7rocprim17ROCPRIM_400000_NS6detail17trampoline_kernelINS0_14default_configENS1_21merge_config_selectorINS0_5tupleIJssEEENS0_10empty_typeEEEZNS1_10merge_implIS3_NS0_12zip_iteratorINS5_IJN6thrust23THRUST_200600_302600_NS6detail15normal_iteratorINSC_10device_ptrIKsEEEESI_EEEEESK_NSA_INS5_IJNSC_16discard_iteratorINSC_11use_defaultEEESN_EEEEEPS7_SQ_SQ_NSC_11hip_rocprim7__merge17predicate_wrapperIssNSC_4lessIsEEEEEE10hipError_tPvRmT0_T1_T2_T3_T4_T5_mmT6_P12ihipStream_tbEUlT_E0_NS1_11comp_targetILNS1_3genE8ELNS1_11target_archE1030ELNS1_3gpuE2ELNS1_3repE0EEENS1_30default_config_static_selectorELNS0_4arch9wavefront6targetE0EEEvS11_
                                        ; -- End function
	.set _ZN7rocprim17ROCPRIM_400000_NS6detail17trampoline_kernelINS0_14default_configENS1_21merge_config_selectorINS0_5tupleIJssEEENS0_10empty_typeEEEZNS1_10merge_implIS3_NS0_12zip_iteratorINS5_IJN6thrust23THRUST_200600_302600_NS6detail15normal_iteratorINSC_10device_ptrIKsEEEESI_EEEEESK_NSA_INS5_IJNSC_16discard_iteratorINSC_11use_defaultEEESN_EEEEEPS7_SQ_SQ_NSC_11hip_rocprim7__merge17predicate_wrapperIssNSC_4lessIsEEEEEE10hipError_tPvRmT0_T1_T2_T3_T4_T5_mmT6_P12ihipStream_tbEUlT_E0_NS1_11comp_targetILNS1_3genE8ELNS1_11target_archE1030ELNS1_3gpuE2ELNS1_3repE0EEENS1_30default_config_static_selectorELNS0_4arch9wavefront6targetE0EEEvS11_.num_vgpr, 28
	.set _ZN7rocprim17ROCPRIM_400000_NS6detail17trampoline_kernelINS0_14default_configENS1_21merge_config_selectorINS0_5tupleIJssEEENS0_10empty_typeEEEZNS1_10merge_implIS3_NS0_12zip_iteratorINS5_IJN6thrust23THRUST_200600_302600_NS6detail15normal_iteratorINSC_10device_ptrIKsEEEESI_EEEEESK_NSA_INS5_IJNSC_16discard_iteratorINSC_11use_defaultEEESN_EEEEEPS7_SQ_SQ_NSC_11hip_rocprim7__merge17predicate_wrapperIssNSC_4lessIsEEEEEE10hipError_tPvRmT0_T1_T2_T3_T4_T5_mmT6_P12ihipStream_tbEUlT_E0_NS1_11comp_targetILNS1_3genE8ELNS1_11target_archE1030ELNS1_3gpuE2ELNS1_3repE0EEENS1_30default_config_static_selectorELNS0_4arch9wavefront6targetE0EEEvS11_.num_agpr, 0
	.set _ZN7rocprim17ROCPRIM_400000_NS6detail17trampoline_kernelINS0_14default_configENS1_21merge_config_selectorINS0_5tupleIJssEEENS0_10empty_typeEEEZNS1_10merge_implIS3_NS0_12zip_iteratorINS5_IJN6thrust23THRUST_200600_302600_NS6detail15normal_iteratorINSC_10device_ptrIKsEEEESI_EEEEESK_NSA_INS5_IJNSC_16discard_iteratorINSC_11use_defaultEEESN_EEEEEPS7_SQ_SQ_NSC_11hip_rocprim7__merge17predicate_wrapperIssNSC_4lessIsEEEEEE10hipError_tPvRmT0_T1_T2_T3_T4_T5_mmT6_P12ihipStream_tbEUlT_E0_NS1_11comp_targetILNS1_3genE8ELNS1_11target_archE1030ELNS1_3gpuE2ELNS1_3repE0EEENS1_30default_config_static_selectorELNS0_4arch9wavefront6targetE0EEEvS11_.numbered_sgpr, 24
	.set _ZN7rocprim17ROCPRIM_400000_NS6detail17trampoline_kernelINS0_14default_configENS1_21merge_config_selectorINS0_5tupleIJssEEENS0_10empty_typeEEEZNS1_10merge_implIS3_NS0_12zip_iteratorINS5_IJN6thrust23THRUST_200600_302600_NS6detail15normal_iteratorINSC_10device_ptrIKsEEEESI_EEEEESK_NSA_INS5_IJNSC_16discard_iteratorINSC_11use_defaultEEESN_EEEEEPS7_SQ_SQ_NSC_11hip_rocprim7__merge17predicate_wrapperIssNSC_4lessIsEEEEEE10hipError_tPvRmT0_T1_T2_T3_T4_T5_mmT6_P12ihipStream_tbEUlT_E0_NS1_11comp_targetILNS1_3genE8ELNS1_11target_archE1030ELNS1_3gpuE2ELNS1_3repE0EEENS1_30default_config_static_selectorELNS0_4arch9wavefront6targetE0EEEvS11_.num_named_barrier, 0
	.set _ZN7rocprim17ROCPRIM_400000_NS6detail17trampoline_kernelINS0_14default_configENS1_21merge_config_selectorINS0_5tupleIJssEEENS0_10empty_typeEEEZNS1_10merge_implIS3_NS0_12zip_iteratorINS5_IJN6thrust23THRUST_200600_302600_NS6detail15normal_iteratorINSC_10device_ptrIKsEEEESI_EEEEESK_NSA_INS5_IJNSC_16discard_iteratorINSC_11use_defaultEEESN_EEEEEPS7_SQ_SQ_NSC_11hip_rocprim7__merge17predicate_wrapperIssNSC_4lessIsEEEEEE10hipError_tPvRmT0_T1_T2_T3_T4_T5_mmT6_P12ihipStream_tbEUlT_E0_NS1_11comp_targetILNS1_3genE8ELNS1_11target_archE1030ELNS1_3gpuE2ELNS1_3repE0EEENS1_30default_config_static_selectorELNS0_4arch9wavefront6targetE0EEEvS11_.private_seg_size, 0
	.set _ZN7rocprim17ROCPRIM_400000_NS6detail17trampoline_kernelINS0_14default_configENS1_21merge_config_selectorINS0_5tupleIJssEEENS0_10empty_typeEEEZNS1_10merge_implIS3_NS0_12zip_iteratorINS5_IJN6thrust23THRUST_200600_302600_NS6detail15normal_iteratorINSC_10device_ptrIKsEEEESI_EEEEESK_NSA_INS5_IJNSC_16discard_iteratorINSC_11use_defaultEEESN_EEEEEPS7_SQ_SQ_NSC_11hip_rocprim7__merge17predicate_wrapperIssNSC_4lessIsEEEEEE10hipError_tPvRmT0_T1_T2_T3_T4_T5_mmT6_P12ihipStream_tbEUlT_E0_NS1_11comp_targetILNS1_3genE8ELNS1_11target_archE1030ELNS1_3gpuE2ELNS1_3repE0EEENS1_30default_config_static_selectorELNS0_4arch9wavefront6targetE0EEEvS11_.uses_vcc, 1
	.set _ZN7rocprim17ROCPRIM_400000_NS6detail17trampoline_kernelINS0_14default_configENS1_21merge_config_selectorINS0_5tupleIJssEEENS0_10empty_typeEEEZNS1_10merge_implIS3_NS0_12zip_iteratorINS5_IJN6thrust23THRUST_200600_302600_NS6detail15normal_iteratorINSC_10device_ptrIKsEEEESI_EEEEESK_NSA_INS5_IJNSC_16discard_iteratorINSC_11use_defaultEEESN_EEEEEPS7_SQ_SQ_NSC_11hip_rocprim7__merge17predicate_wrapperIssNSC_4lessIsEEEEEE10hipError_tPvRmT0_T1_T2_T3_T4_T5_mmT6_P12ihipStream_tbEUlT_E0_NS1_11comp_targetILNS1_3genE8ELNS1_11target_archE1030ELNS1_3gpuE2ELNS1_3repE0EEENS1_30default_config_static_selectorELNS0_4arch9wavefront6targetE0EEEvS11_.uses_flat_scratch, 0
	.set _ZN7rocprim17ROCPRIM_400000_NS6detail17trampoline_kernelINS0_14default_configENS1_21merge_config_selectorINS0_5tupleIJssEEENS0_10empty_typeEEEZNS1_10merge_implIS3_NS0_12zip_iteratorINS5_IJN6thrust23THRUST_200600_302600_NS6detail15normal_iteratorINSC_10device_ptrIKsEEEESI_EEEEESK_NSA_INS5_IJNSC_16discard_iteratorINSC_11use_defaultEEESN_EEEEEPS7_SQ_SQ_NSC_11hip_rocprim7__merge17predicate_wrapperIssNSC_4lessIsEEEEEE10hipError_tPvRmT0_T1_T2_T3_T4_T5_mmT6_P12ihipStream_tbEUlT_E0_NS1_11comp_targetILNS1_3genE8ELNS1_11target_archE1030ELNS1_3gpuE2ELNS1_3repE0EEENS1_30default_config_static_selectorELNS0_4arch9wavefront6targetE0EEEvS11_.has_dyn_sized_stack, 0
	.set _ZN7rocprim17ROCPRIM_400000_NS6detail17trampoline_kernelINS0_14default_configENS1_21merge_config_selectorINS0_5tupleIJssEEENS0_10empty_typeEEEZNS1_10merge_implIS3_NS0_12zip_iteratorINS5_IJN6thrust23THRUST_200600_302600_NS6detail15normal_iteratorINSC_10device_ptrIKsEEEESI_EEEEESK_NSA_INS5_IJNSC_16discard_iteratorINSC_11use_defaultEEESN_EEEEEPS7_SQ_SQ_NSC_11hip_rocprim7__merge17predicate_wrapperIssNSC_4lessIsEEEEEE10hipError_tPvRmT0_T1_T2_T3_T4_T5_mmT6_P12ihipStream_tbEUlT_E0_NS1_11comp_targetILNS1_3genE8ELNS1_11target_archE1030ELNS1_3gpuE2ELNS1_3repE0EEENS1_30default_config_static_selectorELNS0_4arch9wavefront6targetE0EEEvS11_.has_recursion, 0
	.set _ZN7rocprim17ROCPRIM_400000_NS6detail17trampoline_kernelINS0_14default_configENS1_21merge_config_selectorINS0_5tupleIJssEEENS0_10empty_typeEEEZNS1_10merge_implIS3_NS0_12zip_iteratorINS5_IJN6thrust23THRUST_200600_302600_NS6detail15normal_iteratorINSC_10device_ptrIKsEEEESI_EEEEESK_NSA_INS5_IJNSC_16discard_iteratorINSC_11use_defaultEEESN_EEEEEPS7_SQ_SQ_NSC_11hip_rocprim7__merge17predicate_wrapperIssNSC_4lessIsEEEEEE10hipError_tPvRmT0_T1_T2_T3_T4_T5_mmT6_P12ihipStream_tbEUlT_E0_NS1_11comp_targetILNS1_3genE8ELNS1_11target_archE1030ELNS1_3gpuE2ELNS1_3repE0EEENS1_30default_config_static_selectorELNS0_4arch9wavefront6targetE0EEEvS11_.has_indirect_call, 0
	.section	.AMDGPU.csdata,"",@progbits
; Kernel info:
; codeLenInByte = 2880
; TotalNumSgprs: 26
; NumVgprs: 28
; ScratchSize: 0
; MemoryBound: 0
; FloatMode: 240
; IeeeMode: 1
; LDSByteSize: 33792 bytes/workgroup (compile time only)
; SGPRBlocks: 0
; VGPRBlocks: 3
; NumSGPRsForWavesPerEU: 26
; NumVGPRsForWavesPerEU: 28
; Occupancy: 16
; WaveLimiterHint : 1
; COMPUTE_PGM_RSRC2:SCRATCH_EN: 0
; COMPUTE_PGM_RSRC2:USER_SGPR: 6
; COMPUTE_PGM_RSRC2:TRAP_HANDLER: 0
; COMPUTE_PGM_RSRC2:TGID_X_EN: 1
; COMPUTE_PGM_RSRC2:TGID_Y_EN: 0
; COMPUTE_PGM_RSRC2:TGID_Z_EN: 0
; COMPUTE_PGM_RSRC2:TIDIG_COMP_CNT: 0
	.section	.text._Z16MergeByKeyKernelIiEviPT_S1_S1_S1_S1_S1_,"axG",@progbits,_Z16MergeByKeyKernelIiEviPT_S1_S1_S1_S1_S1_,comdat
	.protected	_Z16MergeByKeyKernelIiEviPT_S1_S1_S1_S1_S1_ ; -- Begin function _Z16MergeByKeyKernelIiEviPT_S1_S1_S1_S1_S1_
	.globl	_Z16MergeByKeyKernelIiEviPT_S1_S1_S1_S1_S1_
	.p2align	8
	.type	_Z16MergeByKeyKernelIiEviPT_S1_S1_S1_S1_S1_,@function
_Z16MergeByKeyKernelIiEviPT_S1_S1_S1_S1_S1_: ; @_Z16MergeByKeyKernelIiEviPT_S1_S1_S1_S1_S1_
; %bb.0:
	s_mov_b32 s0, exec_lo
	v_cmpx_eq_u32_e32 0, v0
	s_cbranch_execz .LBB623_16
; %bb.1:
	s_clause 0x2
	s_load_dword s16, s[4:5], 0x0
	s_load_dwordx8 s[8:15], s[4:5], 0x8
	s_load_dwordx4 s[0:3], s[4:5], 0x28
	s_waitcnt lgkmcnt(0)
	s_ashr_i32 s17, s16, 31
	s_lshl_b64 s[4:5], s[16:17], 2
	s_add_u32 s6, s8, s4
	s_addc_u32 s7, s9, s5
	s_add_u32 s4, s10, s4
	s_addc_u32 s5, s11, s5
	s_cmp_eq_u64 s[16:17], 0
	s_cbranch_scc1 .LBB623_9
; %bb.2:
	v_mov_b32_e32 v0, 0
	s_inst_prefetch 0x1
	.p2align	6
.LBB623_3:                              ; =>This Inner Loop Header: Depth=1
	s_clause 0x1
	global_load_dword v1, v0, s[10:11]
	global_load_dword v2, v0, s[8:9]
	s_add_u32 s16, s14, 4
	s_addc_u32 s17, s15, 0
	s_add_u32 s18, s10, 4
	s_addc_u32 s19, s11, 0
	s_waitcnt vmcnt(0)
	v_cmp_lt_i32_e32 vcc_lo, v1, v2
	s_cbranch_vccnz .LBB623_5
; %bb.4:                                ;   in Loop: Header=BB623_3 Depth=1
	s_add_u32 s18, s8, 4
	s_addc_u32 s19, s9, 0
	s_add_u32 s20, s12, 4
	s_addc_u32 s21, s13, 0
	s_mov_b64 s[16:17], s[14:15]
	s_cbranch_execnz .LBB623_6
	s_branch .LBB623_7
	.p2align	6
.LBB623_5:                              ;   in Loop: Header=BB623_3 Depth=1
	s_mov_b64 s[10:11], s[18:19]
                                        ; implicit-def: $sgpr18_sgpr19
                                        ; implicit-def: $sgpr20_sgpr21
	s_branch .LBB623_7
.LBB623_6:                              ;   in Loop: Header=BB623_3 Depth=1
	v_mov_b32_e32 v1, v2
	s_mov_b64 s[14:15], s[12:13]
	s_mov_b64 s[12:13], s[20:21]
	;; [unrolled: 1-line block ×3, first 2 shown]
.LBB623_7:                              ;   in Loop: Header=BB623_3 Depth=1
	global_store_dword v0, v1, s[0:1]
	global_load_dword v1, v0, s[14:15]
	s_add_u32 s0, s0, 4
	s_addc_u32 s1, s1, 0
	s_waitcnt vmcnt(0)
	global_store_dword v0, v1, s[2:3]
	s_add_u32 s2, s2, 4
	s_addc_u32 s3, s3, 0
	s_cmp_lg_u64 s[8:9], s[6:7]
	s_cselect_b32 s14, -1, 0
	s_cmp_lg_u64 s[10:11], s[4:5]
	s_cselect_b32 s15, -1, 0
	s_and_b32 s14, s14, s15
	s_andn2_b32 vcc_lo, exec_lo, s14
	s_cbranch_vccnz .LBB623_10
; %bb.8:                                ;   in Loop: Header=BB623_3 Depth=1
	s_mov_b64 s[14:15], s[16:17]
	s_branch .LBB623_3
.LBB623_9:
	s_mov_b64 s[16:17], s[14:15]
.LBB623_10:
	s_inst_prefetch 0x2
	s_cmp_eq_u64 s[8:9], s[6:7]
	s_cbranch_scc1 .LBB623_13
; %bb.11:
	v_mov_b32_e32 v0, 0
	.p2align	6
.LBB623_12:                             ; =>This Inner Loop Header: Depth=1
	global_load_dword v1, v0, s[8:9]
	s_add_u32 s8, s8, 4
	s_addc_u32 s9, s9, 0
	s_waitcnt vmcnt(0)
	global_store_dword v0, v1, s[0:1]
	global_load_dword v1, v0, s[12:13]
	s_add_u32 s12, s12, 4
	s_addc_u32 s13, s13, 0
	s_add_u32 s0, s0, 4
	s_addc_u32 s1, s1, 0
	s_waitcnt vmcnt(0)
	global_store_dword v0, v1, s[2:3]
	s_add_u32 s2, s2, 4
	s_addc_u32 s3, s3, 0
	s_cmp_eq_u64 s[8:9], s[6:7]
	s_cbranch_scc0 .LBB623_12
.LBB623_13:
	s_cmp_eq_u64 s[10:11], s[4:5]
	s_cbranch_scc1 .LBB623_16
; %bb.14:
	v_mov_b32_e32 v0, 0
	.p2align	6
.LBB623_15:                             ; =>This Inner Loop Header: Depth=1
	global_load_dword v1, v0, s[10:11]
	s_add_u32 s10, s10, 4
	s_addc_u32 s11, s11, 0
	s_waitcnt vmcnt(0)
	global_store_dword v0, v1, s[0:1]
	global_load_dword v1, v0, s[16:17]
	s_add_u32 s16, s16, 4
	s_addc_u32 s17, s17, 0
	s_add_u32 s0, s0, 4
	s_addc_u32 s1, s1, 0
	s_waitcnt vmcnt(0)
	global_store_dword v0, v1, s[2:3]
	s_add_u32 s2, s2, 4
	s_addc_u32 s3, s3, 0
	s_cmp_lg_u64 s[10:11], s[4:5]
	s_cbranch_scc1 .LBB623_15
.LBB623_16:
	s_endpgm
	.section	.rodata,"a",@progbits
	.p2align	6, 0x0
	.amdhsa_kernel _Z16MergeByKeyKernelIiEviPT_S1_S1_S1_S1_S1_
		.amdhsa_group_segment_fixed_size 0
		.amdhsa_private_segment_fixed_size 0
		.amdhsa_kernarg_size 56
		.amdhsa_user_sgpr_count 6
		.amdhsa_user_sgpr_private_segment_buffer 1
		.amdhsa_user_sgpr_dispatch_ptr 0
		.amdhsa_user_sgpr_queue_ptr 0
		.amdhsa_user_sgpr_kernarg_segment_ptr 1
		.amdhsa_user_sgpr_dispatch_id 0
		.amdhsa_user_sgpr_flat_scratch_init 0
		.amdhsa_user_sgpr_private_segment_size 0
		.amdhsa_wavefront_size32 1
		.amdhsa_uses_dynamic_stack 0
		.amdhsa_system_sgpr_private_segment_wavefront_offset 0
		.amdhsa_system_sgpr_workgroup_id_x 1
		.amdhsa_system_sgpr_workgroup_id_y 0
		.amdhsa_system_sgpr_workgroup_id_z 0
		.amdhsa_system_sgpr_workgroup_info 0
		.amdhsa_system_vgpr_workitem_id 0
		.amdhsa_next_free_vgpr 3
		.amdhsa_next_free_sgpr 22
		.amdhsa_reserve_vcc 1
		.amdhsa_reserve_flat_scratch 0
		.amdhsa_float_round_mode_32 0
		.amdhsa_float_round_mode_16_64 0
		.amdhsa_float_denorm_mode_32 3
		.amdhsa_float_denorm_mode_16_64 3
		.amdhsa_dx10_clamp 1
		.amdhsa_ieee_mode 1
		.amdhsa_fp16_overflow 0
		.amdhsa_workgroup_processor_mode 1
		.amdhsa_memory_ordered 1
		.amdhsa_forward_progress 1
		.amdhsa_shared_vgpr_count 0
		.amdhsa_exception_fp_ieee_invalid_op 0
		.amdhsa_exception_fp_denorm_src 0
		.amdhsa_exception_fp_ieee_div_zero 0
		.amdhsa_exception_fp_ieee_overflow 0
		.amdhsa_exception_fp_ieee_underflow 0
		.amdhsa_exception_fp_ieee_inexact 0
		.amdhsa_exception_int_div_zero 0
	.end_amdhsa_kernel
	.section	.text._Z16MergeByKeyKernelIiEviPT_S1_S1_S1_S1_S1_,"axG",@progbits,_Z16MergeByKeyKernelIiEviPT_S1_S1_S1_S1_S1_,comdat
.Lfunc_end623:
	.size	_Z16MergeByKeyKernelIiEviPT_S1_S1_S1_S1_S1_, .Lfunc_end623-_Z16MergeByKeyKernelIiEviPT_S1_S1_S1_S1_S1_
                                        ; -- End function
	.set _Z16MergeByKeyKernelIiEviPT_S1_S1_S1_S1_S1_.num_vgpr, 3
	.set _Z16MergeByKeyKernelIiEviPT_S1_S1_S1_S1_S1_.num_agpr, 0
	.set _Z16MergeByKeyKernelIiEviPT_S1_S1_S1_S1_S1_.numbered_sgpr, 22
	.set _Z16MergeByKeyKernelIiEviPT_S1_S1_S1_S1_S1_.num_named_barrier, 0
	.set _Z16MergeByKeyKernelIiEviPT_S1_S1_S1_S1_S1_.private_seg_size, 0
	.set _Z16MergeByKeyKernelIiEviPT_S1_S1_S1_S1_S1_.uses_vcc, 1
	.set _Z16MergeByKeyKernelIiEviPT_S1_S1_S1_S1_S1_.uses_flat_scratch, 0
	.set _Z16MergeByKeyKernelIiEviPT_S1_S1_S1_S1_S1_.has_dyn_sized_stack, 0
	.set _Z16MergeByKeyKernelIiEviPT_S1_S1_S1_S1_S1_.has_recursion, 0
	.set _Z16MergeByKeyKernelIiEviPT_S1_S1_S1_S1_S1_.has_indirect_call, 0
	.section	.AMDGPU.csdata,"",@progbits
; Kernel info:
; codeLenInByte = 596
; TotalNumSgprs: 24
; NumVgprs: 3
; ScratchSize: 0
; MemoryBound: 0
; FloatMode: 240
; IeeeMode: 1
; LDSByteSize: 0 bytes/workgroup (compile time only)
; SGPRBlocks: 0
; VGPRBlocks: 0
; NumSGPRsForWavesPerEU: 24
; NumVGPRsForWavesPerEU: 3
; Occupancy: 16
; WaveLimiterHint : 0
; COMPUTE_PGM_RSRC2:SCRATCH_EN: 0
; COMPUTE_PGM_RSRC2:USER_SGPR: 6
; COMPUTE_PGM_RSRC2:TRAP_HANDLER: 0
; COMPUTE_PGM_RSRC2:TGID_X_EN: 1
; COMPUTE_PGM_RSRC2:TGID_Y_EN: 0
; COMPUTE_PGM_RSRC2:TGID_Z_EN: 0
; COMPUTE_PGM_RSRC2:TIDIG_COMP_CNT: 0
	.section	.text._ZN7rocprim17ROCPRIM_400000_NS6detail17trampoline_kernelINS0_14default_configENS1_21merge_config_selectorINS0_5tupleIJiiEEENS0_10empty_typeEEEZNS1_10merge_implIS3_NS0_12zip_iteratorINS5_IJN6thrust23THRUST_200600_302600_NS10device_ptrIiEESE_EEEEESG_SG_PS7_SH_SH_NSC_11hip_rocprim7__merge17predicate_wrapperIiiNSC_4lessIiEEEEEE10hipError_tPvRmT0_T1_T2_T3_T4_T5_mmT6_P12ihipStream_tbEUlT_E_NS1_11comp_targetILNS1_3genE0ELNS1_11target_archE4294967295ELNS1_3gpuE0ELNS1_3repE0EEENS1_30default_config_static_selectorELNS0_4arch9wavefront6targetE0EEEvSS_,"axG",@progbits,_ZN7rocprim17ROCPRIM_400000_NS6detail17trampoline_kernelINS0_14default_configENS1_21merge_config_selectorINS0_5tupleIJiiEEENS0_10empty_typeEEEZNS1_10merge_implIS3_NS0_12zip_iteratorINS5_IJN6thrust23THRUST_200600_302600_NS10device_ptrIiEESE_EEEEESG_SG_PS7_SH_SH_NSC_11hip_rocprim7__merge17predicate_wrapperIiiNSC_4lessIiEEEEEE10hipError_tPvRmT0_T1_T2_T3_T4_T5_mmT6_P12ihipStream_tbEUlT_E_NS1_11comp_targetILNS1_3genE0ELNS1_11target_archE4294967295ELNS1_3gpuE0ELNS1_3repE0EEENS1_30default_config_static_selectorELNS0_4arch9wavefront6targetE0EEEvSS_,comdat
	.protected	_ZN7rocprim17ROCPRIM_400000_NS6detail17trampoline_kernelINS0_14default_configENS1_21merge_config_selectorINS0_5tupleIJiiEEENS0_10empty_typeEEEZNS1_10merge_implIS3_NS0_12zip_iteratorINS5_IJN6thrust23THRUST_200600_302600_NS10device_ptrIiEESE_EEEEESG_SG_PS7_SH_SH_NSC_11hip_rocprim7__merge17predicate_wrapperIiiNSC_4lessIiEEEEEE10hipError_tPvRmT0_T1_T2_T3_T4_T5_mmT6_P12ihipStream_tbEUlT_E_NS1_11comp_targetILNS1_3genE0ELNS1_11target_archE4294967295ELNS1_3gpuE0ELNS1_3repE0EEENS1_30default_config_static_selectorELNS0_4arch9wavefront6targetE0EEEvSS_ ; -- Begin function _ZN7rocprim17ROCPRIM_400000_NS6detail17trampoline_kernelINS0_14default_configENS1_21merge_config_selectorINS0_5tupleIJiiEEENS0_10empty_typeEEEZNS1_10merge_implIS3_NS0_12zip_iteratorINS5_IJN6thrust23THRUST_200600_302600_NS10device_ptrIiEESE_EEEEESG_SG_PS7_SH_SH_NSC_11hip_rocprim7__merge17predicate_wrapperIiiNSC_4lessIiEEEEEE10hipError_tPvRmT0_T1_T2_T3_T4_T5_mmT6_P12ihipStream_tbEUlT_E_NS1_11comp_targetILNS1_3genE0ELNS1_11target_archE4294967295ELNS1_3gpuE0ELNS1_3repE0EEENS1_30default_config_static_selectorELNS0_4arch9wavefront6targetE0EEEvSS_
	.globl	_ZN7rocprim17ROCPRIM_400000_NS6detail17trampoline_kernelINS0_14default_configENS1_21merge_config_selectorINS0_5tupleIJiiEEENS0_10empty_typeEEEZNS1_10merge_implIS3_NS0_12zip_iteratorINS5_IJN6thrust23THRUST_200600_302600_NS10device_ptrIiEESE_EEEEESG_SG_PS7_SH_SH_NSC_11hip_rocprim7__merge17predicate_wrapperIiiNSC_4lessIiEEEEEE10hipError_tPvRmT0_T1_T2_T3_T4_T5_mmT6_P12ihipStream_tbEUlT_E_NS1_11comp_targetILNS1_3genE0ELNS1_11target_archE4294967295ELNS1_3gpuE0ELNS1_3repE0EEENS1_30default_config_static_selectorELNS0_4arch9wavefront6targetE0EEEvSS_
	.p2align	8
	.type	_ZN7rocprim17ROCPRIM_400000_NS6detail17trampoline_kernelINS0_14default_configENS1_21merge_config_selectorINS0_5tupleIJiiEEENS0_10empty_typeEEEZNS1_10merge_implIS3_NS0_12zip_iteratorINS5_IJN6thrust23THRUST_200600_302600_NS10device_ptrIiEESE_EEEEESG_SG_PS7_SH_SH_NSC_11hip_rocprim7__merge17predicate_wrapperIiiNSC_4lessIiEEEEEE10hipError_tPvRmT0_T1_T2_T3_T4_T5_mmT6_P12ihipStream_tbEUlT_E_NS1_11comp_targetILNS1_3genE0ELNS1_11target_archE4294967295ELNS1_3gpuE0ELNS1_3repE0EEENS1_30default_config_static_selectorELNS0_4arch9wavefront6targetE0EEEvSS_,@function
_ZN7rocprim17ROCPRIM_400000_NS6detail17trampoline_kernelINS0_14default_configENS1_21merge_config_selectorINS0_5tupleIJiiEEENS0_10empty_typeEEEZNS1_10merge_implIS3_NS0_12zip_iteratorINS5_IJN6thrust23THRUST_200600_302600_NS10device_ptrIiEESE_EEEEESG_SG_PS7_SH_SH_NSC_11hip_rocprim7__merge17predicate_wrapperIiiNSC_4lessIiEEEEEE10hipError_tPvRmT0_T1_T2_T3_T4_T5_mmT6_P12ihipStream_tbEUlT_E_NS1_11comp_targetILNS1_3genE0ELNS1_11target_archE4294967295ELNS1_3gpuE0ELNS1_3repE0EEENS1_30default_config_static_selectorELNS0_4arch9wavefront6targetE0EEEvSS_: ; @_ZN7rocprim17ROCPRIM_400000_NS6detail17trampoline_kernelINS0_14default_configENS1_21merge_config_selectorINS0_5tupleIJiiEEENS0_10empty_typeEEEZNS1_10merge_implIS3_NS0_12zip_iteratorINS5_IJN6thrust23THRUST_200600_302600_NS10device_ptrIiEESE_EEEEESG_SG_PS7_SH_SH_NSC_11hip_rocprim7__merge17predicate_wrapperIiiNSC_4lessIiEEEEEE10hipError_tPvRmT0_T1_T2_T3_T4_T5_mmT6_P12ihipStream_tbEUlT_E_NS1_11comp_targetILNS1_3genE0ELNS1_11target_archE4294967295ELNS1_3gpuE0ELNS1_3repE0EEENS1_30default_config_static_selectorELNS0_4arch9wavefront6targetE0EEEvSS_
; %bb.0:
	.section	.rodata,"a",@progbits
	.p2align	6, 0x0
	.amdhsa_kernel _ZN7rocprim17ROCPRIM_400000_NS6detail17trampoline_kernelINS0_14default_configENS1_21merge_config_selectorINS0_5tupleIJiiEEENS0_10empty_typeEEEZNS1_10merge_implIS3_NS0_12zip_iteratorINS5_IJN6thrust23THRUST_200600_302600_NS10device_ptrIiEESE_EEEEESG_SG_PS7_SH_SH_NSC_11hip_rocprim7__merge17predicate_wrapperIiiNSC_4lessIiEEEEEE10hipError_tPvRmT0_T1_T2_T3_T4_T5_mmT6_P12ihipStream_tbEUlT_E_NS1_11comp_targetILNS1_3genE0ELNS1_11target_archE4294967295ELNS1_3gpuE0ELNS1_3repE0EEENS1_30default_config_static_selectorELNS0_4arch9wavefront6targetE0EEEvSS_
		.amdhsa_group_segment_fixed_size 0
		.amdhsa_private_segment_fixed_size 0
		.amdhsa_kernarg_size 64
		.amdhsa_user_sgpr_count 6
		.amdhsa_user_sgpr_private_segment_buffer 1
		.amdhsa_user_sgpr_dispatch_ptr 0
		.amdhsa_user_sgpr_queue_ptr 0
		.amdhsa_user_sgpr_kernarg_segment_ptr 1
		.amdhsa_user_sgpr_dispatch_id 0
		.amdhsa_user_sgpr_flat_scratch_init 0
		.amdhsa_user_sgpr_private_segment_size 0
		.amdhsa_wavefront_size32 1
		.amdhsa_uses_dynamic_stack 0
		.amdhsa_system_sgpr_private_segment_wavefront_offset 0
		.amdhsa_system_sgpr_workgroup_id_x 1
		.amdhsa_system_sgpr_workgroup_id_y 0
		.amdhsa_system_sgpr_workgroup_id_z 0
		.amdhsa_system_sgpr_workgroup_info 0
		.amdhsa_system_vgpr_workitem_id 0
		.amdhsa_next_free_vgpr 1
		.amdhsa_next_free_sgpr 1
		.amdhsa_reserve_vcc 0
		.amdhsa_reserve_flat_scratch 0
		.amdhsa_float_round_mode_32 0
		.amdhsa_float_round_mode_16_64 0
		.amdhsa_float_denorm_mode_32 3
		.amdhsa_float_denorm_mode_16_64 3
		.amdhsa_dx10_clamp 1
		.amdhsa_ieee_mode 1
		.amdhsa_fp16_overflow 0
		.amdhsa_workgroup_processor_mode 1
		.amdhsa_memory_ordered 1
		.amdhsa_forward_progress 1
		.amdhsa_shared_vgpr_count 0
		.amdhsa_exception_fp_ieee_invalid_op 0
		.amdhsa_exception_fp_denorm_src 0
		.amdhsa_exception_fp_ieee_div_zero 0
		.amdhsa_exception_fp_ieee_overflow 0
		.amdhsa_exception_fp_ieee_underflow 0
		.amdhsa_exception_fp_ieee_inexact 0
		.amdhsa_exception_int_div_zero 0
	.end_amdhsa_kernel
	.section	.text._ZN7rocprim17ROCPRIM_400000_NS6detail17trampoline_kernelINS0_14default_configENS1_21merge_config_selectorINS0_5tupleIJiiEEENS0_10empty_typeEEEZNS1_10merge_implIS3_NS0_12zip_iteratorINS5_IJN6thrust23THRUST_200600_302600_NS10device_ptrIiEESE_EEEEESG_SG_PS7_SH_SH_NSC_11hip_rocprim7__merge17predicate_wrapperIiiNSC_4lessIiEEEEEE10hipError_tPvRmT0_T1_T2_T3_T4_T5_mmT6_P12ihipStream_tbEUlT_E_NS1_11comp_targetILNS1_3genE0ELNS1_11target_archE4294967295ELNS1_3gpuE0ELNS1_3repE0EEENS1_30default_config_static_selectorELNS0_4arch9wavefront6targetE0EEEvSS_,"axG",@progbits,_ZN7rocprim17ROCPRIM_400000_NS6detail17trampoline_kernelINS0_14default_configENS1_21merge_config_selectorINS0_5tupleIJiiEEENS0_10empty_typeEEEZNS1_10merge_implIS3_NS0_12zip_iteratorINS5_IJN6thrust23THRUST_200600_302600_NS10device_ptrIiEESE_EEEEESG_SG_PS7_SH_SH_NSC_11hip_rocprim7__merge17predicate_wrapperIiiNSC_4lessIiEEEEEE10hipError_tPvRmT0_T1_T2_T3_T4_T5_mmT6_P12ihipStream_tbEUlT_E_NS1_11comp_targetILNS1_3genE0ELNS1_11target_archE4294967295ELNS1_3gpuE0ELNS1_3repE0EEENS1_30default_config_static_selectorELNS0_4arch9wavefront6targetE0EEEvSS_,comdat
.Lfunc_end624:
	.size	_ZN7rocprim17ROCPRIM_400000_NS6detail17trampoline_kernelINS0_14default_configENS1_21merge_config_selectorINS0_5tupleIJiiEEENS0_10empty_typeEEEZNS1_10merge_implIS3_NS0_12zip_iteratorINS5_IJN6thrust23THRUST_200600_302600_NS10device_ptrIiEESE_EEEEESG_SG_PS7_SH_SH_NSC_11hip_rocprim7__merge17predicate_wrapperIiiNSC_4lessIiEEEEEE10hipError_tPvRmT0_T1_T2_T3_T4_T5_mmT6_P12ihipStream_tbEUlT_E_NS1_11comp_targetILNS1_3genE0ELNS1_11target_archE4294967295ELNS1_3gpuE0ELNS1_3repE0EEENS1_30default_config_static_selectorELNS0_4arch9wavefront6targetE0EEEvSS_, .Lfunc_end624-_ZN7rocprim17ROCPRIM_400000_NS6detail17trampoline_kernelINS0_14default_configENS1_21merge_config_selectorINS0_5tupleIJiiEEENS0_10empty_typeEEEZNS1_10merge_implIS3_NS0_12zip_iteratorINS5_IJN6thrust23THRUST_200600_302600_NS10device_ptrIiEESE_EEEEESG_SG_PS7_SH_SH_NSC_11hip_rocprim7__merge17predicate_wrapperIiiNSC_4lessIiEEEEEE10hipError_tPvRmT0_T1_T2_T3_T4_T5_mmT6_P12ihipStream_tbEUlT_E_NS1_11comp_targetILNS1_3genE0ELNS1_11target_archE4294967295ELNS1_3gpuE0ELNS1_3repE0EEENS1_30default_config_static_selectorELNS0_4arch9wavefront6targetE0EEEvSS_
                                        ; -- End function
	.set _ZN7rocprim17ROCPRIM_400000_NS6detail17trampoline_kernelINS0_14default_configENS1_21merge_config_selectorINS0_5tupleIJiiEEENS0_10empty_typeEEEZNS1_10merge_implIS3_NS0_12zip_iteratorINS5_IJN6thrust23THRUST_200600_302600_NS10device_ptrIiEESE_EEEEESG_SG_PS7_SH_SH_NSC_11hip_rocprim7__merge17predicate_wrapperIiiNSC_4lessIiEEEEEE10hipError_tPvRmT0_T1_T2_T3_T4_T5_mmT6_P12ihipStream_tbEUlT_E_NS1_11comp_targetILNS1_3genE0ELNS1_11target_archE4294967295ELNS1_3gpuE0ELNS1_3repE0EEENS1_30default_config_static_selectorELNS0_4arch9wavefront6targetE0EEEvSS_.num_vgpr, 0
	.set _ZN7rocprim17ROCPRIM_400000_NS6detail17trampoline_kernelINS0_14default_configENS1_21merge_config_selectorINS0_5tupleIJiiEEENS0_10empty_typeEEEZNS1_10merge_implIS3_NS0_12zip_iteratorINS5_IJN6thrust23THRUST_200600_302600_NS10device_ptrIiEESE_EEEEESG_SG_PS7_SH_SH_NSC_11hip_rocprim7__merge17predicate_wrapperIiiNSC_4lessIiEEEEEE10hipError_tPvRmT0_T1_T2_T3_T4_T5_mmT6_P12ihipStream_tbEUlT_E_NS1_11comp_targetILNS1_3genE0ELNS1_11target_archE4294967295ELNS1_3gpuE0ELNS1_3repE0EEENS1_30default_config_static_selectorELNS0_4arch9wavefront6targetE0EEEvSS_.num_agpr, 0
	.set _ZN7rocprim17ROCPRIM_400000_NS6detail17trampoline_kernelINS0_14default_configENS1_21merge_config_selectorINS0_5tupleIJiiEEENS0_10empty_typeEEEZNS1_10merge_implIS3_NS0_12zip_iteratorINS5_IJN6thrust23THRUST_200600_302600_NS10device_ptrIiEESE_EEEEESG_SG_PS7_SH_SH_NSC_11hip_rocprim7__merge17predicate_wrapperIiiNSC_4lessIiEEEEEE10hipError_tPvRmT0_T1_T2_T3_T4_T5_mmT6_P12ihipStream_tbEUlT_E_NS1_11comp_targetILNS1_3genE0ELNS1_11target_archE4294967295ELNS1_3gpuE0ELNS1_3repE0EEENS1_30default_config_static_selectorELNS0_4arch9wavefront6targetE0EEEvSS_.numbered_sgpr, 0
	.set _ZN7rocprim17ROCPRIM_400000_NS6detail17trampoline_kernelINS0_14default_configENS1_21merge_config_selectorINS0_5tupleIJiiEEENS0_10empty_typeEEEZNS1_10merge_implIS3_NS0_12zip_iteratorINS5_IJN6thrust23THRUST_200600_302600_NS10device_ptrIiEESE_EEEEESG_SG_PS7_SH_SH_NSC_11hip_rocprim7__merge17predicate_wrapperIiiNSC_4lessIiEEEEEE10hipError_tPvRmT0_T1_T2_T3_T4_T5_mmT6_P12ihipStream_tbEUlT_E_NS1_11comp_targetILNS1_3genE0ELNS1_11target_archE4294967295ELNS1_3gpuE0ELNS1_3repE0EEENS1_30default_config_static_selectorELNS0_4arch9wavefront6targetE0EEEvSS_.num_named_barrier, 0
	.set _ZN7rocprim17ROCPRIM_400000_NS6detail17trampoline_kernelINS0_14default_configENS1_21merge_config_selectorINS0_5tupleIJiiEEENS0_10empty_typeEEEZNS1_10merge_implIS3_NS0_12zip_iteratorINS5_IJN6thrust23THRUST_200600_302600_NS10device_ptrIiEESE_EEEEESG_SG_PS7_SH_SH_NSC_11hip_rocprim7__merge17predicate_wrapperIiiNSC_4lessIiEEEEEE10hipError_tPvRmT0_T1_T2_T3_T4_T5_mmT6_P12ihipStream_tbEUlT_E_NS1_11comp_targetILNS1_3genE0ELNS1_11target_archE4294967295ELNS1_3gpuE0ELNS1_3repE0EEENS1_30default_config_static_selectorELNS0_4arch9wavefront6targetE0EEEvSS_.private_seg_size, 0
	.set _ZN7rocprim17ROCPRIM_400000_NS6detail17trampoline_kernelINS0_14default_configENS1_21merge_config_selectorINS0_5tupleIJiiEEENS0_10empty_typeEEEZNS1_10merge_implIS3_NS0_12zip_iteratorINS5_IJN6thrust23THRUST_200600_302600_NS10device_ptrIiEESE_EEEEESG_SG_PS7_SH_SH_NSC_11hip_rocprim7__merge17predicate_wrapperIiiNSC_4lessIiEEEEEE10hipError_tPvRmT0_T1_T2_T3_T4_T5_mmT6_P12ihipStream_tbEUlT_E_NS1_11comp_targetILNS1_3genE0ELNS1_11target_archE4294967295ELNS1_3gpuE0ELNS1_3repE0EEENS1_30default_config_static_selectorELNS0_4arch9wavefront6targetE0EEEvSS_.uses_vcc, 0
	.set _ZN7rocprim17ROCPRIM_400000_NS6detail17trampoline_kernelINS0_14default_configENS1_21merge_config_selectorINS0_5tupleIJiiEEENS0_10empty_typeEEEZNS1_10merge_implIS3_NS0_12zip_iteratorINS5_IJN6thrust23THRUST_200600_302600_NS10device_ptrIiEESE_EEEEESG_SG_PS7_SH_SH_NSC_11hip_rocprim7__merge17predicate_wrapperIiiNSC_4lessIiEEEEEE10hipError_tPvRmT0_T1_T2_T3_T4_T5_mmT6_P12ihipStream_tbEUlT_E_NS1_11comp_targetILNS1_3genE0ELNS1_11target_archE4294967295ELNS1_3gpuE0ELNS1_3repE0EEENS1_30default_config_static_selectorELNS0_4arch9wavefront6targetE0EEEvSS_.uses_flat_scratch, 0
	.set _ZN7rocprim17ROCPRIM_400000_NS6detail17trampoline_kernelINS0_14default_configENS1_21merge_config_selectorINS0_5tupleIJiiEEENS0_10empty_typeEEEZNS1_10merge_implIS3_NS0_12zip_iteratorINS5_IJN6thrust23THRUST_200600_302600_NS10device_ptrIiEESE_EEEEESG_SG_PS7_SH_SH_NSC_11hip_rocprim7__merge17predicate_wrapperIiiNSC_4lessIiEEEEEE10hipError_tPvRmT0_T1_T2_T3_T4_T5_mmT6_P12ihipStream_tbEUlT_E_NS1_11comp_targetILNS1_3genE0ELNS1_11target_archE4294967295ELNS1_3gpuE0ELNS1_3repE0EEENS1_30default_config_static_selectorELNS0_4arch9wavefront6targetE0EEEvSS_.has_dyn_sized_stack, 0
	.set _ZN7rocprim17ROCPRIM_400000_NS6detail17trampoline_kernelINS0_14default_configENS1_21merge_config_selectorINS0_5tupleIJiiEEENS0_10empty_typeEEEZNS1_10merge_implIS3_NS0_12zip_iteratorINS5_IJN6thrust23THRUST_200600_302600_NS10device_ptrIiEESE_EEEEESG_SG_PS7_SH_SH_NSC_11hip_rocprim7__merge17predicate_wrapperIiiNSC_4lessIiEEEEEE10hipError_tPvRmT0_T1_T2_T3_T4_T5_mmT6_P12ihipStream_tbEUlT_E_NS1_11comp_targetILNS1_3genE0ELNS1_11target_archE4294967295ELNS1_3gpuE0ELNS1_3repE0EEENS1_30default_config_static_selectorELNS0_4arch9wavefront6targetE0EEEvSS_.has_recursion, 0
	.set _ZN7rocprim17ROCPRIM_400000_NS6detail17trampoline_kernelINS0_14default_configENS1_21merge_config_selectorINS0_5tupleIJiiEEENS0_10empty_typeEEEZNS1_10merge_implIS3_NS0_12zip_iteratorINS5_IJN6thrust23THRUST_200600_302600_NS10device_ptrIiEESE_EEEEESG_SG_PS7_SH_SH_NSC_11hip_rocprim7__merge17predicate_wrapperIiiNSC_4lessIiEEEEEE10hipError_tPvRmT0_T1_T2_T3_T4_T5_mmT6_P12ihipStream_tbEUlT_E_NS1_11comp_targetILNS1_3genE0ELNS1_11target_archE4294967295ELNS1_3gpuE0ELNS1_3repE0EEENS1_30default_config_static_selectorELNS0_4arch9wavefront6targetE0EEEvSS_.has_indirect_call, 0
	.section	.AMDGPU.csdata,"",@progbits
; Kernel info:
; codeLenInByte = 0
; TotalNumSgprs: 0
; NumVgprs: 0
; ScratchSize: 0
; MemoryBound: 0
; FloatMode: 240
; IeeeMode: 1
; LDSByteSize: 0 bytes/workgroup (compile time only)
; SGPRBlocks: 0
; VGPRBlocks: 0
; NumSGPRsForWavesPerEU: 1
; NumVGPRsForWavesPerEU: 1
; Occupancy: 16
; WaveLimiterHint : 0
; COMPUTE_PGM_RSRC2:SCRATCH_EN: 0
; COMPUTE_PGM_RSRC2:USER_SGPR: 6
; COMPUTE_PGM_RSRC2:TRAP_HANDLER: 0
; COMPUTE_PGM_RSRC2:TGID_X_EN: 1
; COMPUTE_PGM_RSRC2:TGID_Y_EN: 0
; COMPUTE_PGM_RSRC2:TGID_Z_EN: 0
; COMPUTE_PGM_RSRC2:TIDIG_COMP_CNT: 0
	.section	.text._ZN7rocprim17ROCPRIM_400000_NS6detail17trampoline_kernelINS0_14default_configENS1_21merge_config_selectorINS0_5tupleIJiiEEENS0_10empty_typeEEEZNS1_10merge_implIS3_NS0_12zip_iteratorINS5_IJN6thrust23THRUST_200600_302600_NS10device_ptrIiEESE_EEEEESG_SG_PS7_SH_SH_NSC_11hip_rocprim7__merge17predicate_wrapperIiiNSC_4lessIiEEEEEE10hipError_tPvRmT0_T1_T2_T3_T4_T5_mmT6_P12ihipStream_tbEUlT_E_NS1_11comp_targetILNS1_3genE5ELNS1_11target_archE942ELNS1_3gpuE9ELNS1_3repE0EEENS1_30default_config_static_selectorELNS0_4arch9wavefront6targetE0EEEvSS_,"axG",@progbits,_ZN7rocprim17ROCPRIM_400000_NS6detail17trampoline_kernelINS0_14default_configENS1_21merge_config_selectorINS0_5tupleIJiiEEENS0_10empty_typeEEEZNS1_10merge_implIS3_NS0_12zip_iteratorINS5_IJN6thrust23THRUST_200600_302600_NS10device_ptrIiEESE_EEEEESG_SG_PS7_SH_SH_NSC_11hip_rocprim7__merge17predicate_wrapperIiiNSC_4lessIiEEEEEE10hipError_tPvRmT0_T1_T2_T3_T4_T5_mmT6_P12ihipStream_tbEUlT_E_NS1_11comp_targetILNS1_3genE5ELNS1_11target_archE942ELNS1_3gpuE9ELNS1_3repE0EEENS1_30default_config_static_selectorELNS0_4arch9wavefront6targetE0EEEvSS_,comdat
	.protected	_ZN7rocprim17ROCPRIM_400000_NS6detail17trampoline_kernelINS0_14default_configENS1_21merge_config_selectorINS0_5tupleIJiiEEENS0_10empty_typeEEEZNS1_10merge_implIS3_NS0_12zip_iteratorINS5_IJN6thrust23THRUST_200600_302600_NS10device_ptrIiEESE_EEEEESG_SG_PS7_SH_SH_NSC_11hip_rocprim7__merge17predicate_wrapperIiiNSC_4lessIiEEEEEE10hipError_tPvRmT0_T1_T2_T3_T4_T5_mmT6_P12ihipStream_tbEUlT_E_NS1_11comp_targetILNS1_3genE5ELNS1_11target_archE942ELNS1_3gpuE9ELNS1_3repE0EEENS1_30default_config_static_selectorELNS0_4arch9wavefront6targetE0EEEvSS_ ; -- Begin function _ZN7rocprim17ROCPRIM_400000_NS6detail17trampoline_kernelINS0_14default_configENS1_21merge_config_selectorINS0_5tupleIJiiEEENS0_10empty_typeEEEZNS1_10merge_implIS3_NS0_12zip_iteratorINS5_IJN6thrust23THRUST_200600_302600_NS10device_ptrIiEESE_EEEEESG_SG_PS7_SH_SH_NSC_11hip_rocprim7__merge17predicate_wrapperIiiNSC_4lessIiEEEEEE10hipError_tPvRmT0_T1_T2_T3_T4_T5_mmT6_P12ihipStream_tbEUlT_E_NS1_11comp_targetILNS1_3genE5ELNS1_11target_archE942ELNS1_3gpuE9ELNS1_3repE0EEENS1_30default_config_static_selectorELNS0_4arch9wavefront6targetE0EEEvSS_
	.globl	_ZN7rocprim17ROCPRIM_400000_NS6detail17trampoline_kernelINS0_14default_configENS1_21merge_config_selectorINS0_5tupleIJiiEEENS0_10empty_typeEEEZNS1_10merge_implIS3_NS0_12zip_iteratorINS5_IJN6thrust23THRUST_200600_302600_NS10device_ptrIiEESE_EEEEESG_SG_PS7_SH_SH_NSC_11hip_rocprim7__merge17predicate_wrapperIiiNSC_4lessIiEEEEEE10hipError_tPvRmT0_T1_T2_T3_T4_T5_mmT6_P12ihipStream_tbEUlT_E_NS1_11comp_targetILNS1_3genE5ELNS1_11target_archE942ELNS1_3gpuE9ELNS1_3repE0EEENS1_30default_config_static_selectorELNS0_4arch9wavefront6targetE0EEEvSS_
	.p2align	8
	.type	_ZN7rocprim17ROCPRIM_400000_NS6detail17trampoline_kernelINS0_14default_configENS1_21merge_config_selectorINS0_5tupleIJiiEEENS0_10empty_typeEEEZNS1_10merge_implIS3_NS0_12zip_iteratorINS5_IJN6thrust23THRUST_200600_302600_NS10device_ptrIiEESE_EEEEESG_SG_PS7_SH_SH_NSC_11hip_rocprim7__merge17predicate_wrapperIiiNSC_4lessIiEEEEEE10hipError_tPvRmT0_T1_T2_T3_T4_T5_mmT6_P12ihipStream_tbEUlT_E_NS1_11comp_targetILNS1_3genE5ELNS1_11target_archE942ELNS1_3gpuE9ELNS1_3repE0EEENS1_30default_config_static_selectorELNS0_4arch9wavefront6targetE0EEEvSS_,@function
_ZN7rocprim17ROCPRIM_400000_NS6detail17trampoline_kernelINS0_14default_configENS1_21merge_config_selectorINS0_5tupleIJiiEEENS0_10empty_typeEEEZNS1_10merge_implIS3_NS0_12zip_iteratorINS5_IJN6thrust23THRUST_200600_302600_NS10device_ptrIiEESE_EEEEESG_SG_PS7_SH_SH_NSC_11hip_rocprim7__merge17predicate_wrapperIiiNSC_4lessIiEEEEEE10hipError_tPvRmT0_T1_T2_T3_T4_T5_mmT6_P12ihipStream_tbEUlT_E_NS1_11comp_targetILNS1_3genE5ELNS1_11target_archE942ELNS1_3gpuE9ELNS1_3repE0EEENS1_30default_config_static_selectorELNS0_4arch9wavefront6targetE0EEEvSS_: ; @_ZN7rocprim17ROCPRIM_400000_NS6detail17trampoline_kernelINS0_14default_configENS1_21merge_config_selectorINS0_5tupleIJiiEEENS0_10empty_typeEEEZNS1_10merge_implIS3_NS0_12zip_iteratorINS5_IJN6thrust23THRUST_200600_302600_NS10device_ptrIiEESE_EEEEESG_SG_PS7_SH_SH_NSC_11hip_rocprim7__merge17predicate_wrapperIiiNSC_4lessIiEEEEEE10hipError_tPvRmT0_T1_T2_T3_T4_T5_mmT6_P12ihipStream_tbEUlT_E_NS1_11comp_targetILNS1_3genE5ELNS1_11target_archE942ELNS1_3gpuE9ELNS1_3repE0EEENS1_30default_config_static_selectorELNS0_4arch9wavefront6targetE0EEEvSS_
; %bb.0:
	.section	.rodata,"a",@progbits
	.p2align	6, 0x0
	.amdhsa_kernel _ZN7rocprim17ROCPRIM_400000_NS6detail17trampoline_kernelINS0_14default_configENS1_21merge_config_selectorINS0_5tupleIJiiEEENS0_10empty_typeEEEZNS1_10merge_implIS3_NS0_12zip_iteratorINS5_IJN6thrust23THRUST_200600_302600_NS10device_ptrIiEESE_EEEEESG_SG_PS7_SH_SH_NSC_11hip_rocprim7__merge17predicate_wrapperIiiNSC_4lessIiEEEEEE10hipError_tPvRmT0_T1_T2_T3_T4_T5_mmT6_P12ihipStream_tbEUlT_E_NS1_11comp_targetILNS1_3genE5ELNS1_11target_archE942ELNS1_3gpuE9ELNS1_3repE0EEENS1_30default_config_static_selectorELNS0_4arch9wavefront6targetE0EEEvSS_
		.amdhsa_group_segment_fixed_size 0
		.amdhsa_private_segment_fixed_size 0
		.amdhsa_kernarg_size 64
		.amdhsa_user_sgpr_count 6
		.amdhsa_user_sgpr_private_segment_buffer 1
		.amdhsa_user_sgpr_dispatch_ptr 0
		.amdhsa_user_sgpr_queue_ptr 0
		.amdhsa_user_sgpr_kernarg_segment_ptr 1
		.amdhsa_user_sgpr_dispatch_id 0
		.amdhsa_user_sgpr_flat_scratch_init 0
		.amdhsa_user_sgpr_private_segment_size 0
		.amdhsa_wavefront_size32 1
		.amdhsa_uses_dynamic_stack 0
		.amdhsa_system_sgpr_private_segment_wavefront_offset 0
		.amdhsa_system_sgpr_workgroup_id_x 1
		.amdhsa_system_sgpr_workgroup_id_y 0
		.amdhsa_system_sgpr_workgroup_id_z 0
		.amdhsa_system_sgpr_workgroup_info 0
		.amdhsa_system_vgpr_workitem_id 0
		.amdhsa_next_free_vgpr 1
		.amdhsa_next_free_sgpr 1
		.amdhsa_reserve_vcc 0
		.amdhsa_reserve_flat_scratch 0
		.amdhsa_float_round_mode_32 0
		.amdhsa_float_round_mode_16_64 0
		.amdhsa_float_denorm_mode_32 3
		.amdhsa_float_denorm_mode_16_64 3
		.amdhsa_dx10_clamp 1
		.amdhsa_ieee_mode 1
		.amdhsa_fp16_overflow 0
		.amdhsa_workgroup_processor_mode 1
		.amdhsa_memory_ordered 1
		.amdhsa_forward_progress 1
		.amdhsa_shared_vgpr_count 0
		.amdhsa_exception_fp_ieee_invalid_op 0
		.amdhsa_exception_fp_denorm_src 0
		.amdhsa_exception_fp_ieee_div_zero 0
		.amdhsa_exception_fp_ieee_overflow 0
		.amdhsa_exception_fp_ieee_underflow 0
		.amdhsa_exception_fp_ieee_inexact 0
		.amdhsa_exception_int_div_zero 0
	.end_amdhsa_kernel
	.section	.text._ZN7rocprim17ROCPRIM_400000_NS6detail17trampoline_kernelINS0_14default_configENS1_21merge_config_selectorINS0_5tupleIJiiEEENS0_10empty_typeEEEZNS1_10merge_implIS3_NS0_12zip_iteratorINS5_IJN6thrust23THRUST_200600_302600_NS10device_ptrIiEESE_EEEEESG_SG_PS7_SH_SH_NSC_11hip_rocprim7__merge17predicate_wrapperIiiNSC_4lessIiEEEEEE10hipError_tPvRmT0_T1_T2_T3_T4_T5_mmT6_P12ihipStream_tbEUlT_E_NS1_11comp_targetILNS1_3genE5ELNS1_11target_archE942ELNS1_3gpuE9ELNS1_3repE0EEENS1_30default_config_static_selectorELNS0_4arch9wavefront6targetE0EEEvSS_,"axG",@progbits,_ZN7rocprim17ROCPRIM_400000_NS6detail17trampoline_kernelINS0_14default_configENS1_21merge_config_selectorINS0_5tupleIJiiEEENS0_10empty_typeEEEZNS1_10merge_implIS3_NS0_12zip_iteratorINS5_IJN6thrust23THRUST_200600_302600_NS10device_ptrIiEESE_EEEEESG_SG_PS7_SH_SH_NSC_11hip_rocprim7__merge17predicate_wrapperIiiNSC_4lessIiEEEEEE10hipError_tPvRmT0_T1_T2_T3_T4_T5_mmT6_P12ihipStream_tbEUlT_E_NS1_11comp_targetILNS1_3genE5ELNS1_11target_archE942ELNS1_3gpuE9ELNS1_3repE0EEENS1_30default_config_static_selectorELNS0_4arch9wavefront6targetE0EEEvSS_,comdat
.Lfunc_end625:
	.size	_ZN7rocprim17ROCPRIM_400000_NS6detail17trampoline_kernelINS0_14default_configENS1_21merge_config_selectorINS0_5tupleIJiiEEENS0_10empty_typeEEEZNS1_10merge_implIS3_NS0_12zip_iteratorINS5_IJN6thrust23THRUST_200600_302600_NS10device_ptrIiEESE_EEEEESG_SG_PS7_SH_SH_NSC_11hip_rocprim7__merge17predicate_wrapperIiiNSC_4lessIiEEEEEE10hipError_tPvRmT0_T1_T2_T3_T4_T5_mmT6_P12ihipStream_tbEUlT_E_NS1_11comp_targetILNS1_3genE5ELNS1_11target_archE942ELNS1_3gpuE9ELNS1_3repE0EEENS1_30default_config_static_selectorELNS0_4arch9wavefront6targetE0EEEvSS_, .Lfunc_end625-_ZN7rocprim17ROCPRIM_400000_NS6detail17trampoline_kernelINS0_14default_configENS1_21merge_config_selectorINS0_5tupleIJiiEEENS0_10empty_typeEEEZNS1_10merge_implIS3_NS0_12zip_iteratorINS5_IJN6thrust23THRUST_200600_302600_NS10device_ptrIiEESE_EEEEESG_SG_PS7_SH_SH_NSC_11hip_rocprim7__merge17predicate_wrapperIiiNSC_4lessIiEEEEEE10hipError_tPvRmT0_T1_T2_T3_T4_T5_mmT6_P12ihipStream_tbEUlT_E_NS1_11comp_targetILNS1_3genE5ELNS1_11target_archE942ELNS1_3gpuE9ELNS1_3repE0EEENS1_30default_config_static_selectorELNS0_4arch9wavefront6targetE0EEEvSS_
                                        ; -- End function
	.set _ZN7rocprim17ROCPRIM_400000_NS6detail17trampoline_kernelINS0_14default_configENS1_21merge_config_selectorINS0_5tupleIJiiEEENS0_10empty_typeEEEZNS1_10merge_implIS3_NS0_12zip_iteratorINS5_IJN6thrust23THRUST_200600_302600_NS10device_ptrIiEESE_EEEEESG_SG_PS7_SH_SH_NSC_11hip_rocprim7__merge17predicate_wrapperIiiNSC_4lessIiEEEEEE10hipError_tPvRmT0_T1_T2_T3_T4_T5_mmT6_P12ihipStream_tbEUlT_E_NS1_11comp_targetILNS1_3genE5ELNS1_11target_archE942ELNS1_3gpuE9ELNS1_3repE0EEENS1_30default_config_static_selectorELNS0_4arch9wavefront6targetE0EEEvSS_.num_vgpr, 0
	.set _ZN7rocprim17ROCPRIM_400000_NS6detail17trampoline_kernelINS0_14default_configENS1_21merge_config_selectorINS0_5tupleIJiiEEENS0_10empty_typeEEEZNS1_10merge_implIS3_NS0_12zip_iteratorINS5_IJN6thrust23THRUST_200600_302600_NS10device_ptrIiEESE_EEEEESG_SG_PS7_SH_SH_NSC_11hip_rocprim7__merge17predicate_wrapperIiiNSC_4lessIiEEEEEE10hipError_tPvRmT0_T1_T2_T3_T4_T5_mmT6_P12ihipStream_tbEUlT_E_NS1_11comp_targetILNS1_3genE5ELNS1_11target_archE942ELNS1_3gpuE9ELNS1_3repE0EEENS1_30default_config_static_selectorELNS0_4arch9wavefront6targetE0EEEvSS_.num_agpr, 0
	.set _ZN7rocprim17ROCPRIM_400000_NS6detail17trampoline_kernelINS0_14default_configENS1_21merge_config_selectorINS0_5tupleIJiiEEENS0_10empty_typeEEEZNS1_10merge_implIS3_NS0_12zip_iteratorINS5_IJN6thrust23THRUST_200600_302600_NS10device_ptrIiEESE_EEEEESG_SG_PS7_SH_SH_NSC_11hip_rocprim7__merge17predicate_wrapperIiiNSC_4lessIiEEEEEE10hipError_tPvRmT0_T1_T2_T3_T4_T5_mmT6_P12ihipStream_tbEUlT_E_NS1_11comp_targetILNS1_3genE5ELNS1_11target_archE942ELNS1_3gpuE9ELNS1_3repE0EEENS1_30default_config_static_selectorELNS0_4arch9wavefront6targetE0EEEvSS_.numbered_sgpr, 0
	.set _ZN7rocprim17ROCPRIM_400000_NS6detail17trampoline_kernelINS0_14default_configENS1_21merge_config_selectorINS0_5tupleIJiiEEENS0_10empty_typeEEEZNS1_10merge_implIS3_NS0_12zip_iteratorINS5_IJN6thrust23THRUST_200600_302600_NS10device_ptrIiEESE_EEEEESG_SG_PS7_SH_SH_NSC_11hip_rocprim7__merge17predicate_wrapperIiiNSC_4lessIiEEEEEE10hipError_tPvRmT0_T1_T2_T3_T4_T5_mmT6_P12ihipStream_tbEUlT_E_NS1_11comp_targetILNS1_3genE5ELNS1_11target_archE942ELNS1_3gpuE9ELNS1_3repE0EEENS1_30default_config_static_selectorELNS0_4arch9wavefront6targetE0EEEvSS_.num_named_barrier, 0
	.set _ZN7rocprim17ROCPRIM_400000_NS6detail17trampoline_kernelINS0_14default_configENS1_21merge_config_selectorINS0_5tupleIJiiEEENS0_10empty_typeEEEZNS1_10merge_implIS3_NS0_12zip_iteratorINS5_IJN6thrust23THRUST_200600_302600_NS10device_ptrIiEESE_EEEEESG_SG_PS7_SH_SH_NSC_11hip_rocprim7__merge17predicate_wrapperIiiNSC_4lessIiEEEEEE10hipError_tPvRmT0_T1_T2_T3_T4_T5_mmT6_P12ihipStream_tbEUlT_E_NS1_11comp_targetILNS1_3genE5ELNS1_11target_archE942ELNS1_3gpuE9ELNS1_3repE0EEENS1_30default_config_static_selectorELNS0_4arch9wavefront6targetE0EEEvSS_.private_seg_size, 0
	.set _ZN7rocprim17ROCPRIM_400000_NS6detail17trampoline_kernelINS0_14default_configENS1_21merge_config_selectorINS0_5tupleIJiiEEENS0_10empty_typeEEEZNS1_10merge_implIS3_NS0_12zip_iteratorINS5_IJN6thrust23THRUST_200600_302600_NS10device_ptrIiEESE_EEEEESG_SG_PS7_SH_SH_NSC_11hip_rocprim7__merge17predicate_wrapperIiiNSC_4lessIiEEEEEE10hipError_tPvRmT0_T1_T2_T3_T4_T5_mmT6_P12ihipStream_tbEUlT_E_NS1_11comp_targetILNS1_3genE5ELNS1_11target_archE942ELNS1_3gpuE9ELNS1_3repE0EEENS1_30default_config_static_selectorELNS0_4arch9wavefront6targetE0EEEvSS_.uses_vcc, 0
	.set _ZN7rocprim17ROCPRIM_400000_NS6detail17trampoline_kernelINS0_14default_configENS1_21merge_config_selectorINS0_5tupleIJiiEEENS0_10empty_typeEEEZNS1_10merge_implIS3_NS0_12zip_iteratorINS5_IJN6thrust23THRUST_200600_302600_NS10device_ptrIiEESE_EEEEESG_SG_PS7_SH_SH_NSC_11hip_rocprim7__merge17predicate_wrapperIiiNSC_4lessIiEEEEEE10hipError_tPvRmT0_T1_T2_T3_T4_T5_mmT6_P12ihipStream_tbEUlT_E_NS1_11comp_targetILNS1_3genE5ELNS1_11target_archE942ELNS1_3gpuE9ELNS1_3repE0EEENS1_30default_config_static_selectorELNS0_4arch9wavefront6targetE0EEEvSS_.uses_flat_scratch, 0
	.set _ZN7rocprim17ROCPRIM_400000_NS6detail17trampoline_kernelINS0_14default_configENS1_21merge_config_selectorINS0_5tupleIJiiEEENS0_10empty_typeEEEZNS1_10merge_implIS3_NS0_12zip_iteratorINS5_IJN6thrust23THRUST_200600_302600_NS10device_ptrIiEESE_EEEEESG_SG_PS7_SH_SH_NSC_11hip_rocprim7__merge17predicate_wrapperIiiNSC_4lessIiEEEEEE10hipError_tPvRmT0_T1_T2_T3_T4_T5_mmT6_P12ihipStream_tbEUlT_E_NS1_11comp_targetILNS1_3genE5ELNS1_11target_archE942ELNS1_3gpuE9ELNS1_3repE0EEENS1_30default_config_static_selectorELNS0_4arch9wavefront6targetE0EEEvSS_.has_dyn_sized_stack, 0
	.set _ZN7rocprim17ROCPRIM_400000_NS6detail17trampoline_kernelINS0_14default_configENS1_21merge_config_selectorINS0_5tupleIJiiEEENS0_10empty_typeEEEZNS1_10merge_implIS3_NS0_12zip_iteratorINS5_IJN6thrust23THRUST_200600_302600_NS10device_ptrIiEESE_EEEEESG_SG_PS7_SH_SH_NSC_11hip_rocprim7__merge17predicate_wrapperIiiNSC_4lessIiEEEEEE10hipError_tPvRmT0_T1_T2_T3_T4_T5_mmT6_P12ihipStream_tbEUlT_E_NS1_11comp_targetILNS1_3genE5ELNS1_11target_archE942ELNS1_3gpuE9ELNS1_3repE0EEENS1_30default_config_static_selectorELNS0_4arch9wavefront6targetE0EEEvSS_.has_recursion, 0
	.set _ZN7rocprim17ROCPRIM_400000_NS6detail17trampoline_kernelINS0_14default_configENS1_21merge_config_selectorINS0_5tupleIJiiEEENS0_10empty_typeEEEZNS1_10merge_implIS3_NS0_12zip_iteratorINS5_IJN6thrust23THRUST_200600_302600_NS10device_ptrIiEESE_EEEEESG_SG_PS7_SH_SH_NSC_11hip_rocprim7__merge17predicate_wrapperIiiNSC_4lessIiEEEEEE10hipError_tPvRmT0_T1_T2_T3_T4_T5_mmT6_P12ihipStream_tbEUlT_E_NS1_11comp_targetILNS1_3genE5ELNS1_11target_archE942ELNS1_3gpuE9ELNS1_3repE0EEENS1_30default_config_static_selectorELNS0_4arch9wavefront6targetE0EEEvSS_.has_indirect_call, 0
	.section	.AMDGPU.csdata,"",@progbits
; Kernel info:
; codeLenInByte = 0
; TotalNumSgprs: 0
; NumVgprs: 0
; ScratchSize: 0
; MemoryBound: 0
; FloatMode: 240
; IeeeMode: 1
; LDSByteSize: 0 bytes/workgroup (compile time only)
; SGPRBlocks: 0
; VGPRBlocks: 0
; NumSGPRsForWavesPerEU: 1
; NumVGPRsForWavesPerEU: 1
; Occupancy: 16
; WaveLimiterHint : 0
; COMPUTE_PGM_RSRC2:SCRATCH_EN: 0
; COMPUTE_PGM_RSRC2:USER_SGPR: 6
; COMPUTE_PGM_RSRC2:TRAP_HANDLER: 0
; COMPUTE_PGM_RSRC2:TGID_X_EN: 1
; COMPUTE_PGM_RSRC2:TGID_Y_EN: 0
; COMPUTE_PGM_RSRC2:TGID_Z_EN: 0
; COMPUTE_PGM_RSRC2:TIDIG_COMP_CNT: 0
	.section	.text._ZN7rocprim17ROCPRIM_400000_NS6detail17trampoline_kernelINS0_14default_configENS1_21merge_config_selectorINS0_5tupleIJiiEEENS0_10empty_typeEEEZNS1_10merge_implIS3_NS0_12zip_iteratorINS5_IJN6thrust23THRUST_200600_302600_NS10device_ptrIiEESE_EEEEESG_SG_PS7_SH_SH_NSC_11hip_rocprim7__merge17predicate_wrapperIiiNSC_4lessIiEEEEEE10hipError_tPvRmT0_T1_T2_T3_T4_T5_mmT6_P12ihipStream_tbEUlT_E_NS1_11comp_targetILNS1_3genE4ELNS1_11target_archE910ELNS1_3gpuE8ELNS1_3repE0EEENS1_30default_config_static_selectorELNS0_4arch9wavefront6targetE0EEEvSS_,"axG",@progbits,_ZN7rocprim17ROCPRIM_400000_NS6detail17trampoline_kernelINS0_14default_configENS1_21merge_config_selectorINS0_5tupleIJiiEEENS0_10empty_typeEEEZNS1_10merge_implIS3_NS0_12zip_iteratorINS5_IJN6thrust23THRUST_200600_302600_NS10device_ptrIiEESE_EEEEESG_SG_PS7_SH_SH_NSC_11hip_rocprim7__merge17predicate_wrapperIiiNSC_4lessIiEEEEEE10hipError_tPvRmT0_T1_T2_T3_T4_T5_mmT6_P12ihipStream_tbEUlT_E_NS1_11comp_targetILNS1_3genE4ELNS1_11target_archE910ELNS1_3gpuE8ELNS1_3repE0EEENS1_30default_config_static_selectorELNS0_4arch9wavefront6targetE0EEEvSS_,comdat
	.protected	_ZN7rocprim17ROCPRIM_400000_NS6detail17trampoline_kernelINS0_14default_configENS1_21merge_config_selectorINS0_5tupleIJiiEEENS0_10empty_typeEEEZNS1_10merge_implIS3_NS0_12zip_iteratorINS5_IJN6thrust23THRUST_200600_302600_NS10device_ptrIiEESE_EEEEESG_SG_PS7_SH_SH_NSC_11hip_rocprim7__merge17predicate_wrapperIiiNSC_4lessIiEEEEEE10hipError_tPvRmT0_T1_T2_T3_T4_T5_mmT6_P12ihipStream_tbEUlT_E_NS1_11comp_targetILNS1_3genE4ELNS1_11target_archE910ELNS1_3gpuE8ELNS1_3repE0EEENS1_30default_config_static_selectorELNS0_4arch9wavefront6targetE0EEEvSS_ ; -- Begin function _ZN7rocprim17ROCPRIM_400000_NS6detail17trampoline_kernelINS0_14default_configENS1_21merge_config_selectorINS0_5tupleIJiiEEENS0_10empty_typeEEEZNS1_10merge_implIS3_NS0_12zip_iteratorINS5_IJN6thrust23THRUST_200600_302600_NS10device_ptrIiEESE_EEEEESG_SG_PS7_SH_SH_NSC_11hip_rocprim7__merge17predicate_wrapperIiiNSC_4lessIiEEEEEE10hipError_tPvRmT0_T1_T2_T3_T4_T5_mmT6_P12ihipStream_tbEUlT_E_NS1_11comp_targetILNS1_3genE4ELNS1_11target_archE910ELNS1_3gpuE8ELNS1_3repE0EEENS1_30default_config_static_selectorELNS0_4arch9wavefront6targetE0EEEvSS_
	.globl	_ZN7rocprim17ROCPRIM_400000_NS6detail17trampoline_kernelINS0_14default_configENS1_21merge_config_selectorINS0_5tupleIJiiEEENS0_10empty_typeEEEZNS1_10merge_implIS3_NS0_12zip_iteratorINS5_IJN6thrust23THRUST_200600_302600_NS10device_ptrIiEESE_EEEEESG_SG_PS7_SH_SH_NSC_11hip_rocprim7__merge17predicate_wrapperIiiNSC_4lessIiEEEEEE10hipError_tPvRmT0_T1_T2_T3_T4_T5_mmT6_P12ihipStream_tbEUlT_E_NS1_11comp_targetILNS1_3genE4ELNS1_11target_archE910ELNS1_3gpuE8ELNS1_3repE0EEENS1_30default_config_static_selectorELNS0_4arch9wavefront6targetE0EEEvSS_
	.p2align	8
	.type	_ZN7rocprim17ROCPRIM_400000_NS6detail17trampoline_kernelINS0_14default_configENS1_21merge_config_selectorINS0_5tupleIJiiEEENS0_10empty_typeEEEZNS1_10merge_implIS3_NS0_12zip_iteratorINS5_IJN6thrust23THRUST_200600_302600_NS10device_ptrIiEESE_EEEEESG_SG_PS7_SH_SH_NSC_11hip_rocprim7__merge17predicate_wrapperIiiNSC_4lessIiEEEEEE10hipError_tPvRmT0_T1_T2_T3_T4_T5_mmT6_P12ihipStream_tbEUlT_E_NS1_11comp_targetILNS1_3genE4ELNS1_11target_archE910ELNS1_3gpuE8ELNS1_3repE0EEENS1_30default_config_static_selectorELNS0_4arch9wavefront6targetE0EEEvSS_,@function
_ZN7rocprim17ROCPRIM_400000_NS6detail17trampoline_kernelINS0_14default_configENS1_21merge_config_selectorINS0_5tupleIJiiEEENS0_10empty_typeEEEZNS1_10merge_implIS3_NS0_12zip_iteratorINS5_IJN6thrust23THRUST_200600_302600_NS10device_ptrIiEESE_EEEEESG_SG_PS7_SH_SH_NSC_11hip_rocprim7__merge17predicate_wrapperIiiNSC_4lessIiEEEEEE10hipError_tPvRmT0_T1_T2_T3_T4_T5_mmT6_P12ihipStream_tbEUlT_E_NS1_11comp_targetILNS1_3genE4ELNS1_11target_archE910ELNS1_3gpuE8ELNS1_3repE0EEENS1_30default_config_static_selectorELNS0_4arch9wavefront6targetE0EEEvSS_: ; @_ZN7rocprim17ROCPRIM_400000_NS6detail17trampoline_kernelINS0_14default_configENS1_21merge_config_selectorINS0_5tupleIJiiEEENS0_10empty_typeEEEZNS1_10merge_implIS3_NS0_12zip_iteratorINS5_IJN6thrust23THRUST_200600_302600_NS10device_ptrIiEESE_EEEEESG_SG_PS7_SH_SH_NSC_11hip_rocprim7__merge17predicate_wrapperIiiNSC_4lessIiEEEEEE10hipError_tPvRmT0_T1_T2_T3_T4_T5_mmT6_P12ihipStream_tbEUlT_E_NS1_11comp_targetILNS1_3genE4ELNS1_11target_archE910ELNS1_3gpuE8ELNS1_3repE0EEENS1_30default_config_static_selectorELNS0_4arch9wavefront6targetE0EEEvSS_
; %bb.0:
	.section	.rodata,"a",@progbits
	.p2align	6, 0x0
	.amdhsa_kernel _ZN7rocprim17ROCPRIM_400000_NS6detail17trampoline_kernelINS0_14default_configENS1_21merge_config_selectorINS0_5tupleIJiiEEENS0_10empty_typeEEEZNS1_10merge_implIS3_NS0_12zip_iteratorINS5_IJN6thrust23THRUST_200600_302600_NS10device_ptrIiEESE_EEEEESG_SG_PS7_SH_SH_NSC_11hip_rocprim7__merge17predicate_wrapperIiiNSC_4lessIiEEEEEE10hipError_tPvRmT0_T1_T2_T3_T4_T5_mmT6_P12ihipStream_tbEUlT_E_NS1_11comp_targetILNS1_3genE4ELNS1_11target_archE910ELNS1_3gpuE8ELNS1_3repE0EEENS1_30default_config_static_selectorELNS0_4arch9wavefront6targetE0EEEvSS_
		.amdhsa_group_segment_fixed_size 0
		.amdhsa_private_segment_fixed_size 0
		.amdhsa_kernarg_size 64
		.amdhsa_user_sgpr_count 6
		.amdhsa_user_sgpr_private_segment_buffer 1
		.amdhsa_user_sgpr_dispatch_ptr 0
		.amdhsa_user_sgpr_queue_ptr 0
		.amdhsa_user_sgpr_kernarg_segment_ptr 1
		.amdhsa_user_sgpr_dispatch_id 0
		.amdhsa_user_sgpr_flat_scratch_init 0
		.amdhsa_user_sgpr_private_segment_size 0
		.amdhsa_wavefront_size32 1
		.amdhsa_uses_dynamic_stack 0
		.amdhsa_system_sgpr_private_segment_wavefront_offset 0
		.amdhsa_system_sgpr_workgroup_id_x 1
		.amdhsa_system_sgpr_workgroup_id_y 0
		.amdhsa_system_sgpr_workgroup_id_z 0
		.amdhsa_system_sgpr_workgroup_info 0
		.amdhsa_system_vgpr_workitem_id 0
		.amdhsa_next_free_vgpr 1
		.amdhsa_next_free_sgpr 1
		.amdhsa_reserve_vcc 0
		.amdhsa_reserve_flat_scratch 0
		.amdhsa_float_round_mode_32 0
		.amdhsa_float_round_mode_16_64 0
		.amdhsa_float_denorm_mode_32 3
		.amdhsa_float_denorm_mode_16_64 3
		.amdhsa_dx10_clamp 1
		.amdhsa_ieee_mode 1
		.amdhsa_fp16_overflow 0
		.amdhsa_workgroup_processor_mode 1
		.amdhsa_memory_ordered 1
		.amdhsa_forward_progress 1
		.amdhsa_shared_vgpr_count 0
		.amdhsa_exception_fp_ieee_invalid_op 0
		.amdhsa_exception_fp_denorm_src 0
		.amdhsa_exception_fp_ieee_div_zero 0
		.amdhsa_exception_fp_ieee_overflow 0
		.amdhsa_exception_fp_ieee_underflow 0
		.amdhsa_exception_fp_ieee_inexact 0
		.amdhsa_exception_int_div_zero 0
	.end_amdhsa_kernel
	.section	.text._ZN7rocprim17ROCPRIM_400000_NS6detail17trampoline_kernelINS0_14default_configENS1_21merge_config_selectorINS0_5tupleIJiiEEENS0_10empty_typeEEEZNS1_10merge_implIS3_NS0_12zip_iteratorINS5_IJN6thrust23THRUST_200600_302600_NS10device_ptrIiEESE_EEEEESG_SG_PS7_SH_SH_NSC_11hip_rocprim7__merge17predicate_wrapperIiiNSC_4lessIiEEEEEE10hipError_tPvRmT0_T1_T2_T3_T4_T5_mmT6_P12ihipStream_tbEUlT_E_NS1_11comp_targetILNS1_3genE4ELNS1_11target_archE910ELNS1_3gpuE8ELNS1_3repE0EEENS1_30default_config_static_selectorELNS0_4arch9wavefront6targetE0EEEvSS_,"axG",@progbits,_ZN7rocprim17ROCPRIM_400000_NS6detail17trampoline_kernelINS0_14default_configENS1_21merge_config_selectorINS0_5tupleIJiiEEENS0_10empty_typeEEEZNS1_10merge_implIS3_NS0_12zip_iteratorINS5_IJN6thrust23THRUST_200600_302600_NS10device_ptrIiEESE_EEEEESG_SG_PS7_SH_SH_NSC_11hip_rocprim7__merge17predicate_wrapperIiiNSC_4lessIiEEEEEE10hipError_tPvRmT0_T1_T2_T3_T4_T5_mmT6_P12ihipStream_tbEUlT_E_NS1_11comp_targetILNS1_3genE4ELNS1_11target_archE910ELNS1_3gpuE8ELNS1_3repE0EEENS1_30default_config_static_selectorELNS0_4arch9wavefront6targetE0EEEvSS_,comdat
.Lfunc_end626:
	.size	_ZN7rocprim17ROCPRIM_400000_NS6detail17trampoline_kernelINS0_14default_configENS1_21merge_config_selectorINS0_5tupleIJiiEEENS0_10empty_typeEEEZNS1_10merge_implIS3_NS0_12zip_iteratorINS5_IJN6thrust23THRUST_200600_302600_NS10device_ptrIiEESE_EEEEESG_SG_PS7_SH_SH_NSC_11hip_rocprim7__merge17predicate_wrapperIiiNSC_4lessIiEEEEEE10hipError_tPvRmT0_T1_T2_T3_T4_T5_mmT6_P12ihipStream_tbEUlT_E_NS1_11comp_targetILNS1_3genE4ELNS1_11target_archE910ELNS1_3gpuE8ELNS1_3repE0EEENS1_30default_config_static_selectorELNS0_4arch9wavefront6targetE0EEEvSS_, .Lfunc_end626-_ZN7rocprim17ROCPRIM_400000_NS6detail17trampoline_kernelINS0_14default_configENS1_21merge_config_selectorINS0_5tupleIJiiEEENS0_10empty_typeEEEZNS1_10merge_implIS3_NS0_12zip_iteratorINS5_IJN6thrust23THRUST_200600_302600_NS10device_ptrIiEESE_EEEEESG_SG_PS7_SH_SH_NSC_11hip_rocprim7__merge17predicate_wrapperIiiNSC_4lessIiEEEEEE10hipError_tPvRmT0_T1_T2_T3_T4_T5_mmT6_P12ihipStream_tbEUlT_E_NS1_11comp_targetILNS1_3genE4ELNS1_11target_archE910ELNS1_3gpuE8ELNS1_3repE0EEENS1_30default_config_static_selectorELNS0_4arch9wavefront6targetE0EEEvSS_
                                        ; -- End function
	.set _ZN7rocprim17ROCPRIM_400000_NS6detail17trampoline_kernelINS0_14default_configENS1_21merge_config_selectorINS0_5tupleIJiiEEENS0_10empty_typeEEEZNS1_10merge_implIS3_NS0_12zip_iteratorINS5_IJN6thrust23THRUST_200600_302600_NS10device_ptrIiEESE_EEEEESG_SG_PS7_SH_SH_NSC_11hip_rocprim7__merge17predicate_wrapperIiiNSC_4lessIiEEEEEE10hipError_tPvRmT0_T1_T2_T3_T4_T5_mmT6_P12ihipStream_tbEUlT_E_NS1_11comp_targetILNS1_3genE4ELNS1_11target_archE910ELNS1_3gpuE8ELNS1_3repE0EEENS1_30default_config_static_selectorELNS0_4arch9wavefront6targetE0EEEvSS_.num_vgpr, 0
	.set _ZN7rocprim17ROCPRIM_400000_NS6detail17trampoline_kernelINS0_14default_configENS1_21merge_config_selectorINS0_5tupleIJiiEEENS0_10empty_typeEEEZNS1_10merge_implIS3_NS0_12zip_iteratorINS5_IJN6thrust23THRUST_200600_302600_NS10device_ptrIiEESE_EEEEESG_SG_PS7_SH_SH_NSC_11hip_rocprim7__merge17predicate_wrapperIiiNSC_4lessIiEEEEEE10hipError_tPvRmT0_T1_T2_T3_T4_T5_mmT6_P12ihipStream_tbEUlT_E_NS1_11comp_targetILNS1_3genE4ELNS1_11target_archE910ELNS1_3gpuE8ELNS1_3repE0EEENS1_30default_config_static_selectorELNS0_4arch9wavefront6targetE0EEEvSS_.num_agpr, 0
	.set _ZN7rocprim17ROCPRIM_400000_NS6detail17trampoline_kernelINS0_14default_configENS1_21merge_config_selectorINS0_5tupleIJiiEEENS0_10empty_typeEEEZNS1_10merge_implIS3_NS0_12zip_iteratorINS5_IJN6thrust23THRUST_200600_302600_NS10device_ptrIiEESE_EEEEESG_SG_PS7_SH_SH_NSC_11hip_rocprim7__merge17predicate_wrapperIiiNSC_4lessIiEEEEEE10hipError_tPvRmT0_T1_T2_T3_T4_T5_mmT6_P12ihipStream_tbEUlT_E_NS1_11comp_targetILNS1_3genE4ELNS1_11target_archE910ELNS1_3gpuE8ELNS1_3repE0EEENS1_30default_config_static_selectorELNS0_4arch9wavefront6targetE0EEEvSS_.numbered_sgpr, 0
	.set _ZN7rocprim17ROCPRIM_400000_NS6detail17trampoline_kernelINS0_14default_configENS1_21merge_config_selectorINS0_5tupleIJiiEEENS0_10empty_typeEEEZNS1_10merge_implIS3_NS0_12zip_iteratorINS5_IJN6thrust23THRUST_200600_302600_NS10device_ptrIiEESE_EEEEESG_SG_PS7_SH_SH_NSC_11hip_rocprim7__merge17predicate_wrapperIiiNSC_4lessIiEEEEEE10hipError_tPvRmT0_T1_T2_T3_T4_T5_mmT6_P12ihipStream_tbEUlT_E_NS1_11comp_targetILNS1_3genE4ELNS1_11target_archE910ELNS1_3gpuE8ELNS1_3repE0EEENS1_30default_config_static_selectorELNS0_4arch9wavefront6targetE0EEEvSS_.num_named_barrier, 0
	.set _ZN7rocprim17ROCPRIM_400000_NS6detail17trampoline_kernelINS0_14default_configENS1_21merge_config_selectorINS0_5tupleIJiiEEENS0_10empty_typeEEEZNS1_10merge_implIS3_NS0_12zip_iteratorINS5_IJN6thrust23THRUST_200600_302600_NS10device_ptrIiEESE_EEEEESG_SG_PS7_SH_SH_NSC_11hip_rocprim7__merge17predicate_wrapperIiiNSC_4lessIiEEEEEE10hipError_tPvRmT0_T1_T2_T3_T4_T5_mmT6_P12ihipStream_tbEUlT_E_NS1_11comp_targetILNS1_3genE4ELNS1_11target_archE910ELNS1_3gpuE8ELNS1_3repE0EEENS1_30default_config_static_selectorELNS0_4arch9wavefront6targetE0EEEvSS_.private_seg_size, 0
	.set _ZN7rocprim17ROCPRIM_400000_NS6detail17trampoline_kernelINS0_14default_configENS1_21merge_config_selectorINS0_5tupleIJiiEEENS0_10empty_typeEEEZNS1_10merge_implIS3_NS0_12zip_iteratorINS5_IJN6thrust23THRUST_200600_302600_NS10device_ptrIiEESE_EEEEESG_SG_PS7_SH_SH_NSC_11hip_rocprim7__merge17predicate_wrapperIiiNSC_4lessIiEEEEEE10hipError_tPvRmT0_T1_T2_T3_T4_T5_mmT6_P12ihipStream_tbEUlT_E_NS1_11comp_targetILNS1_3genE4ELNS1_11target_archE910ELNS1_3gpuE8ELNS1_3repE0EEENS1_30default_config_static_selectorELNS0_4arch9wavefront6targetE0EEEvSS_.uses_vcc, 0
	.set _ZN7rocprim17ROCPRIM_400000_NS6detail17trampoline_kernelINS0_14default_configENS1_21merge_config_selectorINS0_5tupleIJiiEEENS0_10empty_typeEEEZNS1_10merge_implIS3_NS0_12zip_iteratorINS5_IJN6thrust23THRUST_200600_302600_NS10device_ptrIiEESE_EEEEESG_SG_PS7_SH_SH_NSC_11hip_rocprim7__merge17predicate_wrapperIiiNSC_4lessIiEEEEEE10hipError_tPvRmT0_T1_T2_T3_T4_T5_mmT6_P12ihipStream_tbEUlT_E_NS1_11comp_targetILNS1_3genE4ELNS1_11target_archE910ELNS1_3gpuE8ELNS1_3repE0EEENS1_30default_config_static_selectorELNS0_4arch9wavefront6targetE0EEEvSS_.uses_flat_scratch, 0
	.set _ZN7rocprim17ROCPRIM_400000_NS6detail17trampoline_kernelINS0_14default_configENS1_21merge_config_selectorINS0_5tupleIJiiEEENS0_10empty_typeEEEZNS1_10merge_implIS3_NS0_12zip_iteratorINS5_IJN6thrust23THRUST_200600_302600_NS10device_ptrIiEESE_EEEEESG_SG_PS7_SH_SH_NSC_11hip_rocprim7__merge17predicate_wrapperIiiNSC_4lessIiEEEEEE10hipError_tPvRmT0_T1_T2_T3_T4_T5_mmT6_P12ihipStream_tbEUlT_E_NS1_11comp_targetILNS1_3genE4ELNS1_11target_archE910ELNS1_3gpuE8ELNS1_3repE0EEENS1_30default_config_static_selectorELNS0_4arch9wavefront6targetE0EEEvSS_.has_dyn_sized_stack, 0
	.set _ZN7rocprim17ROCPRIM_400000_NS6detail17trampoline_kernelINS0_14default_configENS1_21merge_config_selectorINS0_5tupleIJiiEEENS0_10empty_typeEEEZNS1_10merge_implIS3_NS0_12zip_iteratorINS5_IJN6thrust23THRUST_200600_302600_NS10device_ptrIiEESE_EEEEESG_SG_PS7_SH_SH_NSC_11hip_rocprim7__merge17predicate_wrapperIiiNSC_4lessIiEEEEEE10hipError_tPvRmT0_T1_T2_T3_T4_T5_mmT6_P12ihipStream_tbEUlT_E_NS1_11comp_targetILNS1_3genE4ELNS1_11target_archE910ELNS1_3gpuE8ELNS1_3repE0EEENS1_30default_config_static_selectorELNS0_4arch9wavefront6targetE0EEEvSS_.has_recursion, 0
	.set _ZN7rocprim17ROCPRIM_400000_NS6detail17trampoline_kernelINS0_14default_configENS1_21merge_config_selectorINS0_5tupleIJiiEEENS0_10empty_typeEEEZNS1_10merge_implIS3_NS0_12zip_iteratorINS5_IJN6thrust23THRUST_200600_302600_NS10device_ptrIiEESE_EEEEESG_SG_PS7_SH_SH_NSC_11hip_rocprim7__merge17predicate_wrapperIiiNSC_4lessIiEEEEEE10hipError_tPvRmT0_T1_T2_T3_T4_T5_mmT6_P12ihipStream_tbEUlT_E_NS1_11comp_targetILNS1_3genE4ELNS1_11target_archE910ELNS1_3gpuE8ELNS1_3repE0EEENS1_30default_config_static_selectorELNS0_4arch9wavefront6targetE0EEEvSS_.has_indirect_call, 0
	.section	.AMDGPU.csdata,"",@progbits
; Kernel info:
; codeLenInByte = 0
; TotalNumSgprs: 0
; NumVgprs: 0
; ScratchSize: 0
; MemoryBound: 0
; FloatMode: 240
; IeeeMode: 1
; LDSByteSize: 0 bytes/workgroup (compile time only)
; SGPRBlocks: 0
; VGPRBlocks: 0
; NumSGPRsForWavesPerEU: 1
; NumVGPRsForWavesPerEU: 1
; Occupancy: 16
; WaveLimiterHint : 0
; COMPUTE_PGM_RSRC2:SCRATCH_EN: 0
; COMPUTE_PGM_RSRC2:USER_SGPR: 6
; COMPUTE_PGM_RSRC2:TRAP_HANDLER: 0
; COMPUTE_PGM_RSRC2:TGID_X_EN: 1
; COMPUTE_PGM_RSRC2:TGID_Y_EN: 0
; COMPUTE_PGM_RSRC2:TGID_Z_EN: 0
; COMPUTE_PGM_RSRC2:TIDIG_COMP_CNT: 0
	.section	.text._ZN7rocprim17ROCPRIM_400000_NS6detail17trampoline_kernelINS0_14default_configENS1_21merge_config_selectorINS0_5tupleIJiiEEENS0_10empty_typeEEEZNS1_10merge_implIS3_NS0_12zip_iteratorINS5_IJN6thrust23THRUST_200600_302600_NS10device_ptrIiEESE_EEEEESG_SG_PS7_SH_SH_NSC_11hip_rocprim7__merge17predicate_wrapperIiiNSC_4lessIiEEEEEE10hipError_tPvRmT0_T1_T2_T3_T4_T5_mmT6_P12ihipStream_tbEUlT_E_NS1_11comp_targetILNS1_3genE3ELNS1_11target_archE908ELNS1_3gpuE7ELNS1_3repE0EEENS1_30default_config_static_selectorELNS0_4arch9wavefront6targetE0EEEvSS_,"axG",@progbits,_ZN7rocprim17ROCPRIM_400000_NS6detail17trampoline_kernelINS0_14default_configENS1_21merge_config_selectorINS0_5tupleIJiiEEENS0_10empty_typeEEEZNS1_10merge_implIS3_NS0_12zip_iteratorINS5_IJN6thrust23THRUST_200600_302600_NS10device_ptrIiEESE_EEEEESG_SG_PS7_SH_SH_NSC_11hip_rocprim7__merge17predicate_wrapperIiiNSC_4lessIiEEEEEE10hipError_tPvRmT0_T1_T2_T3_T4_T5_mmT6_P12ihipStream_tbEUlT_E_NS1_11comp_targetILNS1_3genE3ELNS1_11target_archE908ELNS1_3gpuE7ELNS1_3repE0EEENS1_30default_config_static_selectorELNS0_4arch9wavefront6targetE0EEEvSS_,comdat
	.protected	_ZN7rocprim17ROCPRIM_400000_NS6detail17trampoline_kernelINS0_14default_configENS1_21merge_config_selectorINS0_5tupleIJiiEEENS0_10empty_typeEEEZNS1_10merge_implIS3_NS0_12zip_iteratorINS5_IJN6thrust23THRUST_200600_302600_NS10device_ptrIiEESE_EEEEESG_SG_PS7_SH_SH_NSC_11hip_rocprim7__merge17predicate_wrapperIiiNSC_4lessIiEEEEEE10hipError_tPvRmT0_T1_T2_T3_T4_T5_mmT6_P12ihipStream_tbEUlT_E_NS1_11comp_targetILNS1_3genE3ELNS1_11target_archE908ELNS1_3gpuE7ELNS1_3repE0EEENS1_30default_config_static_selectorELNS0_4arch9wavefront6targetE0EEEvSS_ ; -- Begin function _ZN7rocprim17ROCPRIM_400000_NS6detail17trampoline_kernelINS0_14default_configENS1_21merge_config_selectorINS0_5tupleIJiiEEENS0_10empty_typeEEEZNS1_10merge_implIS3_NS0_12zip_iteratorINS5_IJN6thrust23THRUST_200600_302600_NS10device_ptrIiEESE_EEEEESG_SG_PS7_SH_SH_NSC_11hip_rocprim7__merge17predicate_wrapperIiiNSC_4lessIiEEEEEE10hipError_tPvRmT0_T1_T2_T3_T4_T5_mmT6_P12ihipStream_tbEUlT_E_NS1_11comp_targetILNS1_3genE3ELNS1_11target_archE908ELNS1_3gpuE7ELNS1_3repE0EEENS1_30default_config_static_selectorELNS0_4arch9wavefront6targetE0EEEvSS_
	.globl	_ZN7rocprim17ROCPRIM_400000_NS6detail17trampoline_kernelINS0_14default_configENS1_21merge_config_selectorINS0_5tupleIJiiEEENS0_10empty_typeEEEZNS1_10merge_implIS3_NS0_12zip_iteratorINS5_IJN6thrust23THRUST_200600_302600_NS10device_ptrIiEESE_EEEEESG_SG_PS7_SH_SH_NSC_11hip_rocprim7__merge17predicate_wrapperIiiNSC_4lessIiEEEEEE10hipError_tPvRmT0_T1_T2_T3_T4_T5_mmT6_P12ihipStream_tbEUlT_E_NS1_11comp_targetILNS1_3genE3ELNS1_11target_archE908ELNS1_3gpuE7ELNS1_3repE0EEENS1_30default_config_static_selectorELNS0_4arch9wavefront6targetE0EEEvSS_
	.p2align	8
	.type	_ZN7rocprim17ROCPRIM_400000_NS6detail17trampoline_kernelINS0_14default_configENS1_21merge_config_selectorINS0_5tupleIJiiEEENS0_10empty_typeEEEZNS1_10merge_implIS3_NS0_12zip_iteratorINS5_IJN6thrust23THRUST_200600_302600_NS10device_ptrIiEESE_EEEEESG_SG_PS7_SH_SH_NSC_11hip_rocprim7__merge17predicate_wrapperIiiNSC_4lessIiEEEEEE10hipError_tPvRmT0_T1_T2_T3_T4_T5_mmT6_P12ihipStream_tbEUlT_E_NS1_11comp_targetILNS1_3genE3ELNS1_11target_archE908ELNS1_3gpuE7ELNS1_3repE0EEENS1_30default_config_static_selectorELNS0_4arch9wavefront6targetE0EEEvSS_,@function
_ZN7rocprim17ROCPRIM_400000_NS6detail17trampoline_kernelINS0_14default_configENS1_21merge_config_selectorINS0_5tupleIJiiEEENS0_10empty_typeEEEZNS1_10merge_implIS3_NS0_12zip_iteratorINS5_IJN6thrust23THRUST_200600_302600_NS10device_ptrIiEESE_EEEEESG_SG_PS7_SH_SH_NSC_11hip_rocprim7__merge17predicate_wrapperIiiNSC_4lessIiEEEEEE10hipError_tPvRmT0_T1_T2_T3_T4_T5_mmT6_P12ihipStream_tbEUlT_E_NS1_11comp_targetILNS1_3genE3ELNS1_11target_archE908ELNS1_3gpuE7ELNS1_3repE0EEENS1_30default_config_static_selectorELNS0_4arch9wavefront6targetE0EEEvSS_: ; @_ZN7rocprim17ROCPRIM_400000_NS6detail17trampoline_kernelINS0_14default_configENS1_21merge_config_selectorINS0_5tupleIJiiEEENS0_10empty_typeEEEZNS1_10merge_implIS3_NS0_12zip_iteratorINS5_IJN6thrust23THRUST_200600_302600_NS10device_ptrIiEESE_EEEEESG_SG_PS7_SH_SH_NSC_11hip_rocprim7__merge17predicate_wrapperIiiNSC_4lessIiEEEEEE10hipError_tPvRmT0_T1_T2_T3_T4_T5_mmT6_P12ihipStream_tbEUlT_E_NS1_11comp_targetILNS1_3genE3ELNS1_11target_archE908ELNS1_3gpuE7ELNS1_3repE0EEENS1_30default_config_static_selectorELNS0_4arch9wavefront6targetE0EEEvSS_
; %bb.0:
	.section	.rodata,"a",@progbits
	.p2align	6, 0x0
	.amdhsa_kernel _ZN7rocprim17ROCPRIM_400000_NS6detail17trampoline_kernelINS0_14default_configENS1_21merge_config_selectorINS0_5tupleIJiiEEENS0_10empty_typeEEEZNS1_10merge_implIS3_NS0_12zip_iteratorINS5_IJN6thrust23THRUST_200600_302600_NS10device_ptrIiEESE_EEEEESG_SG_PS7_SH_SH_NSC_11hip_rocprim7__merge17predicate_wrapperIiiNSC_4lessIiEEEEEE10hipError_tPvRmT0_T1_T2_T3_T4_T5_mmT6_P12ihipStream_tbEUlT_E_NS1_11comp_targetILNS1_3genE3ELNS1_11target_archE908ELNS1_3gpuE7ELNS1_3repE0EEENS1_30default_config_static_selectorELNS0_4arch9wavefront6targetE0EEEvSS_
		.amdhsa_group_segment_fixed_size 0
		.amdhsa_private_segment_fixed_size 0
		.amdhsa_kernarg_size 64
		.amdhsa_user_sgpr_count 6
		.amdhsa_user_sgpr_private_segment_buffer 1
		.amdhsa_user_sgpr_dispatch_ptr 0
		.amdhsa_user_sgpr_queue_ptr 0
		.amdhsa_user_sgpr_kernarg_segment_ptr 1
		.amdhsa_user_sgpr_dispatch_id 0
		.amdhsa_user_sgpr_flat_scratch_init 0
		.amdhsa_user_sgpr_private_segment_size 0
		.amdhsa_wavefront_size32 1
		.amdhsa_uses_dynamic_stack 0
		.amdhsa_system_sgpr_private_segment_wavefront_offset 0
		.amdhsa_system_sgpr_workgroup_id_x 1
		.amdhsa_system_sgpr_workgroup_id_y 0
		.amdhsa_system_sgpr_workgroup_id_z 0
		.amdhsa_system_sgpr_workgroup_info 0
		.amdhsa_system_vgpr_workitem_id 0
		.amdhsa_next_free_vgpr 1
		.amdhsa_next_free_sgpr 1
		.amdhsa_reserve_vcc 0
		.amdhsa_reserve_flat_scratch 0
		.amdhsa_float_round_mode_32 0
		.amdhsa_float_round_mode_16_64 0
		.amdhsa_float_denorm_mode_32 3
		.amdhsa_float_denorm_mode_16_64 3
		.amdhsa_dx10_clamp 1
		.amdhsa_ieee_mode 1
		.amdhsa_fp16_overflow 0
		.amdhsa_workgroup_processor_mode 1
		.amdhsa_memory_ordered 1
		.amdhsa_forward_progress 1
		.amdhsa_shared_vgpr_count 0
		.amdhsa_exception_fp_ieee_invalid_op 0
		.amdhsa_exception_fp_denorm_src 0
		.amdhsa_exception_fp_ieee_div_zero 0
		.amdhsa_exception_fp_ieee_overflow 0
		.amdhsa_exception_fp_ieee_underflow 0
		.amdhsa_exception_fp_ieee_inexact 0
		.amdhsa_exception_int_div_zero 0
	.end_amdhsa_kernel
	.section	.text._ZN7rocprim17ROCPRIM_400000_NS6detail17trampoline_kernelINS0_14default_configENS1_21merge_config_selectorINS0_5tupleIJiiEEENS0_10empty_typeEEEZNS1_10merge_implIS3_NS0_12zip_iteratorINS5_IJN6thrust23THRUST_200600_302600_NS10device_ptrIiEESE_EEEEESG_SG_PS7_SH_SH_NSC_11hip_rocprim7__merge17predicate_wrapperIiiNSC_4lessIiEEEEEE10hipError_tPvRmT0_T1_T2_T3_T4_T5_mmT6_P12ihipStream_tbEUlT_E_NS1_11comp_targetILNS1_3genE3ELNS1_11target_archE908ELNS1_3gpuE7ELNS1_3repE0EEENS1_30default_config_static_selectorELNS0_4arch9wavefront6targetE0EEEvSS_,"axG",@progbits,_ZN7rocprim17ROCPRIM_400000_NS6detail17trampoline_kernelINS0_14default_configENS1_21merge_config_selectorINS0_5tupleIJiiEEENS0_10empty_typeEEEZNS1_10merge_implIS3_NS0_12zip_iteratorINS5_IJN6thrust23THRUST_200600_302600_NS10device_ptrIiEESE_EEEEESG_SG_PS7_SH_SH_NSC_11hip_rocprim7__merge17predicate_wrapperIiiNSC_4lessIiEEEEEE10hipError_tPvRmT0_T1_T2_T3_T4_T5_mmT6_P12ihipStream_tbEUlT_E_NS1_11comp_targetILNS1_3genE3ELNS1_11target_archE908ELNS1_3gpuE7ELNS1_3repE0EEENS1_30default_config_static_selectorELNS0_4arch9wavefront6targetE0EEEvSS_,comdat
.Lfunc_end627:
	.size	_ZN7rocprim17ROCPRIM_400000_NS6detail17trampoline_kernelINS0_14default_configENS1_21merge_config_selectorINS0_5tupleIJiiEEENS0_10empty_typeEEEZNS1_10merge_implIS3_NS0_12zip_iteratorINS5_IJN6thrust23THRUST_200600_302600_NS10device_ptrIiEESE_EEEEESG_SG_PS7_SH_SH_NSC_11hip_rocprim7__merge17predicate_wrapperIiiNSC_4lessIiEEEEEE10hipError_tPvRmT0_T1_T2_T3_T4_T5_mmT6_P12ihipStream_tbEUlT_E_NS1_11comp_targetILNS1_3genE3ELNS1_11target_archE908ELNS1_3gpuE7ELNS1_3repE0EEENS1_30default_config_static_selectorELNS0_4arch9wavefront6targetE0EEEvSS_, .Lfunc_end627-_ZN7rocprim17ROCPRIM_400000_NS6detail17trampoline_kernelINS0_14default_configENS1_21merge_config_selectorINS0_5tupleIJiiEEENS0_10empty_typeEEEZNS1_10merge_implIS3_NS0_12zip_iteratorINS5_IJN6thrust23THRUST_200600_302600_NS10device_ptrIiEESE_EEEEESG_SG_PS7_SH_SH_NSC_11hip_rocprim7__merge17predicate_wrapperIiiNSC_4lessIiEEEEEE10hipError_tPvRmT0_T1_T2_T3_T4_T5_mmT6_P12ihipStream_tbEUlT_E_NS1_11comp_targetILNS1_3genE3ELNS1_11target_archE908ELNS1_3gpuE7ELNS1_3repE0EEENS1_30default_config_static_selectorELNS0_4arch9wavefront6targetE0EEEvSS_
                                        ; -- End function
	.set _ZN7rocprim17ROCPRIM_400000_NS6detail17trampoline_kernelINS0_14default_configENS1_21merge_config_selectorINS0_5tupleIJiiEEENS0_10empty_typeEEEZNS1_10merge_implIS3_NS0_12zip_iteratorINS5_IJN6thrust23THRUST_200600_302600_NS10device_ptrIiEESE_EEEEESG_SG_PS7_SH_SH_NSC_11hip_rocprim7__merge17predicate_wrapperIiiNSC_4lessIiEEEEEE10hipError_tPvRmT0_T1_T2_T3_T4_T5_mmT6_P12ihipStream_tbEUlT_E_NS1_11comp_targetILNS1_3genE3ELNS1_11target_archE908ELNS1_3gpuE7ELNS1_3repE0EEENS1_30default_config_static_selectorELNS0_4arch9wavefront6targetE0EEEvSS_.num_vgpr, 0
	.set _ZN7rocprim17ROCPRIM_400000_NS6detail17trampoline_kernelINS0_14default_configENS1_21merge_config_selectorINS0_5tupleIJiiEEENS0_10empty_typeEEEZNS1_10merge_implIS3_NS0_12zip_iteratorINS5_IJN6thrust23THRUST_200600_302600_NS10device_ptrIiEESE_EEEEESG_SG_PS7_SH_SH_NSC_11hip_rocprim7__merge17predicate_wrapperIiiNSC_4lessIiEEEEEE10hipError_tPvRmT0_T1_T2_T3_T4_T5_mmT6_P12ihipStream_tbEUlT_E_NS1_11comp_targetILNS1_3genE3ELNS1_11target_archE908ELNS1_3gpuE7ELNS1_3repE0EEENS1_30default_config_static_selectorELNS0_4arch9wavefront6targetE0EEEvSS_.num_agpr, 0
	.set _ZN7rocprim17ROCPRIM_400000_NS6detail17trampoline_kernelINS0_14default_configENS1_21merge_config_selectorINS0_5tupleIJiiEEENS0_10empty_typeEEEZNS1_10merge_implIS3_NS0_12zip_iteratorINS5_IJN6thrust23THRUST_200600_302600_NS10device_ptrIiEESE_EEEEESG_SG_PS7_SH_SH_NSC_11hip_rocprim7__merge17predicate_wrapperIiiNSC_4lessIiEEEEEE10hipError_tPvRmT0_T1_T2_T3_T4_T5_mmT6_P12ihipStream_tbEUlT_E_NS1_11comp_targetILNS1_3genE3ELNS1_11target_archE908ELNS1_3gpuE7ELNS1_3repE0EEENS1_30default_config_static_selectorELNS0_4arch9wavefront6targetE0EEEvSS_.numbered_sgpr, 0
	.set _ZN7rocprim17ROCPRIM_400000_NS6detail17trampoline_kernelINS0_14default_configENS1_21merge_config_selectorINS0_5tupleIJiiEEENS0_10empty_typeEEEZNS1_10merge_implIS3_NS0_12zip_iteratorINS5_IJN6thrust23THRUST_200600_302600_NS10device_ptrIiEESE_EEEEESG_SG_PS7_SH_SH_NSC_11hip_rocprim7__merge17predicate_wrapperIiiNSC_4lessIiEEEEEE10hipError_tPvRmT0_T1_T2_T3_T4_T5_mmT6_P12ihipStream_tbEUlT_E_NS1_11comp_targetILNS1_3genE3ELNS1_11target_archE908ELNS1_3gpuE7ELNS1_3repE0EEENS1_30default_config_static_selectorELNS0_4arch9wavefront6targetE0EEEvSS_.num_named_barrier, 0
	.set _ZN7rocprim17ROCPRIM_400000_NS6detail17trampoline_kernelINS0_14default_configENS1_21merge_config_selectorINS0_5tupleIJiiEEENS0_10empty_typeEEEZNS1_10merge_implIS3_NS0_12zip_iteratorINS5_IJN6thrust23THRUST_200600_302600_NS10device_ptrIiEESE_EEEEESG_SG_PS7_SH_SH_NSC_11hip_rocprim7__merge17predicate_wrapperIiiNSC_4lessIiEEEEEE10hipError_tPvRmT0_T1_T2_T3_T4_T5_mmT6_P12ihipStream_tbEUlT_E_NS1_11comp_targetILNS1_3genE3ELNS1_11target_archE908ELNS1_3gpuE7ELNS1_3repE0EEENS1_30default_config_static_selectorELNS0_4arch9wavefront6targetE0EEEvSS_.private_seg_size, 0
	.set _ZN7rocprim17ROCPRIM_400000_NS6detail17trampoline_kernelINS0_14default_configENS1_21merge_config_selectorINS0_5tupleIJiiEEENS0_10empty_typeEEEZNS1_10merge_implIS3_NS0_12zip_iteratorINS5_IJN6thrust23THRUST_200600_302600_NS10device_ptrIiEESE_EEEEESG_SG_PS7_SH_SH_NSC_11hip_rocprim7__merge17predicate_wrapperIiiNSC_4lessIiEEEEEE10hipError_tPvRmT0_T1_T2_T3_T4_T5_mmT6_P12ihipStream_tbEUlT_E_NS1_11comp_targetILNS1_3genE3ELNS1_11target_archE908ELNS1_3gpuE7ELNS1_3repE0EEENS1_30default_config_static_selectorELNS0_4arch9wavefront6targetE0EEEvSS_.uses_vcc, 0
	.set _ZN7rocprim17ROCPRIM_400000_NS6detail17trampoline_kernelINS0_14default_configENS1_21merge_config_selectorINS0_5tupleIJiiEEENS0_10empty_typeEEEZNS1_10merge_implIS3_NS0_12zip_iteratorINS5_IJN6thrust23THRUST_200600_302600_NS10device_ptrIiEESE_EEEEESG_SG_PS7_SH_SH_NSC_11hip_rocprim7__merge17predicate_wrapperIiiNSC_4lessIiEEEEEE10hipError_tPvRmT0_T1_T2_T3_T4_T5_mmT6_P12ihipStream_tbEUlT_E_NS1_11comp_targetILNS1_3genE3ELNS1_11target_archE908ELNS1_3gpuE7ELNS1_3repE0EEENS1_30default_config_static_selectorELNS0_4arch9wavefront6targetE0EEEvSS_.uses_flat_scratch, 0
	.set _ZN7rocprim17ROCPRIM_400000_NS6detail17trampoline_kernelINS0_14default_configENS1_21merge_config_selectorINS0_5tupleIJiiEEENS0_10empty_typeEEEZNS1_10merge_implIS3_NS0_12zip_iteratorINS5_IJN6thrust23THRUST_200600_302600_NS10device_ptrIiEESE_EEEEESG_SG_PS7_SH_SH_NSC_11hip_rocprim7__merge17predicate_wrapperIiiNSC_4lessIiEEEEEE10hipError_tPvRmT0_T1_T2_T3_T4_T5_mmT6_P12ihipStream_tbEUlT_E_NS1_11comp_targetILNS1_3genE3ELNS1_11target_archE908ELNS1_3gpuE7ELNS1_3repE0EEENS1_30default_config_static_selectorELNS0_4arch9wavefront6targetE0EEEvSS_.has_dyn_sized_stack, 0
	.set _ZN7rocprim17ROCPRIM_400000_NS6detail17trampoline_kernelINS0_14default_configENS1_21merge_config_selectorINS0_5tupleIJiiEEENS0_10empty_typeEEEZNS1_10merge_implIS3_NS0_12zip_iteratorINS5_IJN6thrust23THRUST_200600_302600_NS10device_ptrIiEESE_EEEEESG_SG_PS7_SH_SH_NSC_11hip_rocprim7__merge17predicate_wrapperIiiNSC_4lessIiEEEEEE10hipError_tPvRmT0_T1_T2_T3_T4_T5_mmT6_P12ihipStream_tbEUlT_E_NS1_11comp_targetILNS1_3genE3ELNS1_11target_archE908ELNS1_3gpuE7ELNS1_3repE0EEENS1_30default_config_static_selectorELNS0_4arch9wavefront6targetE0EEEvSS_.has_recursion, 0
	.set _ZN7rocprim17ROCPRIM_400000_NS6detail17trampoline_kernelINS0_14default_configENS1_21merge_config_selectorINS0_5tupleIJiiEEENS0_10empty_typeEEEZNS1_10merge_implIS3_NS0_12zip_iteratorINS5_IJN6thrust23THRUST_200600_302600_NS10device_ptrIiEESE_EEEEESG_SG_PS7_SH_SH_NSC_11hip_rocprim7__merge17predicate_wrapperIiiNSC_4lessIiEEEEEE10hipError_tPvRmT0_T1_T2_T3_T4_T5_mmT6_P12ihipStream_tbEUlT_E_NS1_11comp_targetILNS1_3genE3ELNS1_11target_archE908ELNS1_3gpuE7ELNS1_3repE0EEENS1_30default_config_static_selectorELNS0_4arch9wavefront6targetE0EEEvSS_.has_indirect_call, 0
	.section	.AMDGPU.csdata,"",@progbits
; Kernel info:
; codeLenInByte = 0
; TotalNumSgprs: 0
; NumVgprs: 0
; ScratchSize: 0
; MemoryBound: 0
; FloatMode: 240
; IeeeMode: 1
; LDSByteSize: 0 bytes/workgroup (compile time only)
; SGPRBlocks: 0
; VGPRBlocks: 0
; NumSGPRsForWavesPerEU: 1
; NumVGPRsForWavesPerEU: 1
; Occupancy: 16
; WaveLimiterHint : 0
; COMPUTE_PGM_RSRC2:SCRATCH_EN: 0
; COMPUTE_PGM_RSRC2:USER_SGPR: 6
; COMPUTE_PGM_RSRC2:TRAP_HANDLER: 0
; COMPUTE_PGM_RSRC2:TGID_X_EN: 1
; COMPUTE_PGM_RSRC2:TGID_Y_EN: 0
; COMPUTE_PGM_RSRC2:TGID_Z_EN: 0
; COMPUTE_PGM_RSRC2:TIDIG_COMP_CNT: 0
	.section	.text._ZN7rocprim17ROCPRIM_400000_NS6detail17trampoline_kernelINS0_14default_configENS1_21merge_config_selectorINS0_5tupleIJiiEEENS0_10empty_typeEEEZNS1_10merge_implIS3_NS0_12zip_iteratorINS5_IJN6thrust23THRUST_200600_302600_NS10device_ptrIiEESE_EEEEESG_SG_PS7_SH_SH_NSC_11hip_rocprim7__merge17predicate_wrapperIiiNSC_4lessIiEEEEEE10hipError_tPvRmT0_T1_T2_T3_T4_T5_mmT6_P12ihipStream_tbEUlT_E_NS1_11comp_targetILNS1_3genE2ELNS1_11target_archE906ELNS1_3gpuE6ELNS1_3repE0EEENS1_30default_config_static_selectorELNS0_4arch9wavefront6targetE0EEEvSS_,"axG",@progbits,_ZN7rocprim17ROCPRIM_400000_NS6detail17trampoline_kernelINS0_14default_configENS1_21merge_config_selectorINS0_5tupleIJiiEEENS0_10empty_typeEEEZNS1_10merge_implIS3_NS0_12zip_iteratorINS5_IJN6thrust23THRUST_200600_302600_NS10device_ptrIiEESE_EEEEESG_SG_PS7_SH_SH_NSC_11hip_rocprim7__merge17predicate_wrapperIiiNSC_4lessIiEEEEEE10hipError_tPvRmT0_T1_T2_T3_T4_T5_mmT6_P12ihipStream_tbEUlT_E_NS1_11comp_targetILNS1_3genE2ELNS1_11target_archE906ELNS1_3gpuE6ELNS1_3repE0EEENS1_30default_config_static_selectorELNS0_4arch9wavefront6targetE0EEEvSS_,comdat
	.protected	_ZN7rocprim17ROCPRIM_400000_NS6detail17trampoline_kernelINS0_14default_configENS1_21merge_config_selectorINS0_5tupleIJiiEEENS0_10empty_typeEEEZNS1_10merge_implIS3_NS0_12zip_iteratorINS5_IJN6thrust23THRUST_200600_302600_NS10device_ptrIiEESE_EEEEESG_SG_PS7_SH_SH_NSC_11hip_rocprim7__merge17predicate_wrapperIiiNSC_4lessIiEEEEEE10hipError_tPvRmT0_T1_T2_T3_T4_T5_mmT6_P12ihipStream_tbEUlT_E_NS1_11comp_targetILNS1_3genE2ELNS1_11target_archE906ELNS1_3gpuE6ELNS1_3repE0EEENS1_30default_config_static_selectorELNS0_4arch9wavefront6targetE0EEEvSS_ ; -- Begin function _ZN7rocprim17ROCPRIM_400000_NS6detail17trampoline_kernelINS0_14default_configENS1_21merge_config_selectorINS0_5tupleIJiiEEENS0_10empty_typeEEEZNS1_10merge_implIS3_NS0_12zip_iteratorINS5_IJN6thrust23THRUST_200600_302600_NS10device_ptrIiEESE_EEEEESG_SG_PS7_SH_SH_NSC_11hip_rocprim7__merge17predicate_wrapperIiiNSC_4lessIiEEEEEE10hipError_tPvRmT0_T1_T2_T3_T4_T5_mmT6_P12ihipStream_tbEUlT_E_NS1_11comp_targetILNS1_3genE2ELNS1_11target_archE906ELNS1_3gpuE6ELNS1_3repE0EEENS1_30default_config_static_selectorELNS0_4arch9wavefront6targetE0EEEvSS_
	.globl	_ZN7rocprim17ROCPRIM_400000_NS6detail17trampoline_kernelINS0_14default_configENS1_21merge_config_selectorINS0_5tupleIJiiEEENS0_10empty_typeEEEZNS1_10merge_implIS3_NS0_12zip_iteratorINS5_IJN6thrust23THRUST_200600_302600_NS10device_ptrIiEESE_EEEEESG_SG_PS7_SH_SH_NSC_11hip_rocprim7__merge17predicate_wrapperIiiNSC_4lessIiEEEEEE10hipError_tPvRmT0_T1_T2_T3_T4_T5_mmT6_P12ihipStream_tbEUlT_E_NS1_11comp_targetILNS1_3genE2ELNS1_11target_archE906ELNS1_3gpuE6ELNS1_3repE0EEENS1_30default_config_static_selectorELNS0_4arch9wavefront6targetE0EEEvSS_
	.p2align	8
	.type	_ZN7rocprim17ROCPRIM_400000_NS6detail17trampoline_kernelINS0_14default_configENS1_21merge_config_selectorINS0_5tupleIJiiEEENS0_10empty_typeEEEZNS1_10merge_implIS3_NS0_12zip_iteratorINS5_IJN6thrust23THRUST_200600_302600_NS10device_ptrIiEESE_EEEEESG_SG_PS7_SH_SH_NSC_11hip_rocprim7__merge17predicate_wrapperIiiNSC_4lessIiEEEEEE10hipError_tPvRmT0_T1_T2_T3_T4_T5_mmT6_P12ihipStream_tbEUlT_E_NS1_11comp_targetILNS1_3genE2ELNS1_11target_archE906ELNS1_3gpuE6ELNS1_3repE0EEENS1_30default_config_static_selectorELNS0_4arch9wavefront6targetE0EEEvSS_,@function
_ZN7rocprim17ROCPRIM_400000_NS6detail17trampoline_kernelINS0_14default_configENS1_21merge_config_selectorINS0_5tupleIJiiEEENS0_10empty_typeEEEZNS1_10merge_implIS3_NS0_12zip_iteratorINS5_IJN6thrust23THRUST_200600_302600_NS10device_ptrIiEESE_EEEEESG_SG_PS7_SH_SH_NSC_11hip_rocprim7__merge17predicate_wrapperIiiNSC_4lessIiEEEEEE10hipError_tPvRmT0_T1_T2_T3_T4_T5_mmT6_P12ihipStream_tbEUlT_E_NS1_11comp_targetILNS1_3genE2ELNS1_11target_archE906ELNS1_3gpuE6ELNS1_3repE0EEENS1_30default_config_static_selectorELNS0_4arch9wavefront6targetE0EEEvSS_: ; @_ZN7rocprim17ROCPRIM_400000_NS6detail17trampoline_kernelINS0_14default_configENS1_21merge_config_selectorINS0_5tupleIJiiEEENS0_10empty_typeEEEZNS1_10merge_implIS3_NS0_12zip_iteratorINS5_IJN6thrust23THRUST_200600_302600_NS10device_ptrIiEESE_EEEEESG_SG_PS7_SH_SH_NSC_11hip_rocprim7__merge17predicate_wrapperIiiNSC_4lessIiEEEEEE10hipError_tPvRmT0_T1_T2_T3_T4_T5_mmT6_P12ihipStream_tbEUlT_E_NS1_11comp_targetILNS1_3genE2ELNS1_11target_archE906ELNS1_3gpuE6ELNS1_3repE0EEENS1_30default_config_static_selectorELNS0_4arch9wavefront6targetE0EEEvSS_
; %bb.0:
	.section	.rodata,"a",@progbits
	.p2align	6, 0x0
	.amdhsa_kernel _ZN7rocprim17ROCPRIM_400000_NS6detail17trampoline_kernelINS0_14default_configENS1_21merge_config_selectorINS0_5tupleIJiiEEENS0_10empty_typeEEEZNS1_10merge_implIS3_NS0_12zip_iteratorINS5_IJN6thrust23THRUST_200600_302600_NS10device_ptrIiEESE_EEEEESG_SG_PS7_SH_SH_NSC_11hip_rocprim7__merge17predicate_wrapperIiiNSC_4lessIiEEEEEE10hipError_tPvRmT0_T1_T2_T3_T4_T5_mmT6_P12ihipStream_tbEUlT_E_NS1_11comp_targetILNS1_3genE2ELNS1_11target_archE906ELNS1_3gpuE6ELNS1_3repE0EEENS1_30default_config_static_selectorELNS0_4arch9wavefront6targetE0EEEvSS_
		.amdhsa_group_segment_fixed_size 0
		.amdhsa_private_segment_fixed_size 0
		.amdhsa_kernarg_size 64
		.amdhsa_user_sgpr_count 6
		.amdhsa_user_sgpr_private_segment_buffer 1
		.amdhsa_user_sgpr_dispatch_ptr 0
		.amdhsa_user_sgpr_queue_ptr 0
		.amdhsa_user_sgpr_kernarg_segment_ptr 1
		.amdhsa_user_sgpr_dispatch_id 0
		.amdhsa_user_sgpr_flat_scratch_init 0
		.amdhsa_user_sgpr_private_segment_size 0
		.amdhsa_wavefront_size32 1
		.amdhsa_uses_dynamic_stack 0
		.amdhsa_system_sgpr_private_segment_wavefront_offset 0
		.amdhsa_system_sgpr_workgroup_id_x 1
		.amdhsa_system_sgpr_workgroup_id_y 0
		.amdhsa_system_sgpr_workgroup_id_z 0
		.amdhsa_system_sgpr_workgroup_info 0
		.amdhsa_system_vgpr_workitem_id 0
		.amdhsa_next_free_vgpr 1
		.amdhsa_next_free_sgpr 1
		.amdhsa_reserve_vcc 0
		.amdhsa_reserve_flat_scratch 0
		.amdhsa_float_round_mode_32 0
		.amdhsa_float_round_mode_16_64 0
		.amdhsa_float_denorm_mode_32 3
		.amdhsa_float_denorm_mode_16_64 3
		.amdhsa_dx10_clamp 1
		.amdhsa_ieee_mode 1
		.amdhsa_fp16_overflow 0
		.amdhsa_workgroup_processor_mode 1
		.amdhsa_memory_ordered 1
		.amdhsa_forward_progress 1
		.amdhsa_shared_vgpr_count 0
		.amdhsa_exception_fp_ieee_invalid_op 0
		.amdhsa_exception_fp_denorm_src 0
		.amdhsa_exception_fp_ieee_div_zero 0
		.amdhsa_exception_fp_ieee_overflow 0
		.amdhsa_exception_fp_ieee_underflow 0
		.amdhsa_exception_fp_ieee_inexact 0
		.amdhsa_exception_int_div_zero 0
	.end_amdhsa_kernel
	.section	.text._ZN7rocprim17ROCPRIM_400000_NS6detail17trampoline_kernelINS0_14default_configENS1_21merge_config_selectorINS0_5tupleIJiiEEENS0_10empty_typeEEEZNS1_10merge_implIS3_NS0_12zip_iteratorINS5_IJN6thrust23THRUST_200600_302600_NS10device_ptrIiEESE_EEEEESG_SG_PS7_SH_SH_NSC_11hip_rocprim7__merge17predicate_wrapperIiiNSC_4lessIiEEEEEE10hipError_tPvRmT0_T1_T2_T3_T4_T5_mmT6_P12ihipStream_tbEUlT_E_NS1_11comp_targetILNS1_3genE2ELNS1_11target_archE906ELNS1_3gpuE6ELNS1_3repE0EEENS1_30default_config_static_selectorELNS0_4arch9wavefront6targetE0EEEvSS_,"axG",@progbits,_ZN7rocprim17ROCPRIM_400000_NS6detail17trampoline_kernelINS0_14default_configENS1_21merge_config_selectorINS0_5tupleIJiiEEENS0_10empty_typeEEEZNS1_10merge_implIS3_NS0_12zip_iteratorINS5_IJN6thrust23THRUST_200600_302600_NS10device_ptrIiEESE_EEEEESG_SG_PS7_SH_SH_NSC_11hip_rocprim7__merge17predicate_wrapperIiiNSC_4lessIiEEEEEE10hipError_tPvRmT0_T1_T2_T3_T4_T5_mmT6_P12ihipStream_tbEUlT_E_NS1_11comp_targetILNS1_3genE2ELNS1_11target_archE906ELNS1_3gpuE6ELNS1_3repE0EEENS1_30default_config_static_selectorELNS0_4arch9wavefront6targetE0EEEvSS_,comdat
.Lfunc_end628:
	.size	_ZN7rocprim17ROCPRIM_400000_NS6detail17trampoline_kernelINS0_14default_configENS1_21merge_config_selectorINS0_5tupleIJiiEEENS0_10empty_typeEEEZNS1_10merge_implIS3_NS0_12zip_iteratorINS5_IJN6thrust23THRUST_200600_302600_NS10device_ptrIiEESE_EEEEESG_SG_PS7_SH_SH_NSC_11hip_rocprim7__merge17predicate_wrapperIiiNSC_4lessIiEEEEEE10hipError_tPvRmT0_T1_T2_T3_T4_T5_mmT6_P12ihipStream_tbEUlT_E_NS1_11comp_targetILNS1_3genE2ELNS1_11target_archE906ELNS1_3gpuE6ELNS1_3repE0EEENS1_30default_config_static_selectorELNS0_4arch9wavefront6targetE0EEEvSS_, .Lfunc_end628-_ZN7rocprim17ROCPRIM_400000_NS6detail17trampoline_kernelINS0_14default_configENS1_21merge_config_selectorINS0_5tupleIJiiEEENS0_10empty_typeEEEZNS1_10merge_implIS3_NS0_12zip_iteratorINS5_IJN6thrust23THRUST_200600_302600_NS10device_ptrIiEESE_EEEEESG_SG_PS7_SH_SH_NSC_11hip_rocprim7__merge17predicate_wrapperIiiNSC_4lessIiEEEEEE10hipError_tPvRmT0_T1_T2_T3_T4_T5_mmT6_P12ihipStream_tbEUlT_E_NS1_11comp_targetILNS1_3genE2ELNS1_11target_archE906ELNS1_3gpuE6ELNS1_3repE0EEENS1_30default_config_static_selectorELNS0_4arch9wavefront6targetE0EEEvSS_
                                        ; -- End function
	.set _ZN7rocprim17ROCPRIM_400000_NS6detail17trampoline_kernelINS0_14default_configENS1_21merge_config_selectorINS0_5tupleIJiiEEENS0_10empty_typeEEEZNS1_10merge_implIS3_NS0_12zip_iteratorINS5_IJN6thrust23THRUST_200600_302600_NS10device_ptrIiEESE_EEEEESG_SG_PS7_SH_SH_NSC_11hip_rocprim7__merge17predicate_wrapperIiiNSC_4lessIiEEEEEE10hipError_tPvRmT0_T1_T2_T3_T4_T5_mmT6_P12ihipStream_tbEUlT_E_NS1_11comp_targetILNS1_3genE2ELNS1_11target_archE906ELNS1_3gpuE6ELNS1_3repE0EEENS1_30default_config_static_selectorELNS0_4arch9wavefront6targetE0EEEvSS_.num_vgpr, 0
	.set _ZN7rocprim17ROCPRIM_400000_NS6detail17trampoline_kernelINS0_14default_configENS1_21merge_config_selectorINS0_5tupleIJiiEEENS0_10empty_typeEEEZNS1_10merge_implIS3_NS0_12zip_iteratorINS5_IJN6thrust23THRUST_200600_302600_NS10device_ptrIiEESE_EEEEESG_SG_PS7_SH_SH_NSC_11hip_rocprim7__merge17predicate_wrapperIiiNSC_4lessIiEEEEEE10hipError_tPvRmT0_T1_T2_T3_T4_T5_mmT6_P12ihipStream_tbEUlT_E_NS1_11comp_targetILNS1_3genE2ELNS1_11target_archE906ELNS1_3gpuE6ELNS1_3repE0EEENS1_30default_config_static_selectorELNS0_4arch9wavefront6targetE0EEEvSS_.num_agpr, 0
	.set _ZN7rocprim17ROCPRIM_400000_NS6detail17trampoline_kernelINS0_14default_configENS1_21merge_config_selectorINS0_5tupleIJiiEEENS0_10empty_typeEEEZNS1_10merge_implIS3_NS0_12zip_iteratorINS5_IJN6thrust23THRUST_200600_302600_NS10device_ptrIiEESE_EEEEESG_SG_PS7_SH_SH_NSC_11hip_rocprim7__merge17predicate_wrapperIiiNSC_4lessIiEEEEEE10hipError_tPvRmT0_T1_T2_T3_T4_T5_mmT6_P12ihipStream_tbEUlT_E_NS1_11comp_targetILNS1_3genE2ELNS1_11target_archE906ELNS1_3gpuE6ELNS1_3repE0EEENS1_30default_config_static_selectorELNS0_4arch9wavefront6targetE0EEEvSS_.numbered_sgpr, 0
	.set _ZN7rocprim17ROCPRIM_400000_NS6detail17trampoline_kernelINS0_14default_configENS1_21merge_config_selectorINS0_5tupleIJiiEEENS0_10empty_typeEEEZNS1_10merge_implIS3_NS0_12zip_iteratorINS5_IJN6thrust23THRUST_200600_302600_NS10device_ptrIiEESE_EEEEESG_SG_PS7_SH_SH_NSC_11hip_rocprim7__merge17predicate_wrapperIiiNSC_4lessIiEEEEEE10hipError_tPvRmT0_T1_T2_T3_T4_T5_mmT6_P12ihipStream_tbEUlT_E_NS1_11comp_targetILNS1_3genE2ELNS1_11target_archE906ELNS1_3gpuE6ELNS1_3repE0EEENS1_30default_config_static_selectorELNS0_4arch9wavefront6targetE0EEEvSS_.num_named_barrier, 0
	.set _ZN7rocprim17ROCPRIM_400000_NS6detail17trampoline_kernelINS0_14default_configENS1_21merge_config_selectorINS0_5tupleIJiiEEENS0_10empty_typeEEEZNS1_10merge_implIS3_NS0_12zip_iteratorINS5_IJN6thrust23THRUST_200600_302600_NS10device_ptrIiEESE_EEEEESG_SG_PS7_SH_SH_NSC_11hip_rocprim7__merge17predicate_wrapperIiiNSC_4lessIiEEEEEE10hipError_tPvRmT0_T1_T2_T3_T4_T5_mmT6_P12ihipStream_tbEUlT_E_NS1_11comp_targetILNS1_3genE2ELNS1_11target_archE906ELNS1_3gpuE6ELNS1_3repE0EEENS1_30default_config_static_selectorELNS0_4arch9wavefront6targetE0EEEvSS_.private_seg_size, 0
	.set _ZN7rocprim17ROCPRIM_400000_NS6detail17trampoline_kernelINS0_14default_configENS1_21merge_config_selectorINS0_5tupleIJiiEEENS0_10empty_typeEEEZNS1_10merge_implIS3_NS0_12zip_iteratorINS5_IJN6thrust23THRUST_200600_302600_NS10device_ptrIiEESE_EEEEESG_SG_PS7_SH_SH_NSC_11hip_rocprim7__merge17predicate_wrapperIiiNSC_4lessIiEEEEEE10hipError_tPvRmT0_T1_T2_T3_T4_T5_mmT6_P12ihipStream_tbEUlT_E_NS1_11comp_targetILNS1_3genE2ELNS1_11target_archE906ELNS1_3gpuE6ELNS1_3repE0EEENS1_30default_config_static_selectorELNS0_4arch9wavefront6targetE0EEEvSS_.uses_vcc, 0
	.set _ZN7rocprim17ROCPRIM_400000_NS6detail17trampoline_kernelINS0_14default_configENS1_21merge_config_selectorINS0_5tupleIJiiEEENS0_10empty_typeEEEZNS1_10merge_implIS3_NS0_12zip_iteratorINS5_IJN6thrust23THRUST_200600_302600_NS10device_ptrIiEESE_EEEEESG_SG_PS7_SH_SH_NSC_11hip_rocprim7__merge17predicate_wrapperIiiNSC_4lessIiEEEEEE10hipError_tPvRmT0_T1_T2_T3_T4_T5_mmT6_P12ihipStream_tbEUlT_E_NS1_11comp_targetILNS1_3genE2ELNS1_11target_archE906ELNS1_3gpuE6ELNS1_3repE0EEENS1_30default_config_static_selectorELNS0_4arch9wavefront6targetE0EEEvSS_.uses_flat_scratch, 0
	.set _ZN7rocprim17ROCPRIM_400000_NS6detail17trampoline_kernelINS0_14default_configENS1_21merge_config_selectorINS0_5tupleIJiiEEENS0_10empty_typeEEEZNS1_10merge_implIS3_NS0_12zip_iteratorINS5_IJN6thrust23THRUST_200600_302600_NS10device_ptrIiEESE_EEEEESG_SG_PS7_SH_SH_NSC_11hip_rocprim7__merge17predicate_wrapperIiiNSC_4lessIiEEEEEE10hipError_tPvRmT0_T1_T2_T3_T4_T5_mmT6_P12ihipStream_tbEUlT_E_NS1_11comp_targetILNS1_3genE2ELNS1_11target_archE906ELNS1_3gpuE6ELNS1_3repE0EEENS1_30default_config_static_selectorELNS0_4arch9wavefront6targetE0EEEvSS_.has_dyn_sized_stack, 0
	.set _ZN7rocprim17ROCPRIM_400000_NS6detail17trampoline_kernelINS0_14default_configENS1_21merge_config_selectorINS0_5tupleIJiiEEENS0_10empty_typeEEEZNS1_10merge_implIS3_NS0_12zip_iteratorINS5_IJN6thrust23THRUST_200600_302600_NS10device_ptrIiEESE_EEEEESG_SG_PS7_SH_SH_NSC_11hip_rocprim7__merge17predicate_wrapperIiiNSC_4lessIiEEEEEE10hipError_tPvRmT0_T1_T2_T3_T4_T5_mmT6_P12ihipStream_tbEUlT_E_NS1_11comp_targetILNS1_3genE2ELNS1_11target_archE906ELNS1_3gpuE6ELNS1_3repE0EEENS1_30default_config_static_selectorELNS0_4arch9wavefront6targetE0EEEvSS_.has_recursion, 0
	.set _ZN7rocprim17ROCPRIM_400000_NS6detail17trampoline_kernelINS0_14default_configENS1_21merge_config_selectorINS0_5tupleIJiiEEENS0_10empty_typeEEEZNS1_10merge_implIS3_NS0_12zip_iteratorINS5_IJN6thrust23THRUST_200600_302600_NS10device_ptrIiEESE_EEEEESG_SG_PS7_SH_SH_NSC_11hip_rocprim7__merge17predicate_wrapperIiiNSC_4lessIiEEEEEE10hipError_tPvRmT0_T1_T2_T3_T4_T5_mmT6_P12ihipStream_tbEUlT_E_NS1_11comp_targetILNS1_3genE2ELNS1_11target_archE906ELNS1_3gpuE6ELNS1_3repE0EEENS1_30default_config_static_selectorELNS0_4arch9wavefront6targetE0EEEvSS_.has_indirect_call, 0
	.section	.AMDGPU.csdata,"",@progbits
; Kernel info:
; codeLenInByte = 0
; TotalNumSgprs: 0
; NumVgprs: 0
; ScratchSize: 0
; MemoryBound: 0
; FloatMode: 240
; IeeeMode: 1
; LDSByteSize: 0 bytes/workgroup (compile time only)
; SGPRBlocks: 0
; VGPRBlocks: 0
; NumSGPRsForWavesPerEU: 1
; NumVGPRsForWavesPerEU: 1
; Occupancy: 16
; WaveLimiterHint : 0
; COMPUTE_PGM_RSRC2:SCRATCH_EN: 0
; COMPUTE_PGM_RSRC2:USER_SGPR: 6
; COMPUTE_PGM_RSRC2:TRAP_HANDLER: 0
; COMPUTE_PGM_RSRC2:TGID_X_EN: 1
; COMPUTE_PGM_RSRC2:TGID_Y_EN: 0
; COMPUTE_PGM_RSRC2:TGID_Z_EN: 0
; COMPUTE_PGM_RSRC2:TIDIG_COMP_CNT: 0
	.section	.text._ZN7rocprim17ROCPRIM_400000_NS6detail17trampoline_kernelINS0_14default_configENS1_21merge_config_selectorINS0_5tupleIJiiEEENS0_10empty_typeEEEZNS1_10merge_implIS3_NS0_12zip_iteratorINS5_IJN6thrust23THRUST_200600_302600_NS10device_ptrIiEESE_EEEEESG_SG_PS7_SH_SH_NSC_11hip_rocprim7__merge17predicate_wrapperIiiNSC_4lessIiEEEEEE10hipError_tPvRmT0_T1_T2_T3_T4_T5_mmT6_P12ihipStream_tbEUlT_E_NS1_11comp_targetILNS1_3genE10ELNS1_11target_archE1201ELNS1_3gpuE5ELNS1_3repE0EEENS1_30default_config_static_selectorELNS0_4arch9wavefront6targetE0EEEvSS_,"axG",@progbits,_ZN7rocprim17ROCPRIM_400000_NS6detail17trampoline_kernelINS0_14default_configENS1_21merge_config_selectorINS0_5tupleIJiiEEENS0_10empty_typeEEEZNS1_10merge_implIS3_NS0_12zip_iteratorINS5_IJN6thrust23THRUST_200600_302600_NS10device_ptrIiEESE_EEEEESG_SG_PS7_SH_SH_NSC_11hip_rocprim7__merge17predicate_wrapperIiiNSC_4lessIiEEEEEE10hipError_tPvRmT0_T1_T2_T3_T4_T5_mmT6_P12ihipStream_tbEUlT_E_NS1_11comp_targetILNS1_3genE10ELNS1_11target_archE1201ELNS1_3gpuE5ELNS1_3repE0EEENS1_30default_config_static_selectorELNS0_4arch9wavefront6targetE0EEEvSS_,comdat
	.protected	_ZN7rocprim17ROCPRIM_400000_NS6detail17trampoline_kernelINS0_14default_configENS1_21merge_config_selectorINS0_5tupleIJiiEEENS0_10empty_typeEEEZNS1_10merge_implIS3_NS0_12zip_iteratorINS5_IJN6thrust23THRUST_200600_302600_NS10device_ptrIiEESE_EEEEESG_SG_PS7_SH_SH_NSC_11hip_rocprim7__merge17predicate_wrapperIiiNSC_4lessIiEEEEEE10hipError_tPvRmT0_T1_T2_T3_T4_T5_mmT6_P12ihipStream_tbEUlT_E_NS1_11comp_targetILNS1_3genE10ELNS1_11target_archE1201ELNS1_3gpuE5ELNS1_3repE0EEENS1_30default_config_static_selectorELNS0_4arch9wavefront6targetE0EEEvSS_ ; -- Begin function _ZN7rocprim17ROCPRIM_400000_NS6detail17trampoline_kernelINS0_14default_configENS1_21merge_config_selectorINS0_5tupleIJiiEEENS0_10empty_typeEEEZNS1_10merge_implIS3_NS0_12zip_iteratorINS5_IJN6thrust23THRUST_200600_302600_NS10device_ptrIiEESE_EEEEESG_SG_PS7_SH_SH_NSC_11hip_rocprim7__merge17predicate_wrapperIiiNSC_4lessIiEEEEEE10hipError_tPvRmT0_T1_T2_T3_T4_T5_mmT6_P12ihipStream_tbEUlT_E_NS1_11comp_targetILNS1_3genE10ELNS1_11target_archE1201ELNS1_3gpuE5ELNS1_3repE0EEENS1_30default_config_static_selectorELNS0_4arch9wavefront6targetE0EEEvSS_
	.globl	_ZN7rocprim17ROCPRIM_400000_NS6detail17trampoline_kernelINS0_14default_configENS1_21merge_config_selectorINS0_5tupleIJiiEEENS0_10empty_typeEEEZNS1_10merge_implIS3_NS0_12zip_iteratorINS5_IJN6thrust23THRUST_200600_302600_NS10device_ptrIiEESE_EEEEESG_SG_PS7_SH_SH_NSC_11hip_rocprim7__merge17predicate_wrapperIiiNSC_4lessIiEEEEEE10hipError_tPvRmT0_T1_T2_T3_T4_T5_mmT6_P12ihipStream_tbEUlT_E_NS1_11comp_targetILNS1_3genE10ELNS1_11target_archE1201ELNS1_3gpuE5ELNS1_3repE0EEENS1_30default_config_static_selectorELNS0_4arch9wavefront6targetE0EEEvSS_
	.p2align	8
	.type	_ZN7rocprim17ROCPRIM_400000_NS6detail17trampoline_kernelINS0_14default_configENS1_21merge_config_selectorINS0_5tupleIJiiEEENS0_10empty_typeEEEZNS1_10merge_implIS3_NS0_12zip_iteratorINS5_IJN6thrust23THRUST_200600_302600_NS10device_ptrIiEESE_EEEEESG_SG_PS7_SH_SH_NSC_11hip_rocprim7__merge17predicate_wrapperIiiNSC_4lessIiEEEEEE10hipError_tPvRmT0_T1_T2_T3_T4_T5_mmT6_P12ihipStream_tbEUlT_E_NS1_11comp_targetILNS1_3genE10ELNS1_11target_archE1201ELNS1_3gpuE5ELNS1_3repE0EEENS1_30default_config_static_selectorELNS0_4arch9wavefront6targetE0EEEvSS_,@function
_ZN7rocprim17ROCPRIM_400000_NS6detail17trampoline_kernelINS0_14default_configENS1_21merge_config_selectorINS0_5tupleIJiiEEENS0_10empty_typeEEEZNS1_10merge_implIS3_NS0_12zip_iteratorINS5_IJN6thrust23THRUST_200600_302600_NS10device_ptrIiEESE_EEEEESG_SG_PS7_SH_SH_NSC_11hip_rocprim7__merge17predicate_wrapperIiiNSC_4lessIiEEEEEE10hipError_tPvRmT0_T1_T2_T3_T4_T5_mmT6_P12ihipStream_tbEUlT_E_NS1_11comp_targetILNS1_3genE10ELNS1_11target_archE1201ELNS1_3gpuE5ELNS1_3repE0EEENS1_30default_config_static_selectorELNS0_4arch9wavefront6targetE0EEEvSS_: ; @_ZN7rocprim17ROCPRIM_400000_NS6detail17trampoline_kernelINS0_14default_configENS1_21merge_config_selectorINS0_5tupleIJiiEEENS0_10empty_typeEEEZNS1_10merge_implIS3_NS0_12zip_iteratorINS5_IJN6thrust23THRUST_200600_302600_NS10device_ptrIiEESE_EEEEESG_SG_PS7_SH_SH_NSC_11hip_rocprim7__merge17predicate_wrapperIiiNSC_4lessIiEEEEEE10hipError_tPvRmT0_T1_T2_T3_T4_T5_mmT6_P12ihipStream_tbEUlT_E_NS1_11comp_targetILNS1_3genE10ELNS1_11target_archE1201ELNS1_3gpuE5ELNS1_3repE0EEENS1_30default_config_static_selectorELNS0_4arch9wavefront6targetE0EEEvSS_
; %bb.0:
	.section	.rodata,"a",@progbits
	.p2align	6, 0x0
	.amdhsa_kernel _ZN7rocprim17ROCPRIM_400000_NS6detail17trampoline_kernelINS0_14default_configENS1_21merge_config_selectorINS0_5tupleIJiiEEENS0_10empty_typeEEEZNS1_10merge_implIS3_NS0_12zip_iteratorINS5_IJN6thrust23THRUST_200600_302600_NS10device_ptrIiEESE_EEEEESG_SG_PS7_SH_SH_NSC_11hip_rocprim7__merge17predicate_wrapperIiiNSC_4lessIiEEEEEE10hipError_tPvRmT0_T1_T2_T3_T4_T5_mmT6_P12ihipStream_tbEUlT_E_NS1_11comp_targetILNS1_3genE10ELNS1_11target_archE1201ELNS1_3gpuE5ELNS1_3repE0EEENS1_30default_config_static_selectorELNS0_4arch9wavefront6targetE0EEEvSS_
		.amdhsa_group_segment_fixed_size 0
		.amdhsa_private_segment_fixed_size 0
		.amdhsa_kernarg_size 64
		.amdhsa_user_sgpr_count 6
		.amdhsa_user_sgpr_private_segment_buffer 1
		.amdhsa_user_sgpr_dispatch_ptr 0
		.amdhsa_user_sgpr_queue_ptr 0
		.amdhsa_user_sgpr_kernarg_segment_ptr 1
		.amdhsa_user_sgpr_dispatch_id 0
		.amdhsa_user_sgpr_flat_scratch_init 0
		.amdhsa_user_sgpr_private_segment_size 0
		.amdhsa_wavefront_size32 1
		.amdhsa_uses_dynamic_stack 0
		.amdhsa_system_sgpr_private_segment_wavefront_offset 0
		.amdhsa_system_sgpr_workgroup_id_x 1
		.amdhsa_system_sgpr_workgroup_id_y 0
		.amdhsa_system_sgpr_workgroup_id_z 0
		.amdhsa_system_sgpr_workgroup_info 0
		.amdhsa_system_vgpr_workitem_id 0
		.amdhsa_next_free_vgpr 1
		.amdhsa_next_free_sgpr 1
		.amdhsa_reserve_vcc 0
		.amdhsa_reserve_flat_scratch 0
		.amdhsa_float_round_mode_32 0
		.amdhsa_float_round_mode_16_64 0
		.amdhsa_float_denorm_mode_32 3
		.amdhsa_float_denorm_mode_16_64 3
		.amdhsa_dx10_clamp 1
		.amdhsa_ieee_mode 1
		.amdhsa_fp16_overflow 0
		.amdhsa_workgroup_processor_mode 1
		.amdhsa_memory_ordered 1
		.amdhsa_forward_progress 1
		.amdhsa_shared_vgpr_count 0
		.amdhsa_exception_fp_ieee_invalid_op 0
		.amdhsa_exception_fp_denorm_src 0
		.amdhsa_exception_fp_ieee_div_zero 0
		.amdhsa_exception_fp_ieee_overflow 0
		.amdhsa_exception_fp_ieee_underflow 0
		.amdhsa_exception_fp_ieee_inexact 0
		.amdhsa_exception_int_div_zero 0
	.end_amdhsa_kernel
	.section	.text._ZN7rocprim17ROCPRIM_400000_NS6detail17trampoline_kernelINS0_14default_configENS1_21merge_config_selectorINS0_5tupleIJiiEEENS0_10empty_typeEEEZNS1_10merge_implIS3_NS0_12zip_iteratorINS5_IJN6thrust23THRUST_200600_302600_NS10device_ptrIiEESE_EEEEESG_SG_PS7_SH_SH_NSC_11hip_rocprim7__merge17predicate_wrapperIiiNSC_4lessIiEEEEEE10hipError_tPvRmT0_T1_T2_T3_T4_T5_mmT6_P12ihipStream_tbEUlT_E_NS1_11comp_targetILNS1_3genE10ELNS1_11target_archE1201ELNS1_3gpuE5ELNS1_3repE0EEENS1_30default_config_static_selectorELNS0_4arch9wavefront6targetE0EEEvSS_,"axG",@progbits,_ZN7rocprim17ROCPRIM_400000_NS6detail17trampoline_kernelINS0_14default_configENS1_21merge_config_selectorINS0_5tupleIJiiEEENS0_10empty_typeEEEZNS1_10merge_implIS3_NS0_12zip_iteratorINS5_IJN6thrust23THRUST_200600_302600_NS10device_ptrIiEESE_EEEEESG_SG_PS7_SH_SH_NSC_11hip_rocprim7__merge17predicate_wrapperIiiNSC_4lessIiEEEEEE10hipError_tPvRmT0_T1_T2_T3_T4_T5_mmT6_P12ihipStream_tbEUlT_E_NS1_11comp_targetILNS1_3genE10ELNS1_11target_archE1201ELNS1_3gpuE5ELNS1_3repE0EEENS1_30default_config_static_selectorELNS0_4arch9wavefront6targetE0EEEvSS_,comdat
.Lfunc_end629:
	.size	_ZN7rocprim17ROCPRIM_400000_NS6detail17trampoline_kernelINS0_14default_configENS1_21merge_config_selectorINS0_5tupleIJiiEEENS0_10empty_typeEEEZNS1_10merge_implIS3_NS0_12zip_iteratorINS5_IJN6thrust23THRUST_200600_302600_NS10device_ptrIiEESE_EEEEESG_SG_PS7_SH_SH_NSC_11hip_rocprim7__merge17predicate_wrapperIiiNSC_4lessIiEEEEEE10hipError_tPvRmT0_T1_T2_T3_T4_T5_mmT6_P12ihipStream_tbEUlT_E_NS1_11comp_targetILNS1_3genE10ELNS1_11target_archE1201ELNS1_3gpuE5ELNS1_3repE0EEENS1_30default_config_static_selectorELNS0_4arch9wavefront6targetE0EEEvSS_, .Lfunc_end629-_ZN7rocprim17ROCPRIM_400000_NS6detail17trampoline_kernelINS0_14default_configENS1_21merge_config_selectorINS0_5tupleIJiiEEENS0_10empty_typeEEEZNS1_10merge_implIS3_NS0_12zip_iteratorINS5_IJN6thrust23THRUST_200600_302600_NS10device_ptrIiEESE_EEEEESG_SG_PS7_SH_SH_NSC_11hip_rocprim7__merge17predicate_wrapperIiiNSC_4lessIiEEEEEE10hipError_tPvRmT0_T1_T2_T3_T4_T5_mmT6_P12ihipStream_tbEUlT_E_NS1_11comp_targetILNS1_3genE10ELNS1_11target_archE1201ELNS1_3gpuE5ELNS1_3repE0EEENS1_30default_config_static_selectorELNS0_4arch9wavefront6targetE0EEEvSS_
                                        ; -- End function
	.set _ZN7rocprim17ROCPRIM_400000_NS6detail17trampoline_kernelINS0_14default_configENS1_21merge_config_selectorINS0_5tupleIJiiEEENS0_10empty_typeEEEZNS1_10merge_implIS3_NS0_12zip_iteratorINS5_IJN6thrust23THRUST_200600_302600_NS10device_ptrIiEESE_EEEEESG_SG_PS7_SH_SH_NSC_11hip_rocprim7__merge17predicate_wrapperIiiNSC_4lessIiEEEEEE10hipError_tPvRmT0_T1_T2_T3_T4_T5_mmT6_P12ihipStream_tbEUlT_E_NS1_11comp_targetILNS1_3genE10ELNS1_11target_archE1201ELNS1_3gpuE5ELNS1_3repE0EEENS1_30default_config_static_selectorELNS0_4arch9wavefront6targetE0EEEvSS_.num_vgpr, 0
	.set _ZN7rocprim17ROCPRIM_400000_NS6detail17trampoline_kernelINS0_14default_configENS1_21merge_config_selectorINS0_5tupleIJiiEEENS0_10empty_typeEEEZNS1_10merge_implIS3_NS0_12zip_iteratorINS5_IJN6thrust23THRUST_200600_302600_NS10device_ptrIiEESE_EEEEESG_SG_PS7_SH_SH_NSC_11hip_rocprim7__merge17predicate_wrapperIiiNSC_4lessIiEEEEEE10hipError_tPvRmT0_T1_T2_T3_T4_T5_mmT6_P12ihipStream_tbEUlT_E_NS1_11comp_targetILNS1_3genE10ELNS1_11target_archE1201ELNS1_3gpuE5ELNS1_3repE0EEENS1_30default_config_static_selectorELNS0_4arch9wavefront6targetE0EEEvSS_.num_agpr, 0
	.set _ZN7rocprim17ROCPRIM_400000_NS6detail17trampoline_kernelINS0_14default_configENS1_21merge_config_selectorINS0_5tupleIJiiEEENS0_10empty_typeEEEZNS1_10merge_implIS3_NS0_12zip_iteratorINS5_IJN6thrust23THRUST_200600_302600_NS10device_ptrIiEESE_EEEEESG_SG_PS7_SH_SH_NSC_11hip_rocprim7__merge17predicate_wrapperIiiNSC_4lessIiEEEEEE10hipError_tPvRmT0_T1_T2_T3_T4_T5_mmT6_P12ihipStream_tbEUlT_E_NS1_11comp_targetILNS1_3genE10ELNS1_11target_archE1201ELNS1_3gpuE5ELNS1_3repE0EEENS1_30default_config_static_selectorELNS0_4arch9wavefront6targetE0EEEvSS_.numbered_sgpr, 0
	.set _ZN7rocprim17ROCPRIM_400000_NS6detail17trampoline_kernelINS0_14default_configENS1_21merge_config_selectorINS0_5tupleIJiiEEENS0_10empty_typeEEEZNS1_10merge_implIS3_NS0_12zip_iteratorINS5_IJN6thrust23THRUST_200600_302600_NS10device_ptrIiEESE_EEEEESG_SG_PS7_SH_SH_NSC_11hip_rocprim7__merge17predicate_wrapperIiiNSC_4lessIiEEEEEE10hipError_tPvRmT0_T1_T2_T3_T4_T5_mmT6_P12ihipStream_tbEUlT_E_NS1_11comp_targetILNS1_3genE10ELNS1_11target_archE1201ELNS1_3gpuE5ELNS1_3repE0EEENS1_30default_config_static_selectorELNS0_4arch9wavefront6targetE0EEEvSS_.num_named_barrier, 0
	.set _ZN7rocprim17ROCPRIM_400000_NS6detail17trampoline_kernelINS0_14default_configENS1_21merge_config_selectorINS0_5tupleIJiiEEENS0_10empty_typeEEEZNS1_10merge_implIS3_NS0_12zip_iteratorINS5_IJN6thrust23THRUST_200600_302600_NS10device_ptrIiEESE_EEEEESG_SG_PS7_SH_SH_NSC_11hip_rocprim7__merge17predicate_wrapperIiiNSC_4lessIiEEEEEE10hipError_tPvRmT0_T1_T2_T3_T4_T5_mmT6_P12ihipStream_tbEUlT_E_NS1_11comp_targetILNS1_3genE10ELNS1_11target_archE1201ELNS1_3gpuE5ELNS1_3repE0EEENS1_30default_config_static_selectorELNS0_4arch9wavefront6targetE0EEEvSS_.private_seg_size, 0
	.set _ZN7rocprim17ROCPRIM_400000_NS6detail17trampoline_kernelINS0_14default_configENS1_21merge_config_selectorINS0_5tupleIJiiEEENS0_10empty_typeEEEZNS1_10merge_implIS3_NS0_12zip_iteratorINS5_IJN6thrust23THRUST_200600_302600_NS10device_ptrIiEESE_EEEEESG_SG_PS7_SH_SH_NSC_11hip_rocprim7__merge17predicate_wrapperIiiNSC_4lessIiEEEEEE10hipError_tPvRmT0_T1_T2_T3_T4_T5_mmT6_P12ihipStream_tbEUlT_E_NS1_11comp_targetILNS1_3genE10ELNS1_11target_archE1201ELNS1_3gpuE5ELNS1_3repE0EEENS1_30default_config_static_selectorELNS0_4arch9wavefront6targetE0EEEvSS_.uses_vcc, 0
	.set _ZN7rocprim17ROCPRIM_400000_NS6detail17trampoline_kernelINS0_14default_configENS1_21merge_config_selectorINS0_5tupleIJiiEEENS0_10empty_typeEEEZNS1_10merge_implIS3_NS0_12zip_iteratorINS5_IJN6thrust23THRUST_200600_302600_NS10device_ptrIiEESE_EEEEESG_SG_PS7_SH_SH_NSC_11hip_rocprim7__merge17predicate_wrapperIiiNSC_4lessIiEEEEEE10hipError_tPvRmT0_T1_T2_T3_T4_T5_mmT6_P12ihipStream_tbEUlT_E_NS1_11comp_targetILNS1_3genE10ELNS1_11target_archE1201ELNS1_3gpuE5ELNS1_3repE0EEENS1_30default_config_static_selectorELNS0_4arch9wavefront6targetE0EEEvSS_.uses_flat_scratch, 0
	.set _ZN7rocprim17ROCPRIM_400000_NS6detail17trampoline_kernelINS0_14default_configENS1_21merge_config_selectorINS0_5tupleIJiiEEENS0_10empty_typeEEEZNS1_10merge_implIS3_NS0_12zip_iteratorINS5_IJN6thrust23THRUST_200600_302600_NS10device_ptrIiEESE_EEEEESG_SG_PS7_SH_SH_NSC_11hip_rocprim7__merge17predicate_wrapperIiiNSC_4lessIiEEEEEE10hipError_tPvRmT0_T1_T2_T3_T4_T5_mmT6_P12ihipStream_tbEUlT_E_NS1_11comp_targetILNS1_3genE10ELNS1_11target_archE1201ELNS1_3gpuE5ELNS1_3repE0EEENS1_30default_config_static_selectorELNS0_4arch9wavefront6targetE0EEEvSS_.has_dyn_sized_stack, 0
	.set _ZN7rocprim17ROCPRIM_400000_NS6detail17trampoline_kernelINS0_14default_configENS1_21merge_config_selectorINS0_5tupleIJiiEEENS0_10empty_typeEEEZNS1_10merge_implIS3_NS0_12zip_iteratorINS5_IJN6thrust23THRUST_200600_302600_NS10device_ptrIiEESE_EEEEESG_SG_PS7_SH_SH_NSC_11hip_rocprim7__merge17predicate_wrapperIiiNSC_4lessIiEEEEEE10hipError_tPvRmT0_T1_T2_T3_T4_T5_mmT6_P12ihipStream_tbEUlT_E_NS1_11comp_targetILNS1_3genE10ELNS1_11target_archE1201ELNS1_3gpuE5ELNS1_3repE0EEENS1_30default_config_static_selectorELNS0_4arch9wavefront6targetE0EEEvSS_.has_recursion, 0
	.set _ZN7rocprim17ROCPRIM_400000_NS6detail17trampoline_kernelINS0_14default_configENS1_21merge_config_selectorINS0_5tupleIJiiEEENS0_10empty_typeEEEZNS1_10merge_implIS3_NS0_12zip_iteratorINS5_IJN6thrust23THRUST_200600_302600_NS10device_ptrIiEESE_EEEEESG_SG_PS7_SH_SH_NSC_11hip_rocprim7__merge17predicate_wrapperIiiNSC_4lessIiEEEEEE10hipError_tPvRmT0_T1_T2_T3_T4_T5_mmT6_P12ihipStream_tbEUlT_E_NS1_11comp_targetILNS1_3genE10ELNS1_11target_archE1201ELNS1_3gpuE5ELNS1_3repE0EEENS1_30default_config_static_selectorELNS0_4arch9wavefront6targetE0EEEvSS_.has_indirect_call, 0
	.section	.AMDGPU.csdata,"",@progbits
; Kernel info:
; codeLenInByte = 0
; TotalNumSgprs: 0
; NumVgprs: 0
; ScratchSize: 0
; MemoryBound: 0
; FloatMode: 240
; IeeeMode: 1
; LDSByteSize: 0 bytes/workgroup (compile time only)
; SGPRBlocks: 0
; VGPRBlocks: 0
; NumSGPRsForWavesPerEU: 1
; NumVGPRsForWavesPerEU: 1
; Occupancy: 16
; WaveLimiterHint : 0
; COMPUTE_PGM_RSRC2:SCRATCH_EN: 0
; COMPUTE_PGM_RSRC2:USER_SGPR: 6
; COMPUTE_PGM_RSRC2:TRAP_HANDLER: 0
; COMPUTE_PGM_RSRC2:TGID_X_EN: 1
; COMPUTE_PGM_RSRC2:TGID_Y_EN: 0
; COMPUTE_PGM_RSRC2:TGID_Z_EN: 0
; COMPUTE_PGM_RSRC2:TIDIG_COMP_CNT: 0
	.section	.text._ZN7rocprim17ROCPRIM_400000_NS6detail17trampoline_kernelINS0_14default_configENS1_21merge_config_selectorINS0_5tupleIJiiEEENS0_10empty_typeEEEZNS1_10merge_implIS3_NS0_12zip_iteratorINS5_IJN6thrust23THRUST_200600_302600_NS10device_ptrIiEESE_EEEEESG_SG_PS7_SH_SH_NSC_11hip_rocprim7__merge17predicate_wrapperIiiNSC_4lessIiEEEEEE10hipError_tPvRmT0_T1_T2_T3_T4_T5_mmT6_P12ihipStream_tbEUlT_E_NS1_11comp_targetILNS1_3genE10ELNS1_11target_archE1200ELNS1_3gpuE4ELNS1_3repE0EEENS1_30default_config_static_selectorELNS0_4arch9wavefront6targetE0EEEvSS_,"axG",@progbits,_ZN7rocprim17ROCPRIM_400000_NS6detail17trampoline_kernelINS0_14default_configENS1_21merge_config_selectorINS0_5tupleIJiiEEENS0_10empty_typeEEEZNS1_10merge_implIS3_NS0_12zip_iteratorINS5_IJN6thrust23THRUST_200600_302600_NS10device_ptrIiEESE_EEEEESG_SG_PS7_SH_SH_NSC_11hip_rocprim7__merge17predicate_wrapperIiiNSC_4lessIiEEEEEE10hipError_tPvRmT0_T1_T2_T3_T4_T5_mmT6_P12ihipStream_tbEUlT_E_NS1_11comp_targetILNS1_3genE10ELNS1_11target_archE1200ELNS1_3gpuE4ELNS1_3repE0EEENS1_30default_config_static_selectorELNS0_4arch9wavefront6targetE0EEEvSS_,comdat
	.protected	_ZN7rocprim17ROCPRIM_400000_NS6detail17trampoline_kernelINS0_14default_configENS1_21merge_config_selectorINS0_5tupleIJiiEEENS0_10empty_typeEEEZNS1_10merge_implIS3_NS0_12zip_iteratorINS5_IJN6thrust23THRUST_200600_302600_NS10device_ptrIiEESE_EEEEESG_SG_PS7_SH_SH_NSC_11hip_rocprim7__merge17predicate_wrapperIiiNSC_4lessIiEEEEEE10hipError_tPvRmT0_T1_T2_T3_T4_T5_mmT6_P12ihipStream_tbEUlT_E_NS1_11comp_targetILNS1_3genE10ELNS1_11target_archE1200ELNS1_3gpuE4ELNS1_3repE0EEENS1_30default_config_static_selectorELNS0_4arch9wavefront6targetE0EEEvSS_ ; -- Begin function _ZN7rocprim17ROCPRIM_400000_NS6detail17trampoline_kernelINS0_14default_configENS1_21merge_config_selectorINS0_5tupleIJiiEEENS0_10empty_typeEEEZNS1_10merge_implIS3_NS0_12zip_iteratorINS5_IJN6thrust23THRUST_200600_302600_NS10device_ptrIiEESE_EEEEESG_SG_PS7_SH_SH_NSC_11hip_rocprim7__merge17predicate_wrapperIiiNSC_4lessIiEEEEEE10hipError_tPvRmT0_T1_T2_T3_T4_T5_mmT6_P12ihipStream_tbEUlT_E_NS1_11comp_targetILNS1_3genE10ELNS1_11target_archE1200ELNS1_3gpuE4ELNS1_3repE0EEENS1_30default_config_static_selectorELNS0_4arch9wavefront6targetE0EEEvSS_
	.globl	_ZN7rocprim17ROCPRIM_400000_NS6detail17trampoline_kernelINS0_14default_configENS1_21merge_config_selectorINS0_5tupleIJiiEEENS0_10empty_typeEEEZNS1_10merge_implIS3_NS0_12zip_iteratorINS5_IJN6thrust23THRUST_200600_302600_NS10device_ptrIiEESE_EEEEESG_SG_PS7_SH_SH_NSC_11hip_rocprim7__merge17predicate_wrapperIiiNSC_4lessIiEEEEEE10hipError_tPvRmT0_T1_T2_T3_T4_T5_mmT6_P12ihipStream_tbEUlT_E_NS1_11comp_targetILNS1_3genE10ELNS1_11target_archE1200ELNS1_3gpuE4ELNS1_3repE0EEENS1_30default_config_static_selectorELNS0_4arch9wavefront6targetE0EEEvSS_
	.p2align	8
	.type	_ZN7rocprim17ROCPRIM_400000_NS6detail17trampoline_kernelINS0_14default_configENS1_21merge_config_selectorINS0_5tupleIJiiEEENS0_10empty_typeEEEZNS1_10merge_implIS3_NS0_12zip_iteratorINS5_IJN6thrust23THRUST_200600_302600_NS10device_ptrIiEESE_EEEEESG_SG_PS7_SH_SH_NSC_11hip_rocprim7__merge17predicate_wrapperIiiNSC_4lessIiEEEEEE10hipError_tPvRmT0_T1_T2_T3_T4_T5_mmT6_P12ihipStream_tbEUlT_E_NS1_11comp_targetILNS1_3genE10ELNS1_11target_archE1200ELNS1_3gpuE4ELNS1_3repE0EEENS1_30default_config_static_selectorELNS0_4arch9wavefront6targetE0EEEvSS_,@function
_ZN7rocprim17ROCPRIM_400000_NS6detail17trampoline_kernelINS0_14default_configENS1_21merge_config_selectorINS0_5tupleIJiiEEENS0_10empty_typeEEEZNS1_10merge_implIS3_NS0_12zip_iteratorINS5_IJN6thrust23THRUST_200600_302600_NS10device_ptrIiEESE_EEEEESG_SG_PS7_SH_SH_NSC_11hip_rocprim7__merge17predicate_wrapperIiiNSC_4lessIiEEEEEE10hipError_tPvRmT0_T1_T2_T3_T4_T5_mmT6_P12ihipStream_tbEUlT_E_NS1_11comp_targetILNS1_3genE10ELNS1_11target_archE1200ELNS1_3gpuE4ELNS1_3repE0EEENS1_30default_config_static_selectorELNS0_4arch9wavefront6targetE0EEEvSS_: ; @_ZN7rocprim17ROCPRIM_400000_NS6detail17trampoline_kernelINS0_14default_configENS1_21merge_config_selectorINS0_5tupleIJiiEEENS0_10empty_typeEEEZNS1_10merge_implIS3_NS0_12zip_iteratorINS5_IJN6thrust23THRUST_200600_302600_NS10device_ptrIiEESE_EEEEESG_SG_PS7_SH_SH_NSC_11hip_rocprim7__merge17predicate_wrapperIiiNSC_4lessIiEEEEEE10hipError_tPvRmT0_T1_T2_T3_T4_T5_mmT6_P12ihipStream_tbEUlT_E_NS1_11comp_targetILNS1_3genE10ELNS1_11target_archE1200ELNS1_3gpuE4ELNS1_3repE0EEENS1_30default_config_static_selectorELNS0_4arch9wavefront6targetE0EEEvSS_
; %bb.0:
	.section	.rodata,"a",@progbits
	.p2align	6, 0x0
	.amdhsa_kernel _ZN7rocprim17ROCPRIM_400000_NS6detail17trampoline_kernelINS0_14default_configENS1_21merge_config_selectorINS0_5tupleIJiiEEENS0_10empty_typeEEEZNS1_10merge_implIS3_NS0_12zip_iteratorINS5_IJN6thrust23THRUST_200600_302600_NS10device_ptrIiEESE_EEEEESG_SG_PS7_SH_SH_NSC_11hip_rocprim7__merge17predicate_wrapperIiiNSC_4lessIiEEEEEE10hipError_tPvRmT0_T1_T2_T3_T4_T5_mmT6_P12ihipStream_tbEUlT_E_NS1_11comp_targetILNS1_3genE10ELNS1_11target_archE1200ELNS1_3gpuE4ELNS1_3repE0EEENS1_30default_config_static_selectorELNS0_4arch9wavefront6targetE0EEEvSS_
		.amdhsa_group_segment_fixed_size 0
		.amdhsa_private_segment_fixed_size 0
		.amdhsa_kernarg_size 64
		.amdhsa_user_sgpr_count 6
		.amdhsa_user_sgpr_private_segment_buffer 1
		.amdhsa_user_sgpr_dispatch_ptr 0
		.amdhsa_user_sgpr_queue_ptr 0
		.amdhsa_user_sgpr_kernarg_segment_ptr 1
		.amdhsa_user_sgpr_dispatch_id 0
		.amdhsa_user_sgpr_flat_scratch_init 0
		.amdhsa_user_sgpr_private_segment_size 0
		.amdhsa_wavefront_size32 1
		.amdhsa_uses_dynamic_stack 0
		.amdhsa_system_sgpr_private_segment_wavefront_offset 0
		.amdhsa_system_sgpr_workgroup_id_x 1
		.amdhsa_system_sgpr_workgroup_id_y 0
		.amdhsa_system_sgpr_workgroup_id_z 0
		.amdhsa_system_sgpr_workgroup_info 0
		.amdhsa_system_vgpr_workitem_id 0
		.amdhsa_next_free_vgpr 1
		.amdhsa_next_free_sgpr 1
		.amdhsa_reserve_vcc 0
		.amdhsa_reserve_flat_scratch 0
		.amdhsa_float_round_mode_32 0
		.amdhsa_float_round_mode_16_64 0
		.amdhsa_float_denorm_mode_32 3
		.amdhsa_float_denorm_mode_16_64 3
		.amdhsa_dx10_clamp 1
		.amdhsa_ieee_mode 1
		.amdhsa_fp16_overflow 0
		.amdhsa_workgroup_processor_mode 1
		.amdhsa_memory_ordered 1
		.amdhsa_forward_progress 1
		.amdhsa_shared_vgpr_count 0
		.amdhsa_exception_fp_ieee_invalid_op 0
		.amdhsa_exception_fp_denorm_src 0
		.amdhsa_exception_fp_ieee_div_zero 0
		.amdhsa_exception_fp_ieee_overflow 0
		.amdhsa_exception_fp_ieee_underflow 0
		.amdhsa_exception_fp_ieee_inexact 0
		.amdhsa_exception_int_div_zero 0
	.end_amdhsa_kernel
	.section	.text._ZN7rocprim17ROCPRIM_400000_NS6detail17trampoline_kernelINS0_14default_configENS1_21merge_config_selectorINS0_5tupleIJiiEEENS0_10empty_typeEEEZNS1_10merge_implIS3_NS0_12zip_iteratorINS5_IJN6thrust23THRUST_200600_302600_NS10device_ptrIiEESE_EEEEESG_SG_PS7_SH_SH_NSC_11hip_rocprim7__merge17predicate_wrapperIiiNSC_4lessIiEEEEEE10hipError_tPvRmT0_T1_T2_T3_T4_T5_mmT6_P12ihipStream_tbEUlT_E_NS1_11comp_targetILNS1_3genE10ELNS1_11target_archE1200ELNS1_3gpuE4ELNS1_3repE0EEENS1_30default_config_static_selectorELNS0_4arch9wavefront6targetE0EEEvSS_,"axG",@progbits,_ZN7rocprim17ROCPRIM_400000_NS6detail17trampoline_kernelINS0_14default_configENS1_21merge_config_selectorINS0_5tupleIJiiEEENS0_10empty_typeEEEZNS1_10merge_implIS3_NS0_12zip_iteratorINS5_IJN6thrust23THRUST_200600_302600_NS10device_ptrIiEESE_EEEEESG_SG_PS7_SH_SH_NSC_11hip_rocprim7__merge17predicate_wrapperIiiNSC_4lessIiEEEEEE10hipError_tPvRmT0_T1_T2_T3_T4_T5_mmT6_P12ihipStream_tbEUlT_E_NS1_11comp_targetILNS1_3genE10ELNS1_11target_archE1200ELNS1_3gpuE4ELNS1_3repE0EEENS1_30default_config_static_selectorELNS0_4arch9wavefront6targetE0EEEvSS_,comdat
.Lfunc_end630:
	.size	_ZN7rocprim17ROCPRIM_400000_NS6detail17trampoline_kernelINS0_14default_configENS1_21merge_config_selectorINS0_5tupleIJiiEEENS0_10empty_typeEEEZNS1_10merge_implIS3_NS0_12zip_iteratorINS5_IJN6thrust23THRUST_200600_302600_NS10device_ptrIiEESE_EEEEESG_SG_PS7_SH_SH_NSC_11hip_rocprim7__merge17predicate_wrapperIiiNSC_4lessIiEEEEEE10hipError_tPvRmT0_T1_T2_T3_T4_T5_mmT6_P12ihipStream_tbEUlT_E_NS1_11comp_targetILNS1_3genE10ELNS1_11target_archE1200ELNS1_3gpuE4ELNS1_3repE0EEENS1_30default_config_static_selectorELNS0_4arch9wavefront6targetE0EEEvSS_, .Lfunc_end630-_ZN7rocprim17ROCPRIM_400000_NS6detail17trampoline_kernelINS0_14default_configENS1_21merge_config_selectorINS0_5tupleIJiiEEENS0_10empty_typeEEEZNS1_10merge_implIS3_NS0_12zip_iteratorINS5_IJN6thrust23THRUST_200600_302600_NS10device_ptrIiEESE_EEEEESG_SG_PS7_SH_SH_NSC_11hip_rocprim7__merge17predicate_wrapperIiiNSC_4lessIiEEEEEE10hipError_tPvRmT0_T1_T2_T3_T4_T5_mmT6_P12ihipStream_tbEUlT_E_NS1_11comp_targetILNS1_3genE10ELNS1_11target_archE1200ELNS1_3gpuE4ELNS1_3repE0EEENS1_30default_config_static_selectorELNS0_4arch9wavefront6targetE0EEEvSS_
                                        ; -- End function
	.set _ZN7rocprim17ROCPRIM_400000_NS6detail17trampoline_kernelINS0_14default_configENS1_21merge_config_selectorINS0_5tupleIJiiEEENS0_10empty_typeEEEZNS1_10merge_implIS3_NS0_12zip_iteratorINS5_IJN6thrust23THRUST_200600_302600_NS10device_ptrIiEESE_EEEEESG_SG_PS7_SH_SH_NSC_11hip_rocprim7__merge17predicate_wrapperIiiNSC_4lessIiEEEEEE10hipError_tPvRmT0_T1_T2_T3_T4_T5_mmT6_P12ihipStream_tbEUlT_E_NS1_11comp_targetILNS1_3genE10ELNS1_11target_archE1200ELNS1_3gpuE4ELNS1_3repE0EEENS1_30default_config_static_selectorELNS0_4arch9wavefront6targetE0EEEvSS_.num_vgpr, 0
	.set _ZN7rocprim17ROCPRIM_400000_NS6detail17trampoline_kernelINS0_14default_configENS1_21merge_config_selectorINS0_5tupleIJiiEEENS0_10empty_typeEEEZNS1_10merge_implIS3_NS0_12zip_iteratorINS5_IJN6thrust23THRUST_200600_302600_NS10device_ptrIiEESE_EEEEESG_SG_PS7_SH_SH_NSC_11hip_rocprim7__merge17predicate_wrapperIiiNSC_4lessIiEEEEEE10hipError_tPvRmT0_T1_T2_T3_T4_T5_mmT6_P12ihipStream_tbEUlT_E_NS1_11comp_targetILNS1_3genE10ELNS1_11target_archE1200ELNS1_3gpuE4ELNS1_3repE0EEENS1_30default_config_static_selectorELNS0_4arch9wavefront6targetE0EEEvSS_.num_agpr, 0
	.set _ZN7rocprim17ROCPRIM_400000_NS6detail17trampoline_kernelINS0_14default_configENS1_21merge_config_selectorINS0_5tupleIJiiEEENS0_10empty_typeEEEZNS1_10merge_implIS3_NS0_12zip_iteratorINS5_IJN6thrust23THRUST_200600_302600_NS10device_ptrIiEESE_EEEEESG_SG_PS7_SH_SH_NSC_11hip_rocprim7__merge17predicate_wrapperIiiNSC_4lessIiEEEEEE10hipError_tPvRmT0_T1_T2_T3_T4_T5_mmT6_P12ihipStream_tbEUlT_E_NS1_11comp_targetILNS1_3genE10ELNS1_11target_archE1200ELNS1_3gpuE4ELNS1_3repE0EEENS1_30default_config_static_selectorELNS0_4arch9wavefront6targetE0EEEvSS_.numbered_sgpr, 0
	.set _ZN7rocprim17ROCPRIM_400000_NS6detail17trampoline_kernelINS0_14default_configENS1_21merge_config_selectorINS0_5tupleIJiiEEENS0_10empty_typeEEEZNS1_10merge_implIS3_NS0_12zip_iteratorINS5_IJN6thrust23THRUST_200600_302600_NS10device_ptrIiEESE_EEEEESG_SG_PS7_SH_SH_NSC_11hip_rocprim7__merge17predicate_wrapperIiiNSC_4lessIiEEEEEE10hipError_tPvRmT0_T1_T2_T3_T4_T5_mmT6_P12ihipStream_tbEUlT_E_NS1_11comp_targetILNS1_3genE10ELNS1_11target_archE1200ELNS1_3gpuE4ELNS1_3repE0EEENS1_30default_config_static_selectorELNS0_4arch9wavefront6targetE0EEEvSS_.num_named_barrier, 0
	.set _ZN7rocprim17ROCPRIM_400000_NS6detail17trampoline_kernelINS0_14default_configENS1_21merge_config_selectorINS0_5tupleIJiiEEENS0_10empty_typeEEEZNS1_10merge_implIS3_NS0_12zip_iteratorINS5_IJN6thrust23THRUST_200600_302600_NS10device_ptrIiEESE_EEEEESG_SG_PS7_SH_SH_NSC_11hip_rocprim7__merge17predicate_wrapperIiiNSC_4lessIiEEEEEE10hipError_tPvRmT0_T1_T2_T3_T4_T5_mmT6_P12ihipStream_tbEUlT_E_NS1_11comp_targetILNS1_3genE10ELNS1_11target_archE1200ELNS1_3gpuE4ELNS1_3repE0EEENS1_30default_config_static_selectorELNS0_4arch9wavefront6targetE0EEEvSS_.private_seg_size, 0
	.set _ZN7rocprim17ROCPRIM_400000_NS6detail17trampoline_kernelINS0_14default_configENS1_21merge_config_selectorINS0_5tupleIJiiEEENS0_10empty_typeEEEZNS1_10merge_implIS3_NS0_12zip_iteratorINS5_IJN6thrust23THRUST_200600_302600_NS10device_ptrIiEESE_EEEEESG_SG_PS7_SH_SH_NSC_11hip_rocprim7__merge17predicate_wrapperIiiNSC_4lessIiEEEEEE10hipError_tPvRmT0_T1_T2_T3_T4_T5_mmT6_P12ihipStream_tbEUlT_E_NS1_11comp_targetILNS1_3genE10ELNS1_11target_archE1200ELNS1_3gpuE4ELNS1_3repE0EEENS1_30default_config_static_selectorELNS0_4arch9wavefront6targetE0EEEvSS_.uses_vcc, 0
	.set _ZN7rocprim17ROCPRIM_400000_NS6detail17trampoline_kernelINS0_14default_configENS1_21merge_config_selectorINS0_5tupleIJiiEEENS0_10empty_typeEEEZNS1_10merge_implIS3_NS0_12zip_iteratorINS5_IJN6thrust23THRUST_200600_302600_NS10device_ptrIiEESE_EEEEESG_SG_PS7_SH_SH_NSC_11hip_rocprim7__merge17predicate_wrapperIiiNSC_4lessIiEEEEEE10hipError_tPvRmT0_T1_T2_T3_T4_T5_mmT6_P12ihipStream_tbEUlT_E_NS1_11comp_targetILNS1_3genE10ELNS1_11target_archE1200ELNS1_3gpuE4ELNS1_3repE0EEENS1_30default_config_static_selectorELNS0_4arch9wavefront6targetE0EEEvSS_.uses_flat_scratch, 0
	.set _ZN7rocprim17ROCPRIM_400000_NS6detail17trampoline_kernelINS0_14default_configENS1_21merge_config_selectorINS0_5tupleIJiiEEENS0_10empty_typeEEEZNS1_10merge_implIS3_NS0_12zip_iteratorINS5_IJN6thrust23THRUST_200600_302600_NS10device_ptrIiEESE_EEEEESG_SG_PS7_SH_SH_NSC_11hip_rocprim7__merge17predicate_wrapperIiiNSC_4lessIiEEEEEE10hipError_tPvRmT0_T1_T2_T3_T4_T5_mmT6_P12ihipStream_tbEUlT_E_NS1_11comp_targetILNS1_3genE10ELNS1_11target_archE1200ELNS1_3gpuE4ELNS1_3repE0EEENS1_30default_config_static_selectorELNS0_4arch9wavefront6targetE0EEEvSS_.has_dyn_sized_stack, 0
	.set _ZN7rocprim17ROCPRIM_400000_NS6detail17trampoline_kernelINS0_14default_configENS1_21merge_config_selectorINS0_5tupleIJiiEEENS0_10empty_typeEEEZNS1_10merge_implIS3_NS0_12zip_iteratorINS5_IJN6thrust23THRUST_200600_302600_NS10device_ptrIiEESE_EEEEESG_SG_PS7_SH_SH_NSC_11hip_rocprim7__merge17predicate_wrapperIiiNSC_4lessIiEEEEEE10hipError_tPvRmT0_T1_T2_T3_T4_T5_mmT6_P12ihipStream_tbEUlT_E_NS1_11comp_targetILNS1_3genE10ELNS1_11target_archE1200ELNS1_3gpuE4ELNS1_3repE0EEENS1_30default_config_static_selectorELNS0_4arch9wavefront6targetE0EEEvSS_.has_recursion, 0
	.set _ZN7rocprim17ROCPRIM_400000_NS6detail17trampoline_kernelINS0_14default_configENS1_21merge_config_selectorINS0_5tupleIJiiEEENS0_10empty_typeEEEZNS1_10merge_implIS3_NS0_12zip_iteratorINS5_IJN6thrust23THRUST_200600_302600_NS10device_ptrIiEESE_EEEEESG_SG_PS7_SH_SH_NSC_11hip_rocprim7__merge17predicate_wrapperIiiNSC_4lessIiEEEEEE10hipError_tPvRmT0_T1_T2_T3_T4_T5_mmT6_P12ihipStream_tbEUlT_E_NS1_11comp_targetILNS1_3genE10ELNS1_11target_archE1200ELNS1_3gpuE4ELNS1_3repE0EEENS1_30default_config_static_selectorELNS0_4arch9wavefront6targetE0EEEvSS_.has_indirect_call, 0
	.section	.AMDGPU.csdata,"",@progbits
; Kernel info:
; codeLenInByte = 0
; TotalNumSgprs: 0
; NumVgprs: 0
; ScratchSize: 0
; MemoryBound: 0
; FloatMode: 240
; IeeeMode: 1
; LDSByteSize: 0 bytes/workgroup (compile time only)
; SGPRBlocks: 0
; VGPRBlocks: 0
; NumSGPRsForWavesPerEU: 1
; NumVGPRsForWavesPerEU: 1
; Occupancy: 16
; WaveLimiterHint : 0
; COMPUTE_PGM_RSRC2:SCRATCH_EN: 0
; COMPUTE_PGM_RSRC2:USER_SGPR: 6
; COMPUTE_PGM_RSRC2:TRAP_HANDLER: 0
; COMPUTE_PGM_RSRC2:TGID_X_EN: 1
; COMPUTE_PGM_RSRC2:TGID_Y_EN: 0
; COMPUTE_PGM_RSRC2:TGID_Z_EN: 0
; COMPUTE_PGM_RSRC2:TIDIG_COMP_CNT: 0
	.section	.text._ZN7rocprim17ROCPRIM_400000_NS6detail17trampoline_kernelINS0_14default_configENS1_21merge_config_selectorINS0_5tupleIJiiEEENS0_10empty_typeEEEZNS1_10merge_implIS3_NS0_12zip_iteratorINS5_IJN6thrust23THRUST_200600_302600_NS10device_ptrIiEESE_EEEEESG_SG_PS7_SH_SH_NSC_11hip_rocprim7__merge17predicate_wrapperIiiNSC_4lessIiEEEEEE10hipError_tPvRmT0_T1_T2_T3_T4_T5_mmT6_P12ihipStream_tbEUlT_E_NS1_11comp_targetILNS1_3genE9ELNS1_11target_archE1100ELNS1_3gpuE3ELNS1_3repE0EEENS1_30default_config_static_selectorELNS0_4arch9wavefront6targetE0EEEvSS_,"axG",@progbits,_ZN7rocprim17ROCPRIM_400000_NS6detail17trampoline_kernelINS0_14default_configENS1_21merge_config_selectorINS0_5tupleIJiiEEENS0_10empty_typeEEEZNS1_10merge_implIS3_NS0_12zip_iteratorINS5_IJN6thrust23THRUST_200600_302600_NS10device_ptrIiEESE_EEEEESG_SG_PS7_SH_SH_NSC_11hip_rocprim7__merge17predicate_wrapperIiiNSC_4lessIiEEEEEE10hipError_tPvRmT0_T1_T2_T3_T4_T5_mmT6_P12ihipStream_tbEUlT_E_NS1_11comp_targetILNS1_3genE9ELNS1_11target_archE1100ELNS1_3gpuE3ELNS1_3repE0EEENS1_30default_config_static_selectorELNS0_4arch9wavefront6targetE0EEEvSS_,comdat
	.protected	_ZN7rocprim17ROCPRIM_400000_NS6detail17trampoline_kernelINS0_14default_configENS1_21merge_config_selectorINS0_5tupleIJiiEEENS0_10empty_typeEEEZNS1_10merge_implIS3_NS0_12zip_iteratorINS5_IJN6thrust23THRUST_200600_302600_NS10device_ptrIiEESE_EEEEESG_SG_PS7_SH_SH_NSC_11hip_rocprim7__merge17predicate_wrapperIiiNSC_4lessIiEEEEEE10hipError_tPvRmT0_T1_T2_T3_T4_T5_mmT6_P12ihipStream_tbEUlT_E_NS1_11comp_targetILNS1_3genE9ELNS1_11target_archE1100ELNS1_3gpuE3ELNS1_3repE0EEENS1_30default_config_static_selectorELNS0_4arch9wavefront6targetE0EEEvSS_ ; -- Begin function _ZN7rocprim17ROCPRIM_400000_NS6detail17trampoline_kernelINS0_14default_configENS1_21merge_config_selectorINS0_5tupleIJiiEEENS0_10empty_typeEEEZNS1_10merge_implIS3_NS0_12zip_iteratorINS5_IJN6thrust23THRUST_200600_302600_NS10device_ptrIiEESE_EEEEESG_SG_PS7_SH_SH_NSC_11hip_rocprim7__merge17predicate_wrapperIiiNSC_4lessIiEEEEEE10hipError_tPvRmT0_T1_T2_T3_T4_T5_mmT6_P12ihipStream_tbEUlT_E_NS1_11comp_targetILNS1_3genE9ELNS1_11target_archE1100ELNS1_3gpuE3ELNS1_3repE0EEENS1_30default_config_static_selectorELNS0_4arch9wavefront6targetE0EEEvSS_
	.globl	_ZN7rocprim17ROCPRIM_400000_NS6detail17trampoline_kernelINS0_14default_configENS1_21merge_config_selectorINS0_5tupleIJiiEEENS0_10empty_typeEEEZNS1_10merge_implIS3_NS0_12zip_iteratorINS5_IJN6thrust23THRUST_200600_302600_NS10device_ptrIiEESE_EEEEESG_SG_PS7_SH_SH_NSC_11hip_rocprim7__merge17predicate_wrapperIiiNSC_4lessIiEEEEEE10hipError_tPvRmT0_T1_T2_T3_T4_T5_mmT6_P12ihipStream_tbEUlT_E_NS1_11comp_targetILNS1_3genE9ELNS1_11target_archE1100ELNS1_3gpuE3ELNS1_3repE0EEENS1_30default_config_static_selectorELNS0_4arch9wavefront6targetE0EEEvSS_
	.p2align	8
	.type	_ZN7rocprim17ROCPRIM_400000_NS6detail17trampoline_kernelINS0_14default_configENS1_21merge_config_selectorINS0_5tupleIJiiEEENS0_10empty_typeEEEZNS1_10merge_implIS3_NS0_12zip_iteratorINS5_IJN6thrust23THRUST_200600_302600_NS10device_ptrIiEESE_EEEEESG_SG_PS7_SH_SH_NSC_11hip_rocprim7__merge17predicate_wrapperIiiNSC_4lessIiEEEEEE10hipError_tPvRmT0_T1_T2_T3_T4_T5_mmT6_P12ihipStream_tbEUlT_E_NS1_11comp_targetILNS1_3genE9ELNS1_11target_archE1100ELNS1_3gpuE3ELNS1_3repE0EEENS1_30default_config_static_selectorELNS0_4arch9wavefront6targetE0EEEvSS_,@function
_ZN7rocprim17ROCPRIM_400000_NS6detail17trampoline_kernelINS0_14default_configENS1_21merge_config_selectorINS0_5tupleIJiiEEENS0_10empty_typeEEEZNS1_10merge_implIS3_NS0_12zip_iteratorINS5_IJN6thrust23THRUST_200600_302600_NS10device_ptrIiEESE_EEEEESG_SG_PS7_SH_SH_NSC_11hip_rocprim7__merge17predicate_wrapperIiiNSC_4lessIiEEEEEE10hipError_tPvRmT0_T1_T2_T3_T4_T5_mmT6_P12ihipStream_tbEUlT_E_NS1_11comp_targetILNS1_3genE9ELNS1_11target_archE1100ELNS1_3gpuE3ELNS1_3repE0EEENS1_30default_config_static_selectorELNS0_4arch9wavefront6targetE0EEEvSS_: ; @_ZN7rocprim17ROCPRIM_400000_NS6detail17trampoline_kernelINS0_14default_configENS1_21merge_config_selectorINS0_5tupleIJiiEEENS0_10empty_typeEEEZNS1_10merge_implIS3_NS0_12zip_iteratorINS5_IJN6thrust23THRUST_200600_302600_NS10device_ptrIiEESE_EEEEESG_SG_PS7_SH_SH_NSC_11hip_rocprim7__merge17predicate_wrapperIiiNSC_4lessIiEEEEEE10hipError_tPvRmT0_T1_T2_T3_T4_T5_mmT6_P12ihipStream_tbEUlT_E_NS1_11comp_targetILNS1_3genE9ELNS1_11target_archE1100ELNS1_3gpuE3ELNS1_3repE0EEENS1_30default_config_static_selectorELNS0_4arch9wavefront6targetE0EEEvSS_
; %bb.0:
	.section	.rodata,"a",@progbits
	.p2align	6, 0x0
	.amdhsa_kernel _ZN7rocprim17ROCPRIM_400000_NS6detail17trampoline_kernelINS0_14default_configENS1_21merge_config_selectorINS0_5tupleIJiiEEENS0_10empty_typeEEEZNS1_10merge_implIS3_NS0_12zip_iteratorINS5_IJN6thrust23THRUST_200600_302600_NS10device_ptrIiEESE_EEEEESG_SG_PS7_SH_SH_NSC_11hip_rocprim7__merge17predicate_wrapperIiiNSC_4lessIiEEEEEE10hipError_tPvRmT0_T1_T2_T3_T4_T5_mmT6_P12ihipStream_tbEUlT_E_NS1_11comp_targetILNS1_3genE9ELNS1_11target_archE1100ELNS1_3gpuE3ELNS1_3repE0EEENS1_30default_config_static_selectorELNS0_4arch9wavefront6targetE0EEEvSS_
		.amdhsa_group_segment_fixed_size 0
		.amdhsa_private_segment_fixed_size 0
		.amdhsa_kernarg_size 64
		.amdhsa_user_sgpr_count 6
		.amdhsa_user_sgpr_private_segment_buffer 1
		.amdhsa_user_sgpr_dispatch_ptr 0
		.amdhsa_user_sgpr_queue_ptr 0
		.amdhsa_user_sgpr_kernarg_segment_ptr 1
		.amdhsa_user_sgpr_dispatch_id 0
		.amdhsa_user_sgpr_flat_scratch_init 0
		.amdhsa_user_sgpr_private_segment_size 0
		.amdhsa_wavefront_size32 1
		.amdhsa_uses_dynamic_stack 0
		.amdhsa_system_sgpr_private_segment_wavefront_offset 0
		.amdhsa_system_sgpr_workgroup_id_x 1
		.amdhsa_system_sgpr_workgroup_id_y 0
		.amdhsa_system_sgpr_workgroup_id_z 0
		.amdhsa_system_sgpr_workgroup_info 0
		.amdhsa_system_vgpr_workitem_id 0
		.amdhsa_next_free_vgpr 1
		.amdhsa_next_free_sgpr 1
		.amdhsa_reserve_vcc 0
		.amdhsa_reserve_flat_scratch 0
		.amdhsa_float_round_mode_32 0
		.amdhsa_float_round_mode_16_64 0
		.amdhsa_float_denorm_mode_32 3
		.amdhsa_float_denorm_mode_16_64 3
		.amdhsa_dx10_clamp 1
		.amdhsa_ieee_mode 1
		.amdhsa_fp16_overflow 0
		.amdhsa_workgroup_processor_mode 1
		.amdhsa_memory_ordered 1
		.amdhsa_forward_progress 1
		.amdhsa_shared_vgpr_count 0
		.amdhsa_exception_fp_ieee_invalid_op 0
		.amdhsa_exception_fp_denorm_src 0
		.amdhsa_exception_fp_ieee_div_zero 0
		.amdhsa_exception_fp_ieee_overflow 0
		.amdhsa_exception_fp_ieee_underflow 0
		.amdhsa_exception_fp_ieee_inexact 0
		.amdhsa_exception_int_div_zero 0
	.end_amdhsa_kernel
	.section	.text._ZN7rocprim17ROCPRIM_400000_NS6detail17trampoline_kernelINS0_14default_configENS1_21merge_config_selectorINS0_5tupleIJiiEEENS0_10empty_typeEEEZNS1_10merge_implIS3_NS0_12zip_iteratorINS5_IJN6thrust23THRUST_200600_302600_NS10device_ptrIiEESE_EEEEESG_SG_PS7_SH_SH_NSC_11hip_rocprim7__merge17predicate_wrapperIiiNSC_4lessIiEEEEEE10hipError_tPvRmT0_T1_T2_T3_T4_T5_mmT6_P12ihipStream_tbEUlT_E_NS1_11comp_targetILNS1_3genE9ELNS1_11target_archE1100ELNS1_3gpuE3ELNS1_3repE0EEENS1_30default_config_static_selectorELNS0_4arch9wavefront6targetE0EEEvSS_,"axG",@progbits,_ZN7rocprim17ROCPRIM_400000_NS6detail17trampoline_kernelINS0_14default_configENS1_21merge_config_selectorINS0_5tupleIJiiEEENS0_10empty_typeEEEZNS1_10merge_implIS3_NS0_12zip_iteratorINS5_IJN6thrust23THRUST_200600_302600_NS10device_ptrIiEESE_EEEEESG_SG_PS7_SH_SH_NSC_11hip_rocprim7__merge17predicate_wrapperIiiNSC_4lessIiEEEEEE10hipError_tPvRmT0_T1_T2_T3_T4_T5_mmT6_P12ihipStream_tbEUlT_E_NS1_11comp_targetILNS1_3genE9ELNS1_11target_archE1100ELNS1_3gpuE3ELNS1_3repE0EEENS1_30default_config_static_selectorELNS0_4arch9wavefront6targetE0EEEvSS_,comdat
.Lfunc_end631:
	.size	_ZN7rocprim17ROCPRIM_400000_NS6detail17trampoline_kernelINS0_14default_configENS1_21merge_config_selectorINS0_5tupleIJiiEEENS0_10empty_typeEEEZNS1_10merge_implIS3_NS0_12zip_iteratorINS5_IJN6thrust23THRUST_200600_302600_NS10device_ptrIiEESE_EEEEESG_SG_PS7_SH_SH_NSC_11hip_rocprim7__merge17predicate_wrapperIiiNSC_4lessIiEEEEEE10hipError_tPvRmT0_T1_T2_T3_T4_T5_mmT6_P12ihipStream_tbEUlT_E_NS1_11comp_targetILNS1_3genE9ELNS1_11target_archE1100ELNS1_3gpuE3ELNS1_3repE0EEENS1_30default_config_static_selectorELNS0_4arch9wavefront6targetE0EEEvSS_, .Lfunc_end631-_ZN7rocprim17ROCPRIM_400000_NS6detail17trampoline_kernelINS0_14default_configENS1_21merge_config_selectorINS0_5tupleIJiiEEENS0_10empty_typeEEEZNS1_10merge_implIS3_NS0_12zip_iteratorINS5_IJN6thrust23THRUST_200600_302600_NS10device_ptrIiEESE_EEEEESG_SG_PS7_SH_SH_NSC_11hip_rocprim7__merge17predicate_wrapperIiiNSC_4lessIiEEEEEE10hipError_tPvRmT0_T1_T2_T3_T4_T5_mmT6_P12ihipStream_tbEUlT_E_NS1_11comp_targetILNS1_3genE9ELNS1_11target_archE1100ELNS1_3gpuE3ELNS1_3repE0EEENS1_30default_config_static_selectorELNS0_4arch9wavefront6targetE0EEEvSS_
                                        ; -- End function
	.set _ZN7rocprim17ROCPRIM_400000_NS6detail17trampoline_kernelINS0_14default_configENS1_21merge_config_selectorINS0_5tupleIJiiEEENS0_10empty_typeEEEZNS1_10merge_implIS3_NS0_12zip_iteratorINS5_IJN6thrust23THRUST_200600_302600_NS10device_ptrIiEESE_EEEEESG_SG_PS7_SH_SH_NSC_11hip_rocprim7__merge17predicate_wrapperIiiNSC_4lessIiEEEEEE10hipError_tPvRmT0_T1_T2_T3_T4_T5_mmT6_P12ihipStream_tbEUlT_E_NS1_11comp_targetILNS1_3genE9ELNS1_11target_archE1100ELNS1_3gpuE3ELNS1_3repE0EEENS1_30default_config_static_selectorELNS0_4arch9wavefront6targetE0EEEvSS_.num_vgpr, 0
	.set _ZN7rocprim17ROCPRIM_400000_NS6detail17trampoline_kernelINS0_14default_configENS1_21merge_config_selectorINS0_5tupleIJiiEEENS0_10empty_typeEEEZNS1_10merge_implIS3_NS0_12zip_iteratorINS5_IJN6thrust23THRUST_200600_302600_NS10device_ptrIiEESE_EEEEESG_SG_PS7_SH_SH_NSC_11hip_rocprim7__merge17predicate_wrapperIiiNSC_4lessIiEEEEEE10hipError_tPvRmT0_T1_T2_T3_T4_T5_mmT6_P12ihipStream_tbEUlT_E_NS1_11comp_targetILNS1_3genE9ELNS1_11target_archE1100ELNS1_3gpuE3ELNS1_3repE0EEENS1_30default_config_static_selectorELNS0_4arch9wavefront6targetE0EEEvSS_.num_agpr, 0
	.set _ZN7rocprim17ROCPRIM_400000_NS6detail17trampoline_kernelINS0_14default_configENS1_21merge_config_selectorINS0_5tupleIJiiEEENS0_10empty_typeEEEZNS1_10merge_implIS3_NS0_12zip_iteratorINS5_IJN6thrust23THRUST_200600_302600_NS10device_ptrIiEESE_EEEEESG_SG_PS7_SH_SH_NSC_11hip_rocprim7__merge17predicate_wrapperIiiNSC_4lessIiEEEEEE10hipError_tPvRmT0_T1_T2_T3_T4_T5_mmT6_P12ihipStream_tbEUlT_E_NS1_11comp_targetILNS1_3genE9ELNS1_11target_archE1100ELNS1_3gpuE3ELNS1_3repE0EEENS1_30default_config_static_selectorELNS0_4arch9wavefront6targetE0EEEvSS_.numbered_sgpr, 0
	.set _ZN7rocprim17ROCPRIM_400000_NS6detail17trampoline_kernelINS0_14default_configENS1_21merge_config_selectorINS0_5tupleIJiiEEENS0_10empty_typeEEEZNS1_10merge_implIS3_NS0_12zip_iteratorINS5_IJN6thrust23THRUST_200600_302600_NS10device_ptrIiEESE_EEEEESG_SG_PS7_SH_SH_NSC_11hip_rocprim7__merge17predicate_wrapperIiiNSC_4lessIiEEEEEE10hipError_tPvRmT0_T1_T2_T3_T4_T5_mmT6_P12ihipStream_tbEUlT_E_NS1_11comp_targetILNS1_3genE9ELNS1_11target_archE1100ELNS1_3gpuE3ELNS1_3repE0EEENS1_30default_config_static_selectorELNS0_4arch9wavefront6targetE0EEEvSS_.num_named_barrier, 0
	.set _ZN7rocprim17ROCPRIM_400000_NS6detail17trampoline_kernelINS0_14default_configENS1_21merge_config_selectorINS0_5tupleIJiiEEENS0_10empty_typeEEEZNS1_10merge_implIS3_NS0_12zip_iteratorINS5_IJN6thrust23THRUST_200600_302600_NS10device_ptrIiEESE_EEEEESG_SG_PS7_SH_SH_NSC_11hip_rocprim7__merge17predicate_wrapperIiiNSC_4lessIiEEEEEE10hipError_tPvRmT0_T1_T2_T3_T4_T5_mmT6_P12ihipStream_tbEUlT_E_NS1_11comp_targetILNS1_3genE9ELNS1_11target_archE1100ELNS1_3gpuE3ELNS1_3repE0EEENS1_30default_config_static_selectorELNS0_4arch9wavefront6targetE0EEEvSS_.private_seg_size, 0
	.set _ZN7rocprim17ROCPRIM_400000_NS6detail17trampoline_kernelINS0_14default_configENS1_21merge_config_selectorINS0_5tupleIJiiEEENS0_10empty_typeEEEZNS1_10merge_implIS3_NS0_12zip_iteratorINS5_IJN6thrust23THRUST_200600_302600_NS10device_ptrIiEESE_EEEEESG_SG_PS7_SH_SH_NSC_11hip_rocprim7__merge17predicate_wrapperIiiNSC_4lessIiEEEEEE10hipError_tPvRmT0_T1_T2_T3_T4_T5_mmT6_P12ihipStream_tbEUlT_E_NS1_11comp_targetILNS1_3genE9ELNS1_11target_archE1100ELNS1_3gpuE3ELNS1_3repE0EEENS1_30default_config_static_selectorELNS0_4arch9wavefront6targetE0EEEvSS_.uses_vcc, 0
	.set _ZN7rocprim17ROCPRIM_400000_NS6detail17trampoline_kernelINS0_14default_configENS1_21merge_config_selectorINS0_5tupleIJiiEEENS0_10empty_typeEEEZNS1_10merge_implIS3_NS0_12zip_iteratorINS5_IJN6thrust23THRUST_200600_302600_NS10device_ptrIiEESE_EEEEESG_SG_PS7_SH_SH_NSC_11hip_rocprim7__merge17predicate_wrapperIiiNSC_4lessIiEEEEEE10hipError_tPvRmT0_T1_T2_T3_T4_T5_mmT6_P12ihipStream_tbEUlT_E_NS1_11comp_targetILNS1_3genE9ELNS1_11target_archE1100ELNS1_3gpuE3ELNS1_3repE0EEENS1_30default_config_static_selectorELNS0_4arch9wavefront6targetE0EEEvSS_.uses_flat_scratch, 0
	.set _ZN7rocprim17ROCPRIM_400000_NS6detail17trampoline_kernelINS0_14default_configENS1_21merge_config_selectorINS0_5tupleIJiiEEENS0_10empty_typeEEEZNS1_10merge_implIS3_NS0_12zip_iteratorINS5_IJN6thrust23THRUST_200600_302600_NS10device_ptrIiEESE_EEEEESG_SG_PS7_SH_SH_NSC_11hip_rocprim7__merge17predicate_wrapperIiiNSC_4lessIiEEEEEE10hipError_tPvRmT0_T1_T2_T3_T4_T5_mmT6_P12ihipStream_tbEUlT_E_NS1_11comp_targetILNS1_3genE9ELNS1_11target_archE1100ELNS1_3gpuE3ELNS1_3repE0EEENS1_30default_config_static_selectorELNS0_4arch9wavefront6targetE0EEEvSS_.has_dyn_sized_stack, 0
	.set _ZN7rocprim17ROCPRIM_400000_NS6detail17trampoline_kernelINS0_14default_configENS1_21merge_config_selectorINS0_5tupleIJiiEEENS0_10empty_typeEEEZNS1_10merge_implIS3_NS0_12zip_iteratorINS5_IJN6thrust23THRUST_200600_302600_NS10device_ptrIiEESE_EEEEESG_SG_PS7_SH_SH_NSC_11hip_rocprim7__merge17predicate_wrapperIiiNSC_4lessIiEEEEEE10hipError_tPvRmT0_T1_T2_T3_T4_T5_mmT6_P12ihipStream_tbEUlT_E_NS1_11comp_targetILNS1_3genE9ELNS1_11target_archE1100ELNS1_3gpuE3ELNS1_3repE0EEENS1_30default_config_static_selectorELNS0_4arch9wavefront6targetE0EEEvSS_.has_recursion, 0
	.set _ZN7rocprim17ROCPRIM_400000_NS6detail17trampoline_kernelINS0_14default_configENS1_21merge_config_selectorINS0_5tupleIJiiEEENS0_10empty_typeEEEZNS1_10merge_implIS3_NS0_12zip_iteratorINS5_IJN6thrust23THRUST_200600_302600_NS10device_ptrIiEESE_EEEEESG_SG_PS7_SH_SH_NSC_11hip_rocprim7__merge17predicate_wrapperIiiNSC_4lessIiEEEEEE10hipError_tPvRmT0_T1_T2_T3_T4_T5_mmT6_P12ihipStream_tbEUlT_E_NS1_11comp_targetILNS1_3genE9ELNS1_11target_archE1100ELNS1_3gpuE3ELNS1_3repE0EEENS1_30default_config_static_selectorELNS0_4arch9wavefront6targetE0EEEvSS_.has_indirect_call, 0
	.section	.AMDGPU.csdata,"",@progbits
; Kernel info:
; codeLenInByte = 0
; TotalNumSgprs: 0
; NumVgprs: 0
; ScratchSize: 0
; MemoryBound: 0
; FloatMode: 240
; IeeeMode: 1
; LDSByteSize: 0 bytes/workgroup (compile time only)
; SGPRBlocks: 0
; VGPRBlocks: 0
; NumSGPRsForWavesPerEU: 1
; NumVGPRsForWavesPerEU: 1
; Occupancy: 16
; WaveLimiterHint : 0
; COMPUTE_PGM_RSRC2:SCRATCH_EN: 0
; COMPUTE_PGM_RSRC2:USER_SGPR: 6
; COMPUTE_PGM_RSRC2:TRAP_HANDLER: 0
; COMPUTE_PGM_RSRC2:TGID_X_EN: 1
; COMPUTE_PGM_RSRC2:TGID_Y_EN: 0
; COMPUTE_PGM_RSRC2:TGID_Z_EN: 0
; COMPUTE_PGM_RSRC2:TIDIG_COMP_CNT: 0
	.section	.text._ZN7rocprim17ROCPRIM_400000_NS6detail17trampoline_kernelINS0_14default_configENS1_21merge_config_selectorINS0_5tupleIJiiEEENS0_10empty_typeEEEZNS1_10merge_implIS3_NS0_12zip_iteratorINS5_IJN6thrust23THRUST_200600_302600_NS10device_ptrIiEESE_EEEEESG_SG_PS7_SH_SH_NSC_11hip_rocprim7__merge17predicate_wrapperIiiNSC_4lessIiEEEEEE10hipError_tPvRmT0_T1_T2_T3_T4_T5_mmT6_P12ihipStream_tbEUlT_E_NS1_11comp_targetILNS1_3genE8ELNS1_11target_archE1030ELNS1_3gpuE2ELNS1_3repE0EEENS1_30default_config_static_selectorELNS0_4arch9wavefront6targetE0EEEvSS_,"axG",@progbits,_ZN7rocprim17ROCPRIM_400000_NS6detail17trampoline_kernelINS0_14default_configENS1_21merge_config_selectorINS0_5tupleIJiiEEENS0_10empty_typeEEEZNS1_10merge_implIS3_NS0_12zip_iteratorINS5_IJN6thrust23THRUST_200600_302600_NS10device_ptrIiEESE_EEEEESG_SG_PS7_SH_SH_NSC_11hip_rocprim7__merge17predicate_wrapperIiiNSC_4lessIiEEEEEE10hipError_tPvRmT0_T1_T2_T3_T4_T5_mmT6_P12ihipStream_tbEUlT_E_NS1_11comp_targetILNS1_3genE8ELNS1_11target_archE1030ELNS1_3gpuE2ELNS1_3repE0EEENS1_30default_config_static_selectorELNS0_4arch9wavefront6targetE0EEEvSS_,comdat
	.protected	_ZN7rocprim17ROCPRIM_400000_NS6detail17trampoline_kernelINS0_14default_configENS1_21merge_config_selectorINS0_5tupleIJiiEEENS0_10empty_typeEEEZNS1_10merge_implIS3_NS0_12zip_iteratorINS5_IJN6thrust23THRUST_200600_302600_NS10device_ptrIiEESE_EEEEESG_SG_PS7_SH_SH_NSC_11hip_rocprim7__merge17predicate_wrapperIiiNSC_4lessIiEEEEEE10hipError_tPvRmT0_T1_T2_T3_T4_T5_mmT6_P12ihipStream_tbEUlT_E_NS1_11comp_targetILNS1_3genE8ELNS1_11target_archE1030ELNS1_3gpuE2ELNS1_3repE0EEENS1_30default_config_static_selectorELNS0_4arch9wavefront6targetE0EEEvSS_ ; -- Begin function _ZN7rocprim17ROCPRIM_400000_NS6detail17trampoline_kernelINS0_14default_configENS1_21merge_config_selectorINS0_5tupleIJiiEEENS0_10empty_typeEEEZNS1_10merge_implIS3_NS0_12zip_iteratorINS5_IJN6thrust23THRUST_200600_302600_NS10device_ptrIiEESE_EEEEESG_SG_PS7_SH_SH_NSC_11hip_rocprim7__merge17predicate_wrapperIiiNSC_4lessIiEEEEEE10hipError_tPvRmT0_T1_T2_T3_T4_T5_mmT6_P12ihipStream_tbEUlT_E_NS1_11comp_targetILNS1_3genE8ELNS1_11target_archE1030ELNS1_3gpuE2ELNS1_3repE0EEENS1_30default_config_static_selectorELNS0_4arch9wavefront6targetE0EEEvSS_
	.globl	_ZN7rocprim17ROCPRIM_400000_NS6detail17trampoline_kernelINS0_14default_configENS1_21merge_config_selectorINS0_5tupleIJiiEEENS0_10empty_typeEEEZNS1_10merge_implIS3_NS0_12zip_iteratorINS5_IJN6thrust23THRUST_200600_302600_NS10device_ptrIiEESE_EEEEESG_SG_PS7_SH_SH_NSC_11hip_rocprim7__merge17predicate_wrapperIiiNSC_4lessIiEEEEEE10hipError_tPvRmT0_T1_T2_T3_T4_T5_mmT6_P12ihipStream_tbEUlT_E_NS1_11comp_targetILNS1_3genE8ELNS1_11target_archE1030ELNS1_3gpuE2ELNS1_3repE0EEENS1_30default_config_static_selectorELNS0_4arch9wavefront6targetE0EEEvSS_
	.p2align	8
	.type	_ZN7rocprim17ROCPRIM_400000_NS6detail17trampoline_kernelINS0_14default_configENS1_21merge_config_selectorINS0_5tupleIJiiEEENS0_10empty_typeEEEZNS1_10merge_implIS3_NS0_12zip_iteratorINS5_IJN6thrust23THRUST_200600_302600_NS10device_ptrIiEESE_EEEEESG_SG_PS7_SH_SH_NSC_11hip_rocprim7__merge17predicate_wrapperIiiNSC_4lessIiEEEEEE10hipError_tPvRmT0_T1_T2_T3_T4_T5_mmT6_P12ihipStream_tbEUlT_E_NS1_11comp_targetILNS1_3genE8ELNS1_11target_archE1030ELNS1_3gpuE2ELNS1_3repE0EEENS1_30default_config_static_selectorELNS0_4arch9wavefront6targetE0EEEvSS_,@function
_ZN7rocprim17ROCPRIM_400000_NS6detail17trampoline_kernelINS0_14default_configENS1_21merge_config_selectorINS0_5tupleIJiiEEENS0_10empty_typeEEEZNS1_10merge_implIS3_NS0_12zip_iteratorINS5_IJN6thrust23THRUST_200600_302600_NS10device_ptrIiEESE_EEEEESG_SG_PS7_SH_SH_NSC_11hip_rocprim7__merge17predicate_wrapperIiiNSC_4lessIiEEEEEE10hipError_tPvRmT0_T1_T2_T3_T4_T5_mmT6_P12ihipStream_tbEUlT_E_NS1_11comp_targetILNS1_3genE8ELNS1_11target_archE1030ELNS1_3gpuE2ELNS1_3repE0EEENS1_30default_config_static_selectorELNS0_4arch9wavefront6targetE0EEEvSS_: ; @_ZN7rocprim17ROCPRIM_400000_NS6detail17trampoline_kernelINS0_14default_configENS1_21merge_config_selectorINS0_5tupleIJiiEEENS0_10empty_typeEEEZNS1_10merge_implIS3_NS0_12zip_iteratorINS5_IJN6thrust23THRUST_200600_302600_NS10device_ptrIiEESE_EEEEESG_SG_PS7_SH_SH_NSC_11hip_rocprim7__merge17predicate_wrapperIiiNSC_4lessIiEEEEEE10hipError_tPvRmT0_T1_T2_T3_T4_T5_mmT6_P12ihipStream_tbEUlT_E_NS1_11comp_targetILNS1_3genE8ELNS1_11target_archE1030ELNS1_3gpuE2ELNS1_3repE0EEENS1_30default_config_static_selectorELNS0_4arch9wavefront6targetE0EEEvSS_
; %bb.0:
	s_clause 0x2
	s_load_dword s2, s[4:5], 0x38
	s_load_dword s0, s[4:5], 0x4c
	s_load_dwordx4 s[12:15], s[4:5], 0x28
	s_waitcnt lgkmcnt(0)
	v_cvt_f32_u32_e32 v1, s2
	s_and_b32 s3, s0, 0xffff
	s_add_u32 s0, s14, s12
	s_addc_u32 s1, s15, s13
	s_sub_i32 s8, 0, s2
	v_rcp_iflag_f32_e32 v1, v1
	s_add_i32 s9, s2, s0
	s_add_i32 s9, s9, -1
	v_mul_f32_e32 v1, 0x4f7ffffe, v1
	v_cvt_u32_f32_e32 v1, v1
	v_readfirstlane_b32 s7, v1
	v_mad_u64_u32 v[0:1], null, s6, s3, v[0:1]
	s_mul_i32 s8, s8, s7
	s_mul_hi_u32 s8, s7, s8
	s_add_i32 s7, s7, s8
	s_mul_hi_u32 s7, s9, s7
	s_mul_i32 s8, s7, s2
	s_sub_i32 s8, s9, s8
	s_add_i32 s9, s7, 1
	s_sub_i32 s10, s8, s2
	s_cmp_ge_u32 s8, s2
	s_cselect_b32 s3, s9, s7
	s_cselect_b32 s6, s10, s8
	s_add_i32 s7, s3, 1
	s_cmp_ge_u32 s6, s2
	s_cselect_b32 s3, s7, s3
	v_cmp_ge_u32_e32 vcc_lo, s3, v0
	s_and_saveexec_b32 s3, vcc_lo
	s_cbranch_execz .LBB632_6
; %bb.1:
	v_mul_lo_u32 v1, v0, s2
	v_mov_b32_e32 v2, 0
	s_load_dwordx4 s[8:11], s[4:5], 0x0
	v_cmp_gt_u64_e32 vcc_lo, s[0:1], v[1:2]
	v_cndmask_b32_e32 v6, s0, v1, vcc_lo
	v_cndmask_b32_e64 v7, s1, 0, vcc_lo
	v_sub_co_u32 v1, vcc_lo, v6, s14
	v_subrev_co_ci_u32_e64 v2, null, s15, v7, vcc_lo
	v_cmp_gt_u64_e64 s0, s[12:13], v[6:7]
	v_cmp_gt_u64_e32 vcc_lo, v[1:2], v[6:7]
	v_cndmask_b32_e64 v5, s13, v7, s0
	v_cndmask_b32_e64 v4, s12, v6, s0
	s_mov_b32 s0, exec_lo
	v_cndmask_b32_e64 v3, v2, 0, vcc_lo
	v_cndmask_b32_e64 v2, v1, 0, vcc_lo
	v_cmpx_lt_u64_e64 v[2:3], v[4:5]
	s_cbranch_execz .LBB632_5
; %bb.2:
	s_load_dwordx2 s[2:3], s[4:5], 0x18
	v_lshlrev_b64 v[6:7], 2, v[6:7]
	s_mov_b32 s1, 0
	s_waitcnt lgkmcnt(0)
	v_add_co_u32 v1, vcc_lo, s2, v6
	v_add_co_ci_u32_e64 v6, null, s3, v7, vcc_lo
	s_inst_prefetch 0x1
	.p2align	6
.LBB632_3:                              ; =>This Inner Loop Header: Depth=1
	v_add_co_u32 v7, vcc_lo, v4, v2
	v_add_co_ci_u32_e64 v8, null, v5, v3, vcc_lo
	v_lshrrev_b64 v[7:8], 1, v[7:8]
	v_lshlrev_b64 v[9:10], 2, v[7:8]
	v_xor_b32_e32 v11, -4, v9
	v_xor_b32_e32 v12, -1, v10
	v_add_co_u32 v9, vcc_lo, s10, v9
	v_add_co_ci_u32_e64 v10, null, s11, v10, vcc_lo
	v_add_co_u32 v11, vcc_lo, v1, v11
	v_add_co_ci_u32_e64 v12, null, v6, v12, vcc_lo
	global_load_dword v9, v[9:10], off
	global_load_dword v10, v[11:12], off
	v_add_co_u32 v11, vcc_lo, v7, 1
	v_add_co_ci_u32_e64 v12, null, 0, v8, vcc_lo
	s_waitcnt vmcnt(0)
	v_cmp_lt_i32_e32 vcc_lo, v10, v9
	v_cndmask_b32_e32 v5, v5, v8, vcc_lo
	v_cndmask_b32_e32 v4, v4, v7, vcc_lo
	v_cndmask_b32_e32 v3, v12, v3, vcc_lo
	v_cndmask_b32_e32 v2, v11, v2, vcc_lo
	v_cmp_ge_u64_e32 vcc_lo, v[2:3], v[4:5]
	s_or_b32 s1, vcc_lo, s1
	s_andn2_b32 exec_lo, exec_lo, s1
	s_cbranch_execnz .LBB632_3
; %bb.4:
	s_inst_prefetch 0x2
	s_or_b32 exec_lo, exec_lo, s1
.LBB632_5:
	s_or_b32 exec_lo, exec_lo, s0
	v_mov_b32_e32 v1, 0
	v_lshlrev_b64 v[0:1], 2, v[0:1]
	s_waitcnt lgkmcnt(0)
	v_add_co_u32 v0, vcc_lo, s8, v0
	v_add_co_ci_u32_e64 v1, null, s9, v1, vcc_lo
	global_store_dword v[0:1], v2, off
.LBB632_6:
	s_endpgm
	.section	.rodata,"a",@progbits
	.p2align	6, 0x0
	.amdhsa_kernel _ZN7rocprim17ROCPRIM_400000_NS6detail17trampoline_kernelINS0_14default_configENS1_21merge_config_selectorINS0_5tupleIJiiEEENS0_10empty_typeEEEZNS1_10merge_implIS3_NS0_12zip_iteratorINS5_IJN6thrust23THRUST_200600_302600_NS10device_ptrIiEESE_EEEEESG_SG_PS7_SH_SH_NSC_11hip_rocprim7__merge17predicate_wrapperIiiNSC_4lessIiEEEEEE10hipError_tPvRmT0_T1_T2_T3_T4_T5_mmT6_P12ihipStream_tbEUlT_E_NS1_11comp_targetILNS1_3genE8ELNS1_11target_archE1030ELNS1_3gpuE2ELNS1_3repE0EEENS1_30default_config_static_selectorELNS0_4arch9wavefront6targetE0EEEvSS_
		.amdhsa_group_segment_fixed_size 0
		.amdhsa_private_segment_fixed_size 0
		.amdhsa_kernarg_size 320
		.amdhsa_user_sgpr_count 6
		.amdhsa_user_sgpr_private_segment_buffer 1
		.amdhsa_user_sgpr_dispatch_ptr 0
		.amdhsa_user_sgpr_queue_ptr 0
		.amdhsa_user_sgpr_kernarg_segment_ptr 1
		.amdhsa_user_sgpr_dispatch_id 0
		.amdhsa_user_sgpr_flat_scratch_init 0
		.amdhsa_user_sgpr_private_segment_size 0
		.amdhsa_wavefront_size32 1
		.amdhsa_uses_dynamic_stack 0
		.amdhsa_system_sgpr_private_segment_wavefront_offset 0
		.amdhsa_system_sgpr_workgroup_id_x 1
		.amdhsa_system_sgpr_workgroup_id_y 0
		.amdhsa_system_sgpr_workgroup_id_z 0
		.amdhsa_system_sgpr_workgroup_info 0
		.amdhsa_system_vgpr_workitem_id 0
		.amdhsa_next_free_vgpr 13
		.amdhsa_next_free_sgpr 16
		.amdhsa_reserve_vcc 1
		.amdhsa_reserve_flat_scratch 0
		.amdhsa_float_round_mode_32 0
		.amdhsa_float_round_mode_16_64 0
		.amdhsa_float_denorm_mode_32 3
		.amdhsa_float_denorm_mode_16_64 3
		.amdhsa_dx10_clamp 1
		.amdhsa_ieee_mode 1
		.amdhsa_fp16_overflow 0
		.amdhsa_workgroup_processor_mode 1
		.amdhsa_memory_ordered 1
		.amdhsa_forward_progress 1
		.amdhsa_shared_vgpr_count 0
		.amdhsa_exception_fp_ieee_invalid_op 0
		.amdhsa_exception_fp_denorm_src 0
		.amdhsa_exception_fp_ieee_div_zero 0
		.amdhsa_exception_fp_ieee_overflow 0
		.amdhsa_exception_fp_ieee_underflow 0
		.amdhsa_exception_fp_ieee_inexact 0
		.amdhsa_exception_int_div_zero 0
	.end_amdhsa_kernel
	.section	.text._ZN7rocprim17ROCPRIM_400000_NS6detail17trampoline_kernelINS0_14default_configENS1_21merge_config_selectorINS0_5tupleIJiiEEENS0_10empty_typeEEEZNS1_10merge_implIS3_NS0_12zip_iteratorINS5_IJN6thrust23THRUST_200600_302600_NS10device_ptrIiEESE_EEEEESG_SG_PS7_SH_SH_NSC_11hip_rocprim7__merge17predicate_wrapperIiiNSC_4lessIiEEEEEE10hipError_tPvRmT0_T1_T2_T3_T4_T5_mmT6_P12ihipStream_tbEUlT_E_NS1_11comp_targetILNS1_3genE8ELNS1_11target_archE1030ELNS1_3gpuE2ELNS1_3repE0EEENS1_30default_config_static_selectorELNS0_4arch9wavefront6targetE0EEEvSS_,"axG",@progbits,_ZN7rocprim17ROCPRIM_400000_NS6detail17trampoline_kernelINS0_14default_configENS1_21merge_config_selectorINS0_5tupleIJiiEEENS0_10empty_typeEEEZNS1_10merge_implIS3_NS0_12zip_iteratorINS5_IJN6thrust23THRUST_200600_302600_NS10device_ptrIiEESE_EEEEESG_SG_PS7_SH_SH_NSC_11hip_rocprim7__merge17predicate_wrapperIiiNSC_4lessIiEEEEEE10hipError_tPvRmT0_T1_T2_T3_T4_T5_mmT6_P12ihipStream_tbEUlT_E_NS1_11comp_targetILNS1_3genE8ELNS1_11target_archE1030ELNS1_3gpuE2ELNS1_3repE0EEENS1_30default_config_static_selectorELNS0_4arch9wavefront6targetE0EEEvSS_,comdat
.Lfunc_end632:
	.size	_ZN7rocprim17ROCPRIM_400000_NS6detail17trampoline_kernelINS0_14default_configENS1_21merge_config_selectorINS0_5tupleIJiiEEENS0_10empty_typeEEEZNS1_10merge_implIS3_NS0_12zip_iteratorINS5_IJN6thrust23THRUST_200600_302600_NS10device_ptrIiEESE_EEEEESG_SG_PS7_SH_SH_NSC_11hip_rocprim7__merge17predicate_wrapperIiiNSC_4lessIiEEEEEE10hipError_tPvRmT0_T1_T2_T3_T4_T5_mmT6_P12ihipStream_tbEUlT_E_NS1_11comp_targetILNS1_3genE8ELNS1_11target_archE1030ELNS1_3gpuE2ELNS1_3repE0EEENS1_30default_config_static_selectorELNS0_4arch9wavefront6targetE0EEEvSS_, .Lfunc_end632-_ZN7rocprim17ROCPRIM_400000_NS6detail17trampoline_kernelINS0_14default_configENS1_21merge_config_selectorINS0_5tupleIJiiEEENS0_10empty_typeEEEZNS1_10merge_implIS3_NS0_12zip_iteratorINS5_IJN6thrust23THRUST_200600_302600_NS10device_ptrIiEESE_EEEEESG_SG_PS7_SH_SH_NSC_11hip_rocprim7__merge17predicate_wrapperIiiNSC_4lessIiEEEEEE10hipError_tPvRmT0_T1_T2_T3_T4_T5_mmT6_P12ihipStream_tbEUlT_E_NS1_11comp_targetILNS1_3genE8ELNS1_11target_archE1030ELNS1_3gpuE2ELNS1_3repE0EEENS1_30default_config_static_selectorELNS0_4arch9wavefront6targetE0EEEvSS_
                                        ; -- End function
	.set _ZN7rocprim17ROCPRIM_400000_NS6detail17trampoline_kernelINS0_14default_configENS1_21merge_config_selectorINS0_5tupleIJiiEEENS0_10empty_typeEEEZNS1_10merge_implIS3_NS0_12zip_iteratorINS5_IJN6thrust23THRUST_200600_302600_NS10device_ptrIiEESE_EEEEESG_SG_PS7_SH_SH_NSC_11hip_rocprim7__merge17predicate_wrapperIiiNSC_4lessIiEEEEEE10hipError_tPvRmT0_T1_T2_T3_T4_T5_mmT6_P12ihipStream_tbEUlT_E_NS1_11comp_targetILNS1_3genE8ELNS1_11target_archE1030ELNS1_3gpuE2ELNS1_3repE0EEENS1_30default_config_static_selectorELNS0_4arch9wavefront6targetE0EEEvSS_.num_vgpr, 13
	.set _ZN7rocprim17ROCPRIM_400000_NS6detail17trampoline_kernelINS0_14default_configENS1_21merge_config_selectorINS0_5tupleIJiiEEENS0_10empty_typeEEEZNS1_10merge_implIS3_NS0_12zip_iteratorINS5_IJN6thrust23THRUST_200600_302600_NS10device_ptrIiEESE_EEEEESG_SG_PS7_SH_SH_NSC_11hip_rocprim7__merge17predicate_wrapperIiiNSC_4lessIiEEEEEE10hipError_tPvRmT0_T1_T2_T3_T4_T5_mmT6_P12ihipStream_tbEUlT_E_NS1_11comp_targetILNS1_3genE8ELNS1_11target_archE1030ELNS1_3gpuE2ELNS1_3repE0EEENS1_30default_config_static_selectorELNS0_4arch9wavefront6targetE0EEEvSS_.num_agpr, 0
	.set _ZN7rocprim17ROCPRIM_400000_NS6detail17trampoline_kernelINS0_14default_configENS1_21merge_config_selectorINS0_5tupleIJiiEEENS0_10empty_typeEEEZNS1_10merge_implIS3_NS0_12zip_iteratorINS5_IJN6thrust23THRUST_200600_302600_NS10device_ptrIiEESE_EEEEESG_SG_PS7_SH_SH_NSC_11hip_rocprim7__merge17predicate_wrapperIiiNSC_4lessIiEEEEEE10hipError_tPvRmT0_T1_T2_T3_T4_T5_mmT6_P12ihipStream_tbEUlT_E_NS1_11comp_targetILNS1_3genE8ELNS1_11target_archE1030ELNS1_3gpuE2ELNS1_3repE0EEENS1_30default_config_static_selectorELNS0_4arch9wavefront6targetE0EEEvSS_.numbered_sgpr, 16
	.set _ZN7rocprim17ROCPRIM_400000_NS6detail17trampoline_kernelINS0_14default_configENS1_21merge_config_selectorINS0_5tupleIJiiEEENS0_10empty_typeEEEZNS1_10merge_implIS3_NS0_12zip_iteratorINS5_IJN6thrust23THRUST_200600_302600_NS10device_ptrIiEESE_EEEEESG_SG_PS7_SH_SH_NSC_11hip_rocprim7__merge17predicate_wrapperIiiNSC_4lessIiEEEEEE10hipError_tPvRmT0_T1_T2_T3_T4_T5_mmT6_P12ihipStream_tbEUlT_E_NS1_11comp_targetILNS1_3genE8ELNS1_11target_archE1030ELNS1_3gpuE2ELNS1_3repE0EEENS1_30default_config_static_selectorELNS0_4arch9wavefront6targetE0EEEvSS_.num_named_barrier, 0
	.set _ZN7rocprim17ROCPRIM_400000_NS6detail17trampoline_kernelINS0_14default_configENS1_21merge_config_selectorINS0_5tupleIJiiEEENS0_10empty_typeEEEZNS1_10merge_implIS3_NS0_12zip_iteratorINS5_IJN6thrust23THRUST_200600_302600_NS10device_ptrIiEESE_EEEEESG_SG_PS7_SH_SH_NSC_11hip_rocprim7__merge17predicate_wrapperIiiNSC_4lessIiEEEEEE10hipError_tPvRmT0_T1_T2_T3_T4_T5_mmT6_P12ihipStream_tbEUlT_E_NS1_11comp_targetILNS1_3genE8ELNS1_11target_archE1030ELNS1_3gpuE2ELNS1_3repE0EEENS1_30default_config_static_selectorELNS0_4arch9wavefront6targetE0EEEvSS_.private_seg_size, 0
	.set _ZN7rocprim17ROCPRIM_400000_NS6detail17trampoline_kernelINS0_14default_configENS1_21merge_config_selectorINS0_5tupleIJiiEEENS0_10empty_typeEEEZNS1_10merge_implIS3_NS0_12zip_iteratorINS5_IJN6thrust23THRUST_200600_302600_NS10device_ptrIiEESE_EEEEESG_SG_PS7_SH_SH_NSC_11hip_rocprim7__merge17predicate_wrapperIiiNSC_4lessIiEEEEEE10hipError_tPvRmT0_T1_T2_T3_T4_T5_mmT6_P12ihipStream_tbEUlT_E_NS1_11comp_targetILNS1_3genE8ELNS1_11target_archE1030ELNS1_3gpuE2ELNS1_3repE0EEENS1_30default_config_static_selectorELNS0_4arch9wavefront6targetE0EEEvSS_.uses_vcc, 1
	.set _ZN7rocprim17ROCPRIM_400000_NS6detail17trampoline_kernelINS0_14default_configENS1_21merge_config_selectorINS0_5tupleIJiiEEENS0_10empty_typeEEEZNS1_10merge_implIS3_NS0_12zip_iteratorINS5_IJN6thrust23THRUST_200600_302600_NS10device_ptrIiEESE_EEEEESG_SG_PS7_SH_SH_NSC_11hip_rocprim7__merge17predicate_wrapperIiiNSC_4lessIiEEEEEE10hipError_tPvRmT0_T1_T2_T3_T4_T5_mmT6_P12ihipStream_tbEUlT_E_NS1_11comp_targetILNS1_3genE8ELNS1_11target_archE1030ELNS1_3gpuE2ELNS1_3repE0EEENS1_30default_config_static_selectorELNS0_4arch9wavefront6targetE0EEEvSS_.uses_flat_scratch, 0
	.set _ZN7rocprim17ROCPRIM_400000_NS6detail17trampoline_kernelINS0_14default_configENS1_21merge_config_selectorINS0_5tupleIJiiEEENS0_10empty_typeEEEZNS1_10merge_implIS3_NS0_12zip_iteratorINS5_IJN6thrust23THRUST_200600_302600_NS10device_ptrIiEESE_EEEEESG_SG_PS7_SH_SH_NSC_11hip_rocprim7__merge17predicate_wrapperIiiNSC_4lessIiEEEEEE10hipError_tPvRmT0_T1_T2_T3_T4_T5_mmT6_P12ihipStream_tbEUlT_E_NS1_11comp_targetILNS1_3genE8ELNS1_11target_archE1030ELNS1_3gpuE2ELNS1_3repE0EEENS1_30default_config_static_selectorELNS0_4arch9wavefront6targetE0EEEvSS_.has_dyn_sized_stack, 0
	.set _ZN7rocprim17ROCPRIM_400000_NS6detail17trampoline_kernelINS0_14default_configENS1_21merge_config_selectorINS0_5tupleIJiiEEENS0_10empty_typeEEEZNS1_10merge_implIS3_NS0_12zip_iteratorINS5_IJN6thrust23THRUST_200600_302600_NS10device_ptrIiEESE_EEEEESG_SG_PS7_SH_SH_NSC_11hip_rocprim7__merge17predicate_wrapperIiiNSC_4lessIiEEEEEE10hipError_tPvRmT0_T1_T2_T3_T4_T5_mmT6_P12ihipStream_tbEUlT_E_NS1_11comp_targetILNS1_3genE8ELNS1_11target_archE1030ELNS1_3gpuE2ELNS1_3repE0EEENS1_30default_config_static_selectorELNS0_4arch9wavefront6targetE0EEEvSS_.has_recursion, 0
	.set _ZN7rocprim17ROCPRIM_400000_NS6detail17trampoline_kernelINS0_14default_configENS1_21merge_config_selectorINS0_5tupleIJiiEEENS0_10empty_typeEEEZNS1_10merge_implIS3_NS0_12zip_iteratorINS5_IJN6thrust23THRUST_200600_302600_NS10device_ptrIiEESE_EEEEESG_SG_PS7_SH_SH_NSC_11hip_rocprim7__merge17predicate_wrapperIiiNSC_4lessIiEEEEEE10hipError_tPvRmT0_T1_T2_T3_T4_T5_mmT6_P12ihipStream_tbEUlT_E_NS1_11comp_targetILNS1_3genE8ELNS1_11target_archE1030ELNS1_3gpuE2ELNS1_3repE0EEENS1_30default_config_static_selectorELNS0_4arch9wavefront6targetE0EEEvSS_.has_indirect_call, 0
	.section	.AMDGPU.csdata,"",@progbits
; Kernel info:
; codeLenInByte = 520
; TotalNumSgprs: 18
; NumVgprs: 13
; ScratchSize: 0
; MemoryBound: 0
; FloatMode: 240
; IeeeMode: 1
; LDSByteSize: 0 bytes/workgroup (compile time only)
; SGPRBlocks: 0
; VGPRBlocks: 1
; NumSGPRsForWavesPerEU: 18
; NumVGPRsForWavesPerEU: 13
; Occupancy: 16
; WaveLimiterHint : 0
; COMPUTE_PGM_RSRC2:SCRATCH_EN: 0
; COMPUTE_PGM_RSRC2:USER_SGPR: 6
; COMPUTE_PGM_RSRC2:TRAP_HANDLER: 0
; COMPUTE_PGM_RSRC2:TGID_X_EN: 1
; COMPUTE_PGM_RSRC2:TGID_Y_EN: 0
; COMPUTE_PGM_RSRC2:TGID_Z_EN: 0
; COMPUTE_PGM_RSRC2:TIDIG_COMP_CNT: 0
	.section	.text._ZN7rocprim17ROCPRIM_400000_NS6detail17trampoline_kernelINS0_14default_configENS1_21merge_config_selectorINS0_5tupleIJiiEEENS0_10empty_typeEEEZNS1_10merge_implIS3_NS0_12zip_iteratorINS5_IJN6thrust23THRUST_200600_302600_NS10device_ptrIiEESE_EEEEESG_SG_PS7_SH_SH_NSC_11hip_rocprim7__merge17predicate_wrapperIiiNSC_4lessIiEEEEEE10hipError_tPvRmT0_T1_T2_T3_T4_T5_mmT6_P12ihipStream_tbEUlT_E0_NS1_11comp_targetILNS1_3genE0ELNS1_11target_archE4294967295ELNS1_3gpuE0ELNS1_3repE0EEENS1_30default_config_static_selectorELNS0_4arch9wavefront6targetE0EEEvSS_,"axG",@progbits,_ZN7rocprim17ROCPRIM_400000_NS6detail17trampoline_kernelINS0_14default_configENS1_21merge_config_selectorINS0_5tupleIJiiEEENS0_10empty_typeEEEZNS1_10merge_implIS3_NS0_12zip_iteratorINS5_IJN6thrust23THRUST_200600_302600_NS10device_ptrIiEESE_EEEEESG_SG_PS7_SH_SH_NSC_11hip_rocprim7__merge17predicate_wrapperIiiNSC_4lessIiEEEEEE10hipError_tPvRmT0_T1_T2_T3_T4_T5_mmT6_P12ihipStream_tbEUlT_E0_NS1_11comp_targetILNS1_3genE0ELNS1_11target_archE4294967295ELNS1_3gpuE0ELNS1_3repE0EEENS1_30default_config_static_selectorELNS0_4arch9wavefront6targetE0EEEvSS_,comdat
	.protected	_ZN7rocprim17ROCPRIM_400000_NS6detail17trampoline_kernelINS0_14default_configENS1_21merge_config_selectorINS0_5tupleIJiiEEENS0_10empty_typeEEEZNS1_10merge_implIS3_NS0_12zip_iteratorINS5_IJN6thrust23THRUST_200600_302600_NS10device_ptrIiEESE_EEEEESG_SG_PS7_SH_SH_NSC_11hip_rocprim7__merge17predicate_wrapperIiiNSC_4lessIiEEEEEE10hipError_tPvRmT0_T1_T2_T3_T4_T5_mmT6_P12ihipStream_tbEUlT_E0_NS1_11comp_targetILNS1_3genE0ELNS1_11target_archE4294967295ELNS1_3gpuE0ELNS1_3repE0EEENS1_30default_config_static_selectorELNS0_4arch9wavefront6targetE0EEEvSS_ ; -- Begin function _ZN7rocprim17ROCPRIM_400000_NS6detail17trampoline_kernelINS0_14default_configENS1_21merge_config_selectorINS0_5tupleIJiiEEENS0_10empty_typeEEEZNS1_10merge_implIS3_NS0_12zip_iteratorINS5_IJN6thrust23THRUST_200600_302600_NS10device_ptrIiEESE_EEEEESG_SG_PS7_SH_SH_NSC_11hip_rocprim7__merge17predicate_wrapperIiiNSC_4lessIiEEEEEE10hipError_tPvRmT0_T1_T2_T3_T4_T5_mmT6_P12ihipStream_tbEUlT_E0_NS1_11comp_targetILNS1_3genE0ELNS1_11target_archE4294967295ELNS1_3gpuE0ELNS1_3repE0EEENS1_30default_config_static_selectorELNS0_4arch9wavefront6targetE0EEEvSS_
	.globl	_ZN7rocprim17ROCPRIM_400000_NS6detail17trampoline_kernelINS0_14default_configENS1_21merge_config_selectorINS0_5tupleIJiiEEENS0_10empty_typeEEEZNS1_10merge_implIS3_NS0_12zip_iteratorINS5_IJN6thrust23THRUST_200600_302600_NS10device_ptrIiEESE_EEEEESG_SG_PS7_SH_SH_NSC_11hip_rocprim7__merge17predicate_wrapperIiiNSC_4lessIiEEEEEE10hipError_tPvRmT0_T1_T2_T3_T4_T5_mmT6_P12ihipStream_tbEUlT_E0_NS1_11comp_targetILNS1_3genE0ELNS1_11target_archE4294967295ELNS1_3gpuE0ELNS1_3repE0EEENS1_30default_config_static_selectorELNS0_4arch9wavefront6targetE0EEEvSS_
	.p2align	8
	.type	_ZN7rocprim17ROCPRIM_400000_NS6detail17trampoline_kernelINS0_14default_configENS1_21merge_config_selectorINS0_5tupleIJiiEEENS0_10empty_typeEEEZNS1_10merge_implIS3_NS0_12zip_iteratorINS5_IJN6thrust23THRUST_200600_302600_NS10device_ptrIiEESE_EEEEESG_SG_PS7_SH_SH_NSC_11hip_rocprim7__merge17predicate_wrapperIiiNSC_4lessIiEEEEEE10hipError_tPvRmT0_T1_T2_T3_T4_T5_mmT6_P12ihipStream_tbEUlT_E0_NS1_11comp_targetILNS1_3genE0ELNS1_11target_archE4294967295ELNS1_3gpuE0ELNS1_3repE0EEENS1_30default_config_static_selectorELNS0_4arch9wavefront6targetE0EEEvSS_,@function
_ZN7rocprim17ROCPRIM_400000_NS6detail17trampoline_kernelINS0_14default_configENS1_21merge_config_selectorINS0_5tupleIJiiEEENS0_10empty_typeEEEZNS1_10merge_implIS3_NS0_12zip_iteratorINS5_IJN6thrust23THRUST_200600_302600_NS10device_ptrIiEESE_EEEEESG_SG_PS7_SH_SH_NSC_11hip_rocprim7__merge17predicate_wrapperIiiNSC_4lessIiEEEEEE10hipError_tPvRmT0_T1_T2_T3_T4_T5_mmT6_P12ihipStream_tbEUlT_E0_NS1_11comp_targetILNS1_3genE0ELNS1_11target_archE4294967295ELNS1_3gpuE0ELNS1_3repE0EEENS1_30default_config_static_selectorELNS0_4arch9wavefront6targetE0EEEvSS_: ; @_ZN7rocprim17ROCPRIM_400000_NS6detail17trampoline_kernelINS0_14default_configENS1_21merge_config_selectorINS0_5tupleIJiiEEENS0_10empty_typeEEEZNS1_10merge_implIS3_NS0_12zip_iteratorINS5_IJN6thrust23THRUST_200600_302600_NS10device_ptrIiEESE_EEEEESG_SG_PS7_SH_SH_NSC_11hip_rocprim7__merge17predicate_wrapperIiiNSC_4lessIiEEEEEE10hipError_tPvRmT0_T1_T2_T3_T4_T5_mmT6_P12ihipStream_tbEUlT_E0_NS1_11comp_targetILNS1_3genE0ELNS1_11target_archE4294967295ELNS1_3gpuE0ELNS1_3repE0EEENS1_30default_config_static_selectorELNS0_4arch9wavefront6targetE0EEEvSS_
; %bb.0:
	.section	.rodata,"a",@progbits
	.p2align	6, 0x0
	.amdhsa_kernel _ZN7rocprim17ROCPRIM_400000_NS6detail17trampoline_kernelINS0_14default_configENS1_21merge_config_selectorINS0_5tupleIJiiEEENS0_10empty_typeEEEZNS1_10merge_implIS3_NS0_12zip_iteratorINS5_IJN6thrust23THRUST_200600_302600_NS10device_ptrIiEESE_EEEEESG_SG_PS7_SH_SH_NSC_11hip_rocprim7__merge17predicate_wrapperIiiNSC_4lessIiEEEEEE10hipError_tPvRmT0_T1_T2_T3_T4_T5_mmT6_P12ihipStream_tbEUlT_E0_NS1_11comp_targetILNS1_3genE0ELNS1_11target_archE4294967295ELNS1_3gpuE0ELNS1_3repE0EEENS1_30default_config_static_selectorELNS0_4arch9wavefront6targetE0EEEvSS_
		.amdhsa_group_segment_fixed_size 0
		.amdhsa_private_segment_fixed_size 0
		.amdhsa_kernarg_size 112
		.amdhsa_user_sgpr_count 6
		.amdhsa_user_sgpr_private_segment_buffer 1
		.amdhsa_user_sgpr_dispatch_ptr 0
		.amdhsa_user_sgpr_queue_ptr 0
		.amdhsa_user_sgpr_kernarg_segment_ptr 1
		.amdhsa_user_sgpr_dispatch_id 0
		.amdhsa_user_sgpr_flat_scratch_init 0
		.amdhsa_user_sgpr_private_segment_size 0
		.amdhsa_wavefront_size32 1
		.amdhsa_uses_dynamic_stack 0
		.amdhsa_system_sgpr_private_segment_wavefront_offset 0
		.amdhsa_system_sgpr_workgroup_id_x 1
		.amdhsa_system_sgpr_workgroup_id_y 0
		.amdhsa_system_sgpr_workgroup_id_z 0
		.amdhsa_system_sgpr_workgroup_info 0
		.amdhsa_system_vgpr_workitem_id 0
		.amdhsa_next_free_vgpr 1
		.amdhsa_next_free_sgpr 1
		.amdhsa_reserve_vcc 0
		.amdhsa_reserve_flat_scratch 0
		.amdhsa_float_round_mode_32 0
		.amdhsa_float_round_mode_16_64 0
		.amdhsa_float_denorm_mode_32 3
		.amdhsa_float_denorm_mode_16_64 3
		.amdhsa_dx10_clamp 1
		.amdhsa_ieee_mode 1
		.amdhsa_fp16_overflow 0
		.amdhsa_workgroup_processor_mode 1
		.amdhsa_memory_ordered 1
		.amdhsa_forward_progress 1
		.amdhsa_shared_vgpr_count 0
		.amdhsa_exception_fp_ieee_invalid_op 0
		.amdhsa_exception_fp_denorm_src 0
		.amdhsa_exception_fp_ieee_div_zero 0
		.amdhsa_exception_fp_ieee_overflow 0
		.amdhsa_exception_fp_ieee_underflow 0
		.amdhsa_exception_fp_ieee_inexact 0
		.amdhsa_exception_int_div_zero 0
	.end_amdhsa_kernel
	.section	.text._ZN7rocprim17ROCPRIM_400000_NS6detail17trampoline_kernelINS0_14default_configENS1_21merge_config_selectorINS0_5tupleIJiiEEENS0_10empty_typeEEEZNS1_10merge_implIS3_NS0_12zip_iteratorINS5_IJN6thrust23THRUST_200600_302600_NS10device_ptrIiEESE_EEEEESG_SG_PS7_SH_SH_NSC_11hip_rocprim7__merge17predicate_wrapperIiiNSC_4lessIiEEEEEE10hipError_tPvRmT0_T1_T2_T3_T4_T5_mmT6_P12ihipStream_tbEUlT_E0_NS1_11comp_targetILNS1_3genE0ELNS1_11target_archE4294967295ELNS1_3gpuE0ELNS1_3repE0EEENS1_30default_config_static_selectorELNS0_4arch9wavefront6targetE0EEEvSS_,"axG",@progbits,_ZN7rocprim17ROCPRIM_400000_NS6detail17trampoline_kernelINS0_14default_configENS1_21merge_config_selectorINS0_5tupleIJiiEEENS0_10empty_typeEEEZNS1_10merge_implIS3_NS0_12zip_iteratorINS5_IJN6thrust23THRUST_200600_302600_NS10device_ptrIiEESE_EEEEESG_SG_PS7_SH_SH_NSC_11hip_rocprim7__merge17predicate_wrapperIiiNSC_4lessIiEEEEEE10hipError_tPvRmT0_T1_T2_T3_T4_T5_mmT6_P12ihipStream_tbEUlT_E0_NS1_11comp_targetILNS1_3genE0ELNS1_11target_archE4294967295ELNS1_3gpuE0ELNS1_3repE0EEENS1_30default_config_static_selectorELNS0_4arch9wavefront6targetE0EEEvSS_,comdat
.Lfunc_end633:
	.size	_ZN7rocprim17ROCPRIM_400000_NS6detail17trampoline_kernelINS0_14default_configENS1_21merge_config_selectorINS0_5tupleIJiiEEENS0_10empty_typeEEEZNS1_10merge_implIS3_NS0_12zip_iteratorINS5_IJN6thrust23THRUST_200600_302600_NS10device_ptrIiEESE_EEEEESG_SG_PS7_SH_SH_NSC_11hip_rocprim7__merge17predicate_wrapperIiiNSC_4lessIiEEEEEE10hipError_tPvRmT0_T1_T2_T3_T4_T5_mmT6_P12ihipStream_tbEUlT_E0_NS1_11comp_targetILNS1_3genE0ELNS1_11target_archE4294967295ELNS1_3gpuE0ELNS1_3repE0EEENS1_30default_config_static_selectorELNS0_4arch9wavefront6targetE0EEEvSS_, .Lfunc_end633-_ZN7rocprim17ROCPRIM_400000_NS6detail17trampoline_kernelINS0_14default_configENS1_21merge_config_selectorINS0_5tupleIJiiEEENS0_10empty_typeEEEZNS1_10merge_implIS3_NS0_12zip_iteratorINS5_IJN6thrust23THRUST_200600_302600_NS10device_ptrIiEESE_EEEEESG_SG_PS7_SH_SH_NSC_11hip_rocprim7__merge17predicate_wrapperIiiNSC_4lessIiEEEEEE10hipError_tPvRmT0_T1_T2_T3_T4_T5_mmT6_P12ihipStream_tbEUlT_E0_NS1_11comp_targetILNS1_3genE0ELNS1_11target_archE4294967295ELNS1_3gpuE0ELNS1_3repE0EEENS1_30default_config_static_selectorELNS0_4arch9wavefront6targetE0EEEvSS_
                                        ; -- End function
	.set _ZN7rocprim17ROCPRIM_400000_NS6detail17trampoline_kernelINS0_14default_configENS1_21merge_config_selectorINS0_5tupleIJiiEEENS0_10empty_typeEEEZNS1_10merge_implIS3_NS0_12zip_iteratorINS5_IJN6thrust23THRUST_200600_302600_NS10device_ptrIiEESE_EEEEESG_SG_PS7_SH_SH_NSC_11hip_rocprim7__merge17predicate_wrapperIiiNSC_4lessIiEEEEEE10hipError_tPvRmT0_T1_T2_T3_T4_T5_mmT6_P12ihipStream_tbEUlT_E0_NS1_11comp_targetILNS1_3genE0ELNS1_11target_archE4294967295ELNS1_3gpuE0ELNS1_3repE0EEENS1_30default_config_static_selectorELNS0_4arch9wavefront6targetE0EEEvSS_.num_vgpr, 0
	.set _ZN7rocprim17ROCPRIM_400000_NS6detail17trampoline_kernelINS0_14default_configENS1_21merge_config_selectorINS0_5tupleIJiiEEENS0_10empty_typeEEEZNS1_10merge_implIS3_NS0_12zip_iteratorINS5_IJN6thrust23THRUST_200600_302600_NS10device_ptrIiEESE_EEEEESG_SG_PS7_SH_SH_NSC_11hip_rocprim7__merge17predicate_wrapperIiiNSC_4lessIiEEEEEE10hipError_tPvRmT0_T1_T2_T3_T4_T5_mmT6_P12ihipStream_tbEUlT_E0_NS1_11comp_targetILNS1_3genE0ELNS1_11target_archE4294967295ELNS1_3gpuE0ELNS1_3repE0EEENS1_30default_config_static_selectorELNS0_4arch9wavefront6targetE0EEEvSS_.num_agpr, 0
	.set _ZN7rocprim17ROCPRIM_400000_NS6detail17trampoline_kernelINS0_14default_configENS1_21merge_config_selectorINS0_5tupleIJiiEEENS0_10empty_typeEEEZNS1_10merge_implIS3_NS0_12zip_iteratorINS5_IJN6thrust23THRUST_200600_302600_NS10device_ptrIiEESE_EEEEESG_SG_PS7_SH_SH_NSC_11hip_rocprim7__merge17predicate_wrapperIiiNSC_4lessIiEEEEEE10hipError_tPvRmT0_T1_T2_T3_T4_T5_mmT6_P12ihipStream_tbEUlT_E0_NS1_11comp_targetILNS1_3genE0ELNS1_11target_archE4294967295ELNS1_3gpuE0ELNS1_3repE0EEENS1_30default_config_static_selectorELNS0_4arch9wavefront6targetE0EEEvSS_.numbered_sgpr, 0
	.set _ZN7rocprim17ROCPRIM_400000_NS6detail17trampoline_kernelINS0_14default_configENS1_21merge_config_selectorINS0_5tupleIJiiEEENS0_10empty_typeEEEZNS1_10merge_implIS3_NS0_12zip_iteratorINS5_IJN6thrust23THRUST_200600_302600_NS10device_ptrIiEESE_EEEEESG_SG_PS7_SH_SH_NSC_11hip_rocprim7__merge17predicate_wrapperIiiNSC_4lessIiEEEEEE10hipError_tPvRmT0_T1_T2_T3_T4_T5_mmT6_P12ihipStream_tbEUlT_E0_NS1_11comp_targetILNS1_3genE0ELNS1_11target_archE4294967295ELNS1_3gpuE0ELNS1_3repE0EEENS1_30default_config_static_selectorELNS0_4arch9wavefront6targetE0EEEvSS_.num_named_barrier, 0
	.set _ZN7rocprim17ROCPRIM_400000_NS6detail17trampoline_kernelINS0_14default_configENS1_21merge_config_selectorINS0_5tupleIJiiEEENS0_10empty_typeEEEZNS1_10merge_implIS3_NS0_12zip_iteratorINS5_IJN6thrust23THRUST_200600_302600_NS10device_ptrIiEESE_EEEEESG_SG_PS7_SH_SH_NSC_11hip_rocprim7__merge17predicate_wrapperIiiNSC_4lessIiEEEEEE10hipError_tPvRmT0_T1_T2_T3_T4_T5_mmT6_P12ihipStream_tbEUlT_E0_NS1_11comp_targetILNS1_3genE0ELNS1_11target_archE4294967295ELNS1_3gpuE0ELNS1_3repE0EEENS1_30default_config_static_selectorELNS0_4arch9wavefront6targetE0EEEvSS_.private_seg_size, 0
	.set _ZN7rocprim17ROCPRIM_400000_NS6detail17trampoline_kernelINS0_14default_configENS1_21merge_config_selectorINS0_5tupleIJiiEEENS0_10empty_typeEEEZNS1_10merge_implIS3_NS0_12zip_iteratorINS5_IJN6thrust23THRUST_200600_302600_NS10device_ptrIiEESE_EEEEESG_SG_PS7_SH_SH_NSC_11hip_rocprim7__merge17predicate_wrapperIiiNSC_4lessIiEEEEEE10hipError_tPvRmT0_T1_T2_T3_T4_T5_mmT6_P12ihipStream_tbEUlT_E0_NS1_11comp_targetILNS1_3genE0ELNS1_11target_archE4294967295ELNS1_3gpuE0ELNS1_3repE0EEENS1_30default_config_static_selectorELNS0_4arch9wavefront6targetE0EEEvSS_.uses_vcc, 0
	.set _ZN7rocprim17ROCPRIM_400000_NS6detail17trampoline_kernelINS0_14default_configENS1_21merge_config_selectorINS0_5tupleIJiiEEENS0_10empty_typeEEEZNS1_10merge_implIS3_NS0_12zip_iteratorINS5_IJN6thrust23THRUST_200600_302600_NS10device_ptrIiEESE_EEEEESG_SG_PS7_SH_SH_NSC_11hip_rocprim7__merge17predicate_wrapperIiiNSC_4lessIiEEEEEE10hipError_tPvRmT0_T1_T2_T3_T4_T5_mmT6_P12ihipStream_tbEUlT_E0_NS1_11comp_targetILNS1_3genE0ELNS1_11target_archE4294967295ELNS1_3gpuE0ELNS1_3repE0EEENS1_30default_config_static_selectorELNS0_4arch9wavefront6targetE0EEEvSS_.uses_flat_scratch, 0
	.set _ZN7rocprim17ROCPRIM_400000_NS6detail17trampoline_kernelINS0_14default_configENS1_21merge_config_selectorINS0_5tupleIJiiEEENS0_10empty_typeEEEZNS1_10merge_implIS3_NS0_12zip_iteratorINS5_IJN6thrust23THRUST_200600_302600_NS10device_ptrIiEESE_EEEEESG_SG_PS7_SH_SH_NSC_11hip_rocprim7__merge17predicate_wrapperIiiNSC_4lessIiEEEEEE10hipError_tPvRmT0_T1_T2_T3_T4_T5_mmT6_P12ihipStream_tbEUlT_E0_NS1_11comp_targetILNS1_3genE0ELNS1_11target_archE4294967295ELNS1_3gpuE0ELNS1_3repE0EEENS1_30default_config_static_selectorELNS0_4arch9wavefront6targetE0EEEvSS_.has_dyn_sized_stack, 0
	.set _ZN7rocprim17ROCPRIM_400000_NS6detail17trampoline_kernelINS0_14default_configENS1_21merge_config_selectorINS0_5tupleIJiiEEENS0_10empty_typeEEEZNS1_10merge_implIS3_NS0_12zip_iteratorINS5_IJN6thrust23THRUST_200600_302600_NS10device_ptrIiEESE_EEEEESG_SG_PS7_SH_SH_NSC_11hip_rocprim7__merge17predicate_wrapperIiiNSC_4lessIiEEEEEE10hipError_tPvRmT0_T1_T2_T3_T4_T5_mmT6_P12ihipStream_tbEUlT_E0_NS1_11comp_targetILNS1_3genE0ELNS1_11target_archE4294967295ELNS1_3gpuE0ELNS1_3repE0EEENS1_30default_config_static_selectorELNS0_4arch9wavefront6targetE0EEEvSS_.has_recursion, 0
	.set _ZN7rocprim17ROCPRIM_400000_NS6detail17trampoline_kernelINS0_14default_configENS1_21merge_config_selectorINS0_5tupleIJiiEEENS0_10empty_typeEEEZNS1_10merge_implIS3_NS0_12zip_iteratorINS5_IJN6thrust23THRUST_200600_302600_NS10device_ptrIiEESE_EEEEESG_SG_PS7_SH_SH_NSC_11hip_rocprim7__merge17predicate_wrapperIiiNSC_4lessIiEEEEEE10hipError_tPvRmT0_T1_T2_T3_T4_T5_mmT6_P12ihipStream_tbEUlT_E0_NS1_11comp_targetILNS1_3genE0ELNS1_11target_archE4294967295ELNS1_3gpuE0ELNS1_3repE0EEENS1_30default_config_static_selectorELNS0_4arch9wavefront6targetE0EEEvSS_.has_indirect_call, 0
	.section	.AMDGPU.csdata,"",@progbits
; Kernel info:
; codeLenInByte = 0
; TotalNumSgprs: 0
; NumVgprs: 0
; ScratchSize: 0
; MemoryBound: 0
; FloatMode: 240
; IeeeMode: 1
; LDSByteSize: 0 bytes/workgroup (compile time only)
; SGPRBlocks: 0
; VGPRBlocks: 0
; NumSGPRsForWavesPerEU: 1
; NumVGPRsForWavesPerEU: 1
; Occupancy: 16
; WaveLimiterHint : 0
; COMPUTE_PGM_RSRC2:SCRATCH_EN: 0
; COMPUTE_PGM_RSRC2:USER_SGPR: 6
; COMPUTE_PGM_RSRC2:TRAP_HANDLER: 0
; COMPUTE_PGM_RSRC2:TGID_X_EN: 1
; COMPUTE_PGM_RSRC2:TGID_Y_EN: 0
; COMPUTE_PGM_RSRC2:TGID_Z_EN: 0
; COMPUTE_PGM_RSRC2:TIDIG_COMP_CNT: 0
	.section	.text._ZN7rocprim17ROCPRIM_400000_NS6detail17trampoline_kernelINS0_14default_configENS1_21merge_config_selectorINS0_5tupleIJiiEEENS0_10empty_typeEEEZNS1_10merge_implIS3_NS0_12zip_iteratorINS5_IJN6thrust23THRUST_200600_302600_NS10device_ptrIiEESE_EEEEESG_SG_PS7_SH_SH_NSC_11hip_rocprim7__merge17predicate_wrapperIiiNSC_4lessIiEEEEEE10hipError_tPvRmT0_T1_T2_T3_T4_T5_mmT6_P12ihipStream_tbEUlT_E0_NS1_11comp_targetILNS1_3genE5ELNS1_11target_archE942ELNS1_3gpuE9ELNS1_3repE0EEENS1_30default_config_static_selectorELNS0_4arch9wavefront6targetE0EEEvSS_,"axG",@progbits,_ZN7rocprim17ROCPRIM_400000_NS6detail17trampoline_kernelINS0_14default_configENS1_21merge_config_selectorINS0_5tupleIJiiEEENS0_10empty_typeEEEZNS1_10merge_implIS3_NS0_12zip_iteratorINS5_IJN6thrust23THRUST_200600_302600_NS10device_ptrIiEESE_EEEEESG_SG_PS7_SH_SH_NSC_11hip_rocprim7__merge17predicate_wrapperIiiNSC_4lessIiEEEEEE10hipError_tPvRmT0_T1_T2_T3_T4_T5_mmT6_P12ihipStream_tbEUlT_E0_NS1_11comp_targetILNS1_3genE5ELNS1_11target_archE942ELNS1_3gpuE9ELNS1_3repE0EEENS1_30default_config_static_selectorELNS0_4arch9wavefront6targetE0EEEvSS_,comdat
	.protected	_ZN7rocprim17ROCPRIM_400000_NS6detail17trampoline_kernelINS0_14default_configENS1_21merge_config_selectorINS0_5tupleIJiiEEENS0_10empty_typeEEEZNS1_10merge_implIS3_NS0_12zip_iteratorINS5_IJN6thrust23THRUST_200600_302600_NS10device_ptrIiEESE_EEEEESG_SG_PS7_SH_SH_NSC_11hip_rocprim7__merge17predicate_wrapperIiiNSC_4lessIiEEEEEE10hipError_tPvRmT0_T1_T2_T3_T4_T5_mmT6_P12ihipStream_tbEUlT_E0_NS1_11comp_targetILNS1_3genE5ELNS1_11target_archE942ELNS1_3gpuE9ELNS1_3repE0EEENS1_30default_config_static_selectorELNS0_4arch9wavefront6targetE0EEEvSS_ ; -- Begin function _ZN7rocprim17ROCPRIM_400000_NS6detail17trampoline_kernelINS0_14default_configENS1_21merge_config_selectorINS0_5tupleIJiiEEENS0_10empty_typeEEEZNS1_10merge_implIS3_NS0_12zip_iteratorINS5_IJN6thrust23THRUST_200600_302600_NS10device_ptrIiEESE_EEEEESG_SG_PS7_SH_SH_NSC_11hip_rocprim7__merge17predicate_wrapperIiiNSC_4lessIiEEEEEE10hipError_tPvRmT0_T1_T2_T3_T4_T5_mmT6_P12ihipStream_tbEUlT_E0_NS1_11comp_targetILNS1_3genE5ELNS1_11target_archE942ELNS1_3gpuE9ELNS1_3repE0EEENS1_30default_config_static_selectorELNS0_4arch9wavefront6targetE0EEEvSS_
	.globl	_ZN7rocprim17ROCPRIM_400000_NS6detail17trampoline_kernelINS0_14default_configENS1_21merge_config_selectorINS0_5tupleIJiiEEENS0_10empty_typeEEEZNS1_10merge_implIS3_NS0_12zip_iteratorINS5_IJN6thrust23THRUST_200600_302600_NS10device_ptrIiEESE_EEEEESG_SG_PS7_SH_SH_NSC_11hip_rocprim7__merge17predicate_wrapperIiiNSC_4lessIiEEEEEE10hipError_tPvRmT0_T1_T2_T3_T4_T5_mmT6_P12ihipStream_tbEUlT_E0_NS1_11comp_targetILNS1_3genE5ELNS1_11target_archE942ELNS1_3gpuE9ELNS1_3repE0EEENS1_30default_config_static_selectorELNS0_4arch9wavefront6targetE0EEEvSS_
	.p2align	8
	.type	_ZN7rocprim17ROCPRIM_400000_NS6detail17trampoline_kernelINS0_14default_configENS1_21merge_config_selectorINS0_5tupleIJiiEEENS0_10empty_typeEEEZNS1_10merge_implIS3_NS0_12zip_iteratorINS5_IJN6thrust23THRUST_200600_302600_NS10device_ptrIiEESE_EEEEESG_SG_PS7_SH_SH_NSC_11hip_rocprim7__merge17predicate_wrapperIiiNSC_4lessIiEEEEEE10hipError_tPvRmT0_T1_T2_T3_T4_T5_mmT6_P12ihipStream_tbEUlT_E0_NS1_11comp_targetILNS1_3genE5ELNS1_11target_archE942ELNS1_3gpuE9ELNS1_3repE0EEENS1_30default_config_static_selectorELNS0_4arch9wavefront6targetE0EEEvSS_,@function
_ZN7rocprim17ROCPRIM_400000_NS6detail17trampoline_kernelINS0_14default_configENS1_21merge_config_selectorINS0_5tupleIJiiEEENS0_10empty_typeEEEZNS1_10merge_implIS3_NS0_12zip_iteratorINS5_IJN6thrust23THRUST_200600_302600_NS10device_ptrIiEESE_EEEEESG_SG_PS7_SH_SH_NSC_11hip_rocprim7__merge17predicate_wrapperIiiNSC_4lessIiEEEEEE10hipError_tPvRmT0_T1_T2_T3_T4_T5_mmT6_P12ihipStream_tbEUlT_E0_NS1_11comp_targetILNS1_3genE5ELNS1_11target_archE942ELNS1_3gpuE9ELNS1_3repE0EEENS1_30default_config_static_selectorELNS0_4arch9wavefront6targetE0EEEvSS_: ; @_ZN7rocprim17ROCPRIM_400000_NS6detail17trampoline_kernelINS0_14default_configENS1_21merge_config_selectorINS0_5tupleIJiiEEENS0_10empty_typeEEEZNS1_10merge_implIS3_NS0_12zip_iteratorINS5_IJN6thrust23THRUST_200600_302600_NS10device_ptrIiEESE_EEEEESG_SG_PS7_SH_SH_NSC_11hip_rocprim7__merge17predicate_wrapperIiiNSC_4lessIiEEEEEE10hipError_tPvRmT0_T1_T2_T3_T4_T5_mmT6_P12ihipStream_tbEUlT_E0_NS1_11comp_targetILNS1_3genE5ELNS1_11target_archE942ELNS1_3gpuE9ELNS1_3repE0EEENS1_30default_config_static_selectorELNS0_4arch9wavefront6targetE0EEEvSS_
; %bb.0:
	.section	.rodata,"a",@progbits
	.p2align	6, 0x0
	.amdhsa_kernel _ZN7rocprim17ROCPRIM_400000_NS6detail17trampoline_kernelINS0_14default_configENS1_21merge_config_selectorINS0_5tupleIJiiEEENS0_10empty_typeEEEZNS1_10merge_implIS3_NS0_12zip_iteratorINS5_IJN6thrust23THRUST_200600_302600_NS10device_ptrIiEESE_EEEEESG_SG_PS7_SH_SH_NSC_11hip_rocprim7__merge17predicate_wrapperIiiNSC_4lessIiEEEEEE10hipError_tPvRmT0_T1_T2_T3_T4_T5_mmT6_P12ihipStream_tbEUlT_E0_NS1_11comp_targetILNS1_3genE5ELNS1_11target_archE942ELNS1_3gpuE9ELNS1_3repE0EEENS1_30default_config_static_selectorELNS0_4arch9wavefront6targetE0EEEvSS_
		.amdhsa_group_segment_fixed_size 0
		.amdhsa_private_segment_fixed_size 0
		.amdhsa_kernarg_size 112
		.amdhsa_user_sgpr_count 6
		.amdhsa_user_sgpr_private_segment_buffer 1
		.amdhsa_user_sgpr_dispatch_ptr 0
		.amdhsa_user_sgpr_queue_ptr 0
		.amdhsa_user_sgpr_kernarg_segment_ptr 1
		.amdhsa_user_sgpr_dispatch_id 0
		.amdhsa_user_sgpr_flat_scratch_init 0
		.amdhsa_user_sgpr_private_segment_size 0
		.amdhsa_wavefront_size32 1
		.amdhsa_uses_dynamic_stack 0
		.amdhsa_system_sgpr_private_segment_wavefront_offset 0
		.amdhsa_system_sgpr_workgroup_id_x 1
		.amdhsa_system_sgpr_workgroup_id_y 0
		.amdhsa_system_sgpr_workgroup_id_z 0
		.amdhsa_system_sgpr_workgroup_info 0
		.amdhsa_system_vgpr_workitem_id 0
		.amdhsa_next_free_vgpr 1
		.amdhsa_next_free_sgpr 1
		.amdhsa_reserve_vcc 0
		.amdhsa_reserve_flat_scratch 0
		.amdhsa_float_round_mode_32 0
		.amdhsa_float_round_mode_16_64 0
		.amdhsa_float_denorm_mode_32 3
		.amdhsa_float_denorm_mode_16_64 3
		.amdhsa_dx10_clamp 1
		.amdhsa_ieee_mode 1
		.amdhsa_fp16_overflow 0
		.amdhsa_workgroup_processor_mode 1
		.amdhsa_memory_ordered 1
		.amdhsa_forward_progress 1
		.amdhsa_shared_vgpr_count 0
		.amdhsa_exception_fp_ieee_invalid_op 0
		.amdhsa_exception_fp_denorm_src 0
		.amdhsa_exception_fp_ieee_div_zero 0
		.amdhsa_exception_fp_ieee_overflow 0
		.amdhsa_exception_fp_ieee_underflow 0
		.amdhsa_exception_fp_ieee_inexact 0
		.amdhsa_exception_int_div_zero 0
	.end_amdhsa_kernel
	.section	.text._ZN7rocprim17ROCPRIM_400000_NS6detail17trampoline_kernelINS0_14default_configENS1_21merge_config_selectorINS0_5tupleIJiiEEENS0_10empty_typeEEEZNS1_10merge_implIS3_NS0_12zip_iteratorINS5_IJN6thrust23THRUST_200600_302600_NS10device_ptrIiEESE_EEEEESG_SG_PS7_SH_SH_NSC_11hip_rocprim7__merge17predicate_wrapperIiiNSC_4lessIiEEEEEE10hipError_tPvRmT0_T1_T2_T3_T4_T5_mmT6_P12ihipStream_tbEUlT_E0_NS1_11comp_targetILNS1_3genE5ELNS1_11target_archE942ELNS1_3gpuE9ELNS1_3repE0EEENS1_30default_config_static_selectorELNS0_4arch9wavefront6targetE0EEEvSS_,"axG",@progbits,_ZN7rocprim17ROCPRIM_400000_NS6detail17trampoline_kernelINS0_14default_configENS1_21merge_config_selectorINS0_5tupleIJiiEEENS0_10empty_typeEEEZNS1_10merge_implIS3_NS0_12zip_iteratorINS5_IJN6thrust23THRUST_200600_302600_NS10device_ptrIiEESE_EEEEESG_SG_PS7_SH_SH_NSC_11hip_rocprim7__merge17predicate_wrapperIiiNSC_4lessIiEEEEEE10hipError_tPvRmT0_T1_T2_T3_T4_T5_mmT6_P12ihipStream_tbEUlT_E0_NS1_11comp_targetILNS1_3genE5ELNS1_11target_archE942ELNS1_3gpuE9ELNS1_3repE0EEENS1_30default_config_static_selectorELNS0_4arch9wavefront6targetE0EEEvSS_,comdat
.Lfunc_end634:
	.size	_ZN7rocprim17ROCPRIM_400000_NS6detail17trampoline_kernelINS0_14default_configENS1_21merge_config_selectorINS0_5tupleIJiiEEENS0_10empty_typeEEEZNS1_10merge_implIS3_NS0_12zip_iteratorINS5_IJN6thrust23THRUST_200600_302600_NS10device_ptrIiEESE_EEEEESG_SG_PS7_SH_SH_NSC_11hip_rocprim7__merge17predicate_wrapperIiiNSC_4lessIiEEEEEE10hipError_tPvRmT0_T1_T2_T3_T4_T5_mmT6_P12ihipStream_tbEUlT_E0_NS1_11comp_targetILNS1_3genE5ELNS1_11target_archE942ELNS1_3gpuE9ELNS1_3repE0EEENS1_30default_config_static_selectorELNS0_4arch9wavefront6targetE0EEEvSS_, .Lfunc_end634-_ZN7rocprim17ROCPRIM_400000_NS6detail17trampoline_kernelINS0_14default_configENS1_21merge_config_selectorINS0_5tupleIJiiEEENS0_10empty_typeEEEZNS1_10merge_implIS3_NS0_12zip_iteratorINS5_IJN6thrust23THRUST_200600_302600_NS10device_ptrIiEESE_EEEEESG_SG_PS7_SH_SH_NSC_11hip_rocprim7__merge17predicate_wrapperIiiNSC_4lessIiEEEEEE10hipError_tPvRmT0_T1_T2_T3_T4_T5_mmT6_P12ihipStream_tbEUlT_E0_NS1_11comp_targetILNS1_3genE5ELNS1_11target_archE942ELNS1_3gpuE9ELNS1_3repE0EEENS1_30default_config_static_selectorELNS0_4arch9wavefront6targetE0EEEvSS_
                                        ; -- End function
	.set _ZN7rocprim17ROCPRIM_400000_NS6detail17trampoline_kernelINS0_14default_configENS1_21merge_config_selectorINS0_5tupleIJiiEEENS0_10empty_typeEEEZNS1_10merge_implIS3_NS0_12zip_iteratorINS5_IJN6thrust23THRUST_200600_302600_NS10device_ptrIiEESE_EEEEESG_SG_PS7_SH_SH_NSC_11hip_rocprim7__merge17predicate_wrapperIiiNSC_4lessIiEEEEEE10hipError_tPvRmT0_T1_T2_T3_T4_T5_mmT6_P12ihipStream_tbEUlT_E0_NS1_11comp_targetILNS1_3genE5ELNS1_11target_archE942ELNS1_3gpuE9ELNS1_3repE0EEENS1_30default_config_static_selectorELNS0_4arch9wavefront6targetE0EEEvSS_.num_vgpr, 0
	.set _ZN7rocprim17ROCPRIM_400000_NS6detail17trampoline_kernelINS0_14default_configENS1_21merge_config_selectorINS0_5tupleIJiiEEENS0_10empty_typeEEEZNS1_10merge_implIS3_NS0_12zip_iteratorINS5_IJN6thrust23THRUST_200600_302600_NS10device_ptrIiEESE_EEEEESG_SG_PS7_SH_SH_NSC_11hip_rocprim7__merge17predicate_wrapperIiiNSC_4lessIiEEEEEE10hipError_tPvRmT0_T1_T2_T3_T4_T5_mmT6_P12ihipStream_tbEUlT_E0_NS1_11comp_targetILNS1_3genE5ELNS1_11target_archE942ELNS1_3gpuE9ELNS1_3repE0EEENS1_30default_config_static_selectorELNS0_4arch9wavefront6targetE0EEEvSS_.num_agpr, 0
	.set _ZN7rocprim17ROCPRIM_400000_NS6detail17trampoline_kernelINS0_14default_configENS1_21merge_config_selectorINS0_5tupleIJiiEEENS0_10empty_typeEEEZNS1_10merge_implIS3_NS0_12zip_iteratorINS5_IJN6thrust23THRUST_200600_302600_NS10device_ptrIiEESE_EEEEESG_SG_PS7_SH_SH_NSC_11hip_rocprim7__merge17predicate_wrapperIiiNSC_4lessIiEEEEEE10hipError_tPvRmT0_T1_T2_T3_T4_T5_mmT6_P12ihipStream_tbEUlT_E0_NS1_11comp_targetILNS1_3genE5ELNS1_11target_archE942ELNS1_3gpuE9ELNS1_3repE0EEENS1_30default_config_static_selectorELNS0_4arch9wavefront6targetE0EEEvSS_.numbered_sgpr, 0
	.set _ZN7rocprim17ROCPRIM_400000_NS6detail17trampoline_kernelINS0_14default_configENS1_21merge_config_selectorINS0_5tupleIJiiEEENS0_10empty_typeEEEZNS1_10merge_implIS3_NS0_12zip_iteratorINS5_IJN6thrust23THRUST_200600_302600_NS10device_ptrIiEESE_EEEEESG_SG_PS7_SH_SH_NSC_11hip_rocprim7__merge17predicate_wrapperIiiNSC_4lessIiEEEEEE10hipError_tPvRmT0_T1_T2_T3_T4_T5_mmT6_P12ihipStream_tbEUlT_E0_NS1_11comp_targetILNS1_3genE5ELNS1_11target_archE942ELNS1_3gpuE9ELNS1_3repE0EEENS1_30default_config_static_selectorELNS0_4arch9wavefront6targetE0EEEvSS_.num_named_barrier, 0
	.set _ZN7rocprim17ROCPRIM_400000_NS6detail17trampoline_kernelINS0_14default_configENS1_21merge_config_selectorINS0_5tupleIJiiEEENS0_10empty_typeEEEZNS1_10merge_implIS3_NS0_12zip_iteratorINS5_IJN6thrust23THRUST_200600_302600_NS10device_ptrIiEESE_EEEEESG_SG_PS7_SH_SH_NSC_11hip_rocprim7__merge17predicate_wrapperIiiNSC_4lessIiEEEEEE10hipError_tPvRmT0_T1_T2_T3_T4_T5_mmT6_P12ihipStream_tbEUlT_E0_NS1_11comp_targetILNS1_3genE5ELNS1_11target_archE942ELNS1_3gpuE9ELNS1_3repE0EEENS1_30default_config_static_selectorELNS0_4arch9wavefront6targetE0EEEvSS_.private_seg_size, 0
	.set _ZN7rocprim17ROCPRIM_400000_NS6detail17trampoline_kernelINS0_14default_configENS1_21merge_config_selectorINS0_5tupleIJiiEEENS0_10empty_typeEEEZNS1_10merge_implIS3_NS0_12zip_iteratorINS5_IJN6thrust23THRUST_200600_302600_NS10device_ptrIiEESE_EEEEESG_SG_PS7_SH_SH_NSC_11hip_rocprim7__merge17predicate_wrapperIiiNSC_4lessIiEEEEEE10hipError_tPvRmT0_T1_T2_T3_T4_T5_mmT6_P12ihipStream_tbEUlT_E0_NS1_11comp_targetILNS1_3genE5ELNS1_11target_archE942ELNS1_3gpuE9ELNS1_3repE0EEENS1_30default_config_static_selectorELNS0_4arch9wavefront6targetE0EEEvSS_.uses_vcc, 0
	.set _ZN7rocprim17ROCPRIM_400000_NS6detail17trampoline_kernelINS0_14default_configENS1_21merge_config_selectorINS0_5tupleIJiiEEENS0_10empty_typeEEEZNS1_10merge_implIS3_NS0_12zip_iteratorINS5_IJN6thrust23THRUST_200600_302600_NS10device_ptrIiEESE_EEEEESG_SG_PS7_SH_SH_NSC_11hip_rocprim7__merge17predicate_wrapperIiiNSC_4lessIiEEEEEE10hipError_tPvRmT0_T1_T2_T3_T4_T5_mmT6_P12ihipStream_tbEUlT_E0_NS1_11comp_targetILNS1_3genE5ELNS1_11target_archE942ELNS1_3gpuE9ELNS1_3repE0EEENS1_30default_config_static_selectorELNS0_4arch9wavefront6targetE0EEEvSS_.uses_flat_scratch, 0
	.set _ZN7rocprim17ROCPRIM_400000_NS6detail17trampoline_kernelINS0_14default_configENS1_21merge_config_selectorINS0_5tupleIJiiEEENS0_10empty_typeEEEZNS1_10merge_implIS3_NS0_12zip_iteratorINS5_IJN6thrust23THRUST_200600_302600_NS10device_ptrIiEESE_EEEEESG_SG_PS7_SH_SH_NSC_11hip_rocprim7__merge17predicate_wrapperIiiNSC_4lessIiEEEEEE10hipError_tPvRmT0_T1_T2_T3_T4_T5_mmT6_P12ihipStream_tbEUlT_E0_NS1_11comp_targetILNS1_3genE5ELNS1_11target_archE942ELNS1_3gpuE9ELNS1_3repE0EEENS1_30default_config_static_selectorELNS0_4arch9wavefront6targetE0EEEvSS_.has_dyn_sized_stack, 0
	.set _ZN7rocprim17ROCPRIM_400000_NS6detail17trampoline_kernelINS0_14default_configENS1_21merge_config_selectorINS0_5tupleIJiiEEENS0_10empty_typeEEEZNS1_10merge_implIS3_NS0_12zip_iteratorINS5_IJN6thrust23THRUST_200600_302600_NS10device_ptrIiEESE_EEEEESG_SG_PS7_SH_SH_NSC_11hip_rocprim7__merge17predicate_wrapperIiiNSC_4lessIiEEEEEE10hipError_tPvRmT0_T1_T2_T3_T4_T5_mmT6_P12ihipStream_tbEUlT_E0_NS1_11comp_targetILNS1_3genE5ELNS1_11target_archE942ELNS1_3gpuE9ELNS1_3repE0EEENS1_30default_config_static_selectorELNS0_4arch9wavefront6targetE0EEEvSS_.has_recursion, 0
	.set _ZN7rocprim17ROCPRIM_400000_NS6detail17trampoline_kernelINS0_14default_configENS1_21merge_config_selectorINS0_5tupleIJiiEEENS0_10empty_typeEEEZNS1_10merge_implIS3_NS0_12zip_iteratorINS5_IJN6thrust23THRUST_200600_302600_NS10device_ptrIiEESE_EEEEESG_SG_PS7_SH_SH_NSC_11hip_rocprim7__merge17predicate_wrapperIiiNSC_4lessIiEEEEEE10hipError_tPvRmT0_T1_T2_T3_T4_T5_mmT6_P12ihipStream_tbEUlT_E0_NS1_11comp_targetILNS1_3genE5ELNS1_11target_archE942ELNS1_3gpuE9ELNS1_3repE0EEENS1_30default_config_static_selectorELNS0_4arch9wavefront6targetE0EEEvSS_.has_indirect_call, 0
	.section	.AMDGPU.csdata,"",@progbits
; Kernel info:
; codeLenInByte = 0
; TotalNumSgprs: 0
; NumVgprs: 0
; ScratchSize: 0
; MemoryBound: 0
; FloatMode: 240
; IeeeMode: 1
; LDSByteSize: 0 bytes/workgroup (compile time only)
; SGPRBlocks: 0
; VGPRBlocks: 0
; NumSGPRsForWavesPerEU: 1
; NumVGPRsForWavesPerEU: 1
; Occupancy: 16
; WaveLimiterHint : 0
; COMPUTE_PGM_RSRC2:SCRATCH_EN: 0
; COMPUTE_PGM_RSRC2:USER_SGPR: 6
; COMPUTE_PGM_RSRC2:TRAP_HANDLER: 0
; COMPUTE_PGM_RSRC2:TGID_X_EN: 1
; COMPUTE_PGM_RSRC2:TGID_Y_EN: 0
; COMPUTE_PGM_RSRC2:TGID_Z_EN: 0
; COMPUTE_PGM_RSRC2:TIDIG_COMP_CNT: 0
	.section	.text._ZN7rocprim17ROCPRIM_400000_NS6detail17trampoline_kernelINS0_14default_configENS1_21merge_config_selectorINS0_5tupleIJiiEEENS0_10empty_typeEEEZNS1_10merge_implIS3_NS0_12zip_iteratorINS5_IJN6thrust23THRUST_200600_302600_NS10device_ptrIiEESE_EEEEESG_SG_PS7_SH_SH_NSC_11hip_rocprim7__merge17predicate_wrapperIiiNSC_4lessIiEEEEEE10hipError_tPvRmT0_T1_T2_T3_T4_T5_mmT6_P12ihipStream_tbEUlT_E0_NS1_11comp_targetILNS1_3genE4ELNS1_11target_archE910ELNS1_3gpuE8ELNS1_3repE0EEENS1_30default_config_static_selectorELNS0_4arch9wavefront6targetE0EEEvSS_,"axG",@progbits,_ZN7rocprim17ROCPRIM_400000_NS6detail17trampoline_kernelINS0_14default_configENS1_21merge_config_selectorINS0_5tupleIJiiEEENS0_10empty_typeEEEZNS1_10merge_implIS3_NS0_12zip_iteratorINS5_IJN6thrust23THRUST_200600_302600_NS10device_ptrIiEESE_EEEEESG_SG_PS7_SH_SH_NSC_11hip_rocprim7__merge17predicate_wrapperIiiNSC_4lessIiEEEEEE10hipError_tPvRmT0_T1_T2_T3_T4_T5_mmT6_P12ihipStream_tbEUlT_E0_NS1_11comp_targetILNS1_3genE4ELNS1_11target_archE910ELNS1_3gpuE8ELNS1_3repE0EEENS1_30default_config_static_selectorELNS0_4arch9wavefront6targetE0EEEvSS_,comdat
	.protected	_ZN7rocprim17ROCPRIM_400000_NS6detail17trampoline_kernelINS0_14default_configENS1_21merge_config_selectorINS0_5tupleIJiiEEENS0_10empty_typeEEEZNS1_10merge_implIS3_NS0_12zip_iteratorINS5_IJN6thrust23THRUST_200600_302600_NS10device_ptrIiEESE_EEEEESG_SG_PS7_SH_SH_NSC_11hip_rocprim7__merge17predicate_wrapperIiiNSC_4lessIiEEEEEE10hipError_tPvRmT0_T1_T2_T3_T4_T5_mmT6_P12ihipStream_tbEUlT_E0_NS1_11comp_targetILNS1_3genE4ELNS1_11target_archE910ELNS1_3gpuE8ELNS1_3repE0EEENS1_30default_config_static_selectorELNS0_4arch9wavefront6targetE0EEEvSS_ ; -- Begin function _ZN7rocprim17ROCPRIM_400000_NS6detail17trampoline_kernelINS0_14default_configENS1_21merge_config_selectorINS0_5tupleIJiiEEENS0_10empty_typeEEEZNS1_10merge_implIS3_NS0_12zip_iteratorINS5_IJN6thrust23THRUST_200600_302600_NS10device_ptrIiEESE_EEEEESG_SG_PS7_SH_SH_NSC_11hip_rocprim7__merge17predicate_wrapperIiiNSC_4lessIiEEEEEE10hipError_tPvRmT0_T1_T2_T3_T4_T5_mmT6_P12ihipStream_tbEUlT_E0_NS1_11comp_targetILNS1_3genE4ELNS1_11target_archE910ELNS1_3gpuE8ELNS1_3repE0EEENS1_30default_config_static_selectorELNS0_4arch9wavefront6targetE0EEEvSS_
	.globl	_ZN7rocprim17ROCPRIM_400000_NS6detail17trampoline_kernelINS0_14default_configENS1_21merge_config_selectorINS0_5tupleIJiiEEENS0_10empty_typeEEEZNS1_10merge_implIS3_NS0_12zip_iteratorINS5_IJN6thrust23THRUST_200600_302600_NS10device_ptrIiEESE_EEEEESG_SG_PS7_SH_SH_NSC_11hip_rocprim7__merge17predicate_wrapperIiiNSC_4lessIiEEEEEE10hipError_tPvRmT0_T1_T2_T3_T4_T5_mmT6_P12ihipStream_tbEUlT_E0_NS1_11comp_targetILNS1_3genE4ELNS1_11target_archE910ELNS1_3gpuE8ELNS1_3repE0EEENS1_30default_config_static_selectorELNS0_4arch9wavefront6targetE0EEEvSS_
	.p2align	8
	.type	_ZN7rocprim17ROCPRIM_400000_NS6detail17trampoline_kernelINS0_14default_configENS1_21merge_config_selectorINS0_5tupleIJiiEEENS0_10empty_typeEEEZNS1_10merge_implIS3_NS0_12zip_iteratorINS5_IJN6thrust23THRUST_200600_302600_NS10device_ptrIiEESE_EEEEESG_SG_PS7_SH_SH_NSC_11hip_rocprim7__merge17predicate_wrapperIiiNSC_4lessIiEEEEEE10hipError_tPvRmT0_T1_T2_T3_T4_T5_mmT6_P12ihipStream_tbEUlT_E0_NS1_11comp_targetILNS1_3genE4ELNS1_11target_archE910ELNS1_3gpuE8ELNS1_3repE0EEENS1_30default_config_static_selectorELNS0_4arch9wavefront6targetE0EEEvSS_,@function
_ZN7rocprim17ROCPRIM_400000_NS6detail17trampoline_kernelINS0_14default_configENS1_21merge_config_selectorINS0_5tupleIJiiEEENS0_10empty_typeEEEZNS1_10merge_implIS3_NS0_12zip_iteratorINS5_IJN6thrust23THRUST_200600_302600_NS10device_ptrIiEESE_EEEEESG_SG_PS7_SH_SH_NSC_11hip_rocprim7__merge17predicate_wrapperIiiNSC_4lessIiEEEEEE10hipError_tPvRmT0_T1_T2_T3_T4_T5_mmT6_P12ihipStream_tbEUlT_E0_NS1_11comp_targetILNS1_3genE4ELNS1_11target_archE910ELNS1_3gpuE8ELNS1_3repE0EEENS1_30default_config_static_selectorELNS0_4arch9wavefront6targetE0EEEvSS_: ; @_ZN7rocprim17ROCPRIM_400000_NS6detail17trampoline_kernelINS0_14default_configENS1_21merge_config_selectorINS0_5tupleIJiiEEENS0_10empty_typeEEEZNS1_10merge_implIS3_NS0_12zip_iteratorINS5_IJN6thrust23THRUST_200600_302600_NS10device_ptrIiEESE_EEEEESG_SG_PS7_SH_SH_NSC_11hip_rocprim7__merge17predicate_wrapperIiiNSC_4lessIiEEEEEE10hipError_tPvRmT0_T1_T2_T3_T4_T5_mmT6_P12ihipStream_tbEUlT_E0_NS1_11comp_targetILNS1_3genE4ELNS1_11target_archE910ELNS1_3gpuE8ELNS1_3repE0EEENS1_30default_config_static_selectorELNS0_4arch9wavefront6targetE0EEEvSS_
; %bb.0:
	.section	.rodata,"a",@progbits
	.p2align	6, 0x0
	.amdhsa_kernel _ZN7rocprim17ROCPRIM_400000_NS6detail17trampoline_kernelINS0_14default_configENS1_21merge_config_selectorINS0_5tupleIJiiEEENS0_10empty_typeEEEZNS1_10merge_implIS3_NS0_12zip_iteratorINS5_IJN6thrust23THRUST_200600_302600_NS10device_ptrIiEESE_EEEEESG_SG_PS7_SH_SH_NSC_11hip_rocprim7__merge17predicate_wrapperIiiNSC_4lessIiEEEEEE10hipError_tPvRmT0_T1_T2_T3_T4_T5_mmT6_P12ihipStream_tbEUlT_E0_NS1_11comp_targetILNS1_3genE4ELNS1_11target_archE910ELNS1_3gpuE8ELNS1_3repE0EEENS1_30default_config_static_selectorELNS0_4arch9wavefront6targetE0EEEvSS_
		.amdhsa_group_segment_fixed_size 0
		.amdhsa_private_segment_fixed_size 0
		.amdhsa_kernarg_size 112
		.amdhsa_user_sgpr_count 6
		.amdhsa_user_sgpr_private_segment_buffer 1
		.amdhsa_user_sgpr_dispatch_ptr 0
		.amdhsa_user_sgpr_queue_ptr 0
		.amdhsa_user_sgpr_kernarg_segment_ptr 1
		.amdhsa_user_sgpr_dispatch_id 0
		.amdhsa_user_sgpr_flat_scratch_init 0
		.amdhsa_user_sgpr_private_segment_size 0
		.amdhsa_wavefront_size32 1
		.amdhsa_uses_dynamic_stack 0
		.amdhsa_system_sgpr_private_segment_wavefront_offset 0
		.amdhsa_system_sgpr_workgroup_id_x 1
		.amdhsa_system_sgpr_workgroup_id_y 0
		.amdhsa_system_sgpr_workgroup_id_z 0
		.amdhsa_system_sgpr_workgroup_info 0
		.amdhsa_system_vgpr_workitem_id 0
		.amdhsa_next_free_vgpr 1
		.amdhsa_next_free_sgpr 1
		.amdhsa_reserve_vcc 0
		.amdhsa_reserve_flat_scratch 0
		.amdhsa_float_round_mode_32 0
		.amdhsa_float_round_mode_16_64 0
		.amdhsa_float_denorm_mode_32 3
		.amdhsa_float_denorm_mode_16_64 3
		.amdhsa_dx10_clamp 1
		.amdhsa_ieee_mode 1
		.amdhsa_fp16_overflow 0
		.amdhsa_workgroup_processor_mode 1
		.amdhsa_memory_ordered 1
		.amdhsa_forward_progress 1
		.amdhsa_shared_vgpr_count 0
		.amdhsa_exception_fp_ieee_invalid_op 0
		.amdhsa_exception_fp_denorm_src 0
		.amdhsa_exception_fp_ieee_div_zero 0
		.amdhsa_exception_fp_ieee_overflow 0
		.amdhsa_exception_fp_ieee_underflow 0
		.amdhsa_exception_fp_ieee_inexact 0
		.amdhsa_exception_int_div_zero 0
	.end_amdhsa_kernel
	.section	.text._ZN7rocprim17ROCPRIM_400000_NS6detail17trampoline_kernelINS0_14default_configENS1_21merge_config_selectorINS0_5tupleIJiiEEENS0_10empty_typeEEEZNS1_10merge_implIS3_NS0_12zip_iteratorINS5_IJN6thrust23THRUST_200600_302600_NS10device_ptrIiEESE_EEEEESG_SG_PS7_SH_SH_NSC_11hip_rocprim7__merge17predicate_wrapperIiiNSC_4lessIiEEEEEE10hipError_tPvRmT0_T1_T2_T3_T4_T5_mmT6_P12ihipStream_tbEUlT_E0_NS1_11comp_targetILNS1_3genE4ELNS1_11target_archE910ELNS1_3gpuE8ELNS1_3repE0EEENS1_30default_config_static_selectorELNS0_4arch9wavefront6targetE0EEEvSS_,"axG",@progbits,_ZN7rocprim17ROCPRIM_400000_NS6detail17trampoline_kernelINS0_14default_configENS1_21merge_config_selectorINS0_5tupleIJiiEEENS0_10empty_typeEEEZNS1_10merge_implIS3_NS0_12zip_iteratorINS5_IJN6thrust23THRUST_200600_302600_NS10device_ptrIiEESE_EEEEESG_SG_PS7_SH_SH_NSC_11hip_rocprim7__merge17predicate_wrapperIiiNSC_4lessIiEEEEEE10hipError_tPvRmT0_T1_T2_T3_T4_T5_mmT6_P12ihipStream_tbEUlT_E0_NS1_11comp_targetILNS1_3genE4ELNS1_11target_archE910ELNS1_3gpuE8ELNS1_3repE0EEENS1_30default_config_static_selectorELNS0_4arch9wavefront6targetE0EEEvSS_,comdat
.Lfunc_end635:
	.size	_ZN7rocprim17ROCPRIM_400000_NS6detail17trampoline_kernelINS0_14default_configENS1_21merge_config_selectorINS0_5tupleIJiiEEENS0_10empty_typeEEEZNS1_10merge_implIS3_NS0_12zip_iteratorINS5_IJN6thrust23THRUST_200600_302600_NS10device_ptrIiEESE_EEEEESG_SG_PS7_SH_SH_NSC_11hip_rocprim7__merge17predicate_wrapperIiiNSC_4lessIiEEEEEE10hipError_tPvRmT0_T1_T2_T3_T4_T5_mmT6_P12ihipStream_tbEUlT_E0_NS1_11comp_targetILNS1_3genE4ELNS1_11target_archE910ELNS1_3gpuE8ELNS1_3repE0EEENS1_30default_config_static_selectorELNS0_4arch9wavefront6targetE0EEEvSS_, .Lfunc_end635-_ZN7rocprim17ROCPRIM_400000_NS6detail17trampoline_kernelINS0_14default_configENS1_21merge_config_selectorINS0_5tupleIJiiEEENS0_10empty_typeEEEZNS1_10merge_implIS3_NS0_12zip_iteratorINS5_IJN6thrust23THRUST_200600_302600_NS10device_ptrIiEESE_EEEEESG_SG_PS7_SH_SH_NSC_11hip_rocprim7__merge17predicate_wrapperIiiNSC_4lessIiEEEEEE10hipError_tPvRmT0_T1_T2_T3_T4_T5_mmT6_P12ihipStream_tbEUlT_E0_NS1_11comp_targetILNS1_3genE4ELNS1_11target_archE910ELNS1_3gpuE8ELNS1_3repE0EEENS1_30default_config_static_selectorELNS0_4arch9wavefront6targetE0EEEvSS_
                                        ; -- End function
	.set _ZN7rocprim17ROCPRIM_400000_NS6detail17trampoline_kernelINS0_14default_configENS1_21merge_config_selectorINS0_5tupleIJiiEEENS0_10empty_typeEEEZNS1_10merge_implIS3_NS0_12zip_iteratorINS5_IJN6thrust23THRUST_200600_302600_NS10device_ptrIiEESE_EEEEESG_SG_PS7_SH_SH_NSC_11hip_rocprim7__merge17predicate_wrapperIiiNSC_4lessIiEEEEEE10hipError_tPvRmT0_T1_T2_T3_T4_T5_mmT6_P12ihipStream_tbEUlT_E0_NS1_11comp_targetILNS1_3genE4ELNS1_11target_archE910ELNS1_3gpuE8ELNS1_3repE0EEENS1_30default_config_static_selectorELNS0_4arch9wavefront6targetE0EEEvSS_.num_vgpr, 0
	.set _ZN7rocprim17ROCPRIM_400000_NS6detail17trampoline_kernelINS0_14default_configENS1_21merge_config_selectorINS0_5tupleIJiiEEENS0_10empty_typeEEEZNS1_10merge_implIS3_NS0_12zip_iteratorINS5_IJN6thrust23THRUST_200600_302600_NS10device_ptrIiEESE_EEEEESG_SG_PS7_SH_SH_NSC_11hip_rocprim7__merge17predicate_wrapperIiiNSC_4lessIiEEEEEE10hipError_tPvRmT0_T1_T2_T3_T4_T5_mmT6_P12ihipStream_tbEUlT_E0_NS1_11comp_targetILNS1_3genE4ELNS1_11target_archE910ELNS1_3gpuE8ELNS1_3repE0EEENS1_30default_config_static_selectorELNS0_4arch9wavefront6targetE0EEEvSS_.num_agpr, 0
	.set _ZN7rocprim17ROCPRIM_400000_NS6detail17trampoline_kernelINS0_14default_configENS1_21merge_config_selectorINS0_5tupleIJiiEEENS0_10empty_typeEEEZNS1_10merge_implIS3_NS0_12zip_iteratorINS5_IJN6thrust23THRUST_200600_302600_NS10device_ptrIiEESE_EEEEESG_SG_PS7_SH_SH_NSC_11hip_rocprim7__merge17predicate_wrapperIiiNSC_4lessIiEEEEEE10hipError_tPvRmT0_T1_T2_T3_T4_T5_mmT6_P12ihipStream_tbEUlT_E0_NS1_11comp_targetILNS1_3genE4ELNS1_11target_archE910ELNS1_3gpuE8ELNS1_3repE0EEENS1_30default_config_static_selectorELNS0_4arch9wavefront6targetE0EEEvSS_.numbered_sgpr, 0
	.set _ZN7rocprim17ROCPRIM_400000_NS6detail17trampoline_kernelINS0_14default_configENS1_21merge_config_selectorINS0_5tupleIJiiEEENS0_10empty_typeEEEZNS1_10merge_implIS3_NS0_12zip_iteratorINS5_IJN6thrust23THRUST_200600_302600_NS10device_ptrIiEESE_EEEEESG_SG_PS7_SH_SH_NSC_11hip_rocprim7__merge17predicate_wrapperIiiNSC_4lessIiEEEEEE10hipError_tPvRmT0_T1_T2_T3_T4_T5_mmT6_P12ihipStream_tbEUlT_E0_NS1_11comp_targetILNS1_3genE4ELNS1_11target_archE910ELNS1_3gpuE8ELNS1_3repE0EEENS1_30default_config_static_selectorELNS0_4arch9wavefront6targetE0EEEvSS_.num_named_barrier, 0
	.set _ZN7rocprim17ROCPRIM_400000_NS6detail17trampoline_kernelINS0_14default_configENS1_21merge_config_selectorINS0_5tupleIJiiEEENS0_10empty_typeEEEZNS1_10merge_implIS3_NS0_12zip_iteratorINS5_IJN6thrust23THRUST_200600_302600_NS10device_ptrIiEESE_EEEEESG_SG_PS7_SH_SH_NSC_11hip_rocprim7__merge17predicate_wrapperIiiNSC_4lessIiEEEEEE10hipError_tPvRmT0_T1_T2_T3_T4_T5_mmT6_P12ihipStream_tbEUlT_E0_NS1_11comp_targetILNS1_3genE4ELNS1_11target_archE910ELNS1_3gpuE8ELNS1_3repE0EEENS1_30default_config_static_selectorELNS0_4arch9wavefront6targetE0EEEvSS_.private_seg_size, 0
	.set _ZN7rocprim17ROCPRIM_400000_NS6detail17trampoline_kernelINS0_14default_configENS1_21merge_config_selectorINS0_5tupleIJiiEEENS0_10empty_typeEEEZNS1_10merge_implIS3_NS0_12zip_iteratorINS5_IJN6thrust23THRUST_200600_302600_NS10device_ptrIiEESE_EEEEESG_SG_PS7_SH_SH_NSC_11hip_rocprim7__merge17predicate_wrapperIiiNSC_4lessIiEEEEEE10hipError_tPvRmT0_T1_T2_T3_T4_T5_mmT6_P12ihipStream_tbEUlT_E0_NS1_11comp_targetILNS1_3genE4ELNS1_11target_archE910ELNS1_3gpuE8ELNS1_3repE0EEENS1_30default_config_static_selectorELNS0_4arch9wavefront6targetE0EEEvSS_.uses_vcc, 0
	.set _ZN7rocprim17ROCPRIM_400000_NS6detail17trampoline_kernelINS0_14default_configENS1_21merge_config_selectorINS0_5tupleIJiiEEENS0_10empty_typeEEEZNS1_10merge_implIS3_NS0_12zip_iteratorINS5_IJN6thrust23THRUST_200600_302600_NS10device_ptrIiEESE_EEEEESG_SG_PS7_SH_SH_NSC_11hip_rocprim7__merge17predicate_wrapperIiiNSC_4lessIiEEEEEE10hipError_tPvRmT0_T1_T2_T3_T4_T5_mmT6_P12ihipStream_tbEUlT_E0_NS1_11comp_targetILNS1_3genE4ELNS1_11target_archE910ELNS1_3gpuE8ELNS1_3repE0EEENS1_30default_config_static_selectorELNS0_4arch9wavefront6targetE0EEEvSS_.uses_flat_scratch, 0
	.set _ZN7rocprim17ROCPRIM_400000_NS6detail17trampoline_kernelINS0_14default_configENS1_21merge_config_selectorINS0_5tupleIJiiEEENS0_10empty_typeEEEZNS1_10merge_implIS3_NS0_12zip_iteratorINS5_IJN6thrust23THRUST_200600_302600_NS10device_ptrIiEESE_EEEEESG_SG_PS7_SH_SH_NSC_11hip_rocprim7__merge17predicate_wrapperIiiNSC_4lessIiEEEEEE10hipError_tPvRmT0_T1_T2_T3_T4_T5_mmT6_P12ihipStream_tbEUlT_E0_NS1_11comp_targetILNS1_3genE4ELNS1_11target_archE910ELNS1_3gpuE8ELNS1_3repE0EEENS1_30default_config_static_selectorELNS0_4arch9wavefront6targetE0EEEvSS_.has_dyn_sized_stack, 0
	.set _ZN7rocprim17ROCPRIM_400000_NS6detail17trampoline_kernelINS0_14default_configENS1_21merge_config_selectorINS0_5tupleIJiiEEENS0_10empty_typeEEEZNS1_10merge_implIS3_NS0_12zip_iteratorINS5_IJN6thrust23THRUST_200600_302600_NS10device_ptrIiEESE_EEEEESG_SG_PS7_SH_SH_NSC_11hip_rocprim7__merge17predicate_wrapperIiiNSC_4lessIiEEEEEE10hipError_tPvRmT0_T1_T2_T3_T4_T5_mmT6_P12ihipStream_tbEUlT_E0_NS1_11comp_targetILNS1_3genE4ELNS1_11target_archE910ELNS1_3gpuE8ELNS1_3repE0EEENS1_30default_config_static_selectorELNS0_4arch9wavefront6targetE0EEEvSS_.has_recursion, 0
	.set _ZN7rocprim17ROCPRIM_400000_NS6detail17trampoline_kernelINS0_14default_configENS1_21merge_config_selectorINS0_5tupleIJiiEEENS0_10empty_typeEEEZNS1_10merge_implIS3_NS0_12zip_iteratorINS5_IJN6thrust23THRUST_200600_302600_NS10device_ptrIiEESE_EEEEESG_SG_PS7_SH_SH_NSC_11hip_rocprim7__merge17predicate_wrapperIiiNSC_4lessIiEEEEEE10hipError_tPvRmT0_T1_T2_T3_T4_T5_mmT6_P12ihipStream_tbEUlT_E0_NS1_11comp_targetILNS1_3genE4ELNS1_11target_archE910ELNS1_3gpuE8ELNS1_3repE0EEENS1_30default_config_static_selectorELNS0_4arch9wavefront6targetE0EEEvSS_.has_indirect_call, 0
	.section	.AMDGPU.csdata,"",@progbits
; Kernel info:
; codeLenInByte = 0
; TotalNumSgprs: 0
; NumVgprs: 0
; ScratchSize: 0
; MemoryBound: 0
; FloatMode: 240
; IeeeMode: 1
; LDSByteSize: 0 bytes/workgroup (compile time only)
; SGPRBlocks: 0
; VGPRBlocks: 0
; NumSGPRsForWavesPerEU: 1
; NumVGPRsForWavesPerEU: 1
; Occupancy: 16
; WaveLimiterHint : 0
; COMPUTE_PGM_RSRC2:SCRATCH_EN: 0
; COMPUTE_PGM_RSRC2:USER_SGPR: 6
; COMPUTE_PGM_RSRC2:TRAP_HANDLER: 0
; COMPUTE_PGM_RSRC2:TGID_X_EN: 1
; COMPUTE_PGM_RSRC2:TGID_Y_EN: 0
; COMPUTE_PGM_RSRC2:TGID_Z_EN: 0
; COMPUTE_PGM_RSRC2:TIDIG_COMP_CNT: 0
	.section	.text._ZN7rocprim17ROCPRIM_400000_NS6detail17trampoline_kernelINS0_14default_configENS1_21merge_config_selectorINS0_5tupleIJiiEEENS0_10empty_typeEEEZNS1_10merge_implIS3_NS0_12zip_iteratorINS5_IJN6thrust23THRUST_200600_302600_NS10device_ptrIiEESE_EEEEESG_SG_PS7_SH_SH_NSC_11hip_rocprim7__merge17predicate_wrapperIiiNSC_4lessIiEEEEEE10hipError_tPvRmT0_T1_T2_T3_T4_T5_mmT6_P12ihipStream_tbEUlT_E0_NS1_11comp_targetILNS1_3genE3ELNS1_11target_archE908ELNS1_3gpuE7ELNS1_3repE0EEENS1_30default_config_static_selectorELNS0_4arch9wavefront6targetE0EEEvSS_,"axG",@progbits,_ZN7rocprim17ROCPRIM_400000_NS6detail17trampoline_kernelINS0_14default_configENS1_21merge_config_selectorINS0_5tupleIJiiEEENS0_10empty_typeEEEZNS1_10merge_implIS3_NS0_12zip_iteratorINS5_IJN6thrust23THRUST_200600_302600_NS10device_ptrIiEESE_EEEEESG_SG_PS7_SH_SH_NSC_11hip_rocprim7__merge17predicate_wrapperIiiNSC_4lessIiEEEEEE10hipError_tPvRmT0_T1_T2_T3_T4_T5_mmT6_P12ihipStream_tbEUlT_E0_NS1_11comp_targetILNS1_3genE3ELNS1_11target_archE908ELNS1_3gpuE7ELNS1_3repE0EEENS1_30default_config_static_selectorELNS0_4arch9wavefront6targetE0EEEvSS_,comdat
	.protected	_ZN7rocprim17ROCPRIM_400000_NS6detail17trampoline_kernelINS0_14default_configENS1_21merge_config_selectorINS0_5tupleIJiiEEENS0_10empty_typeEEEZNS1_10merge_implIS3_NS0_12zip_iteratorINS5_IJN6thrust23THRUST_200600_302600_NS10device_ptrIiEESE_EEEEESG_SG_PS7_SH_SH_NSC_11hip_rocprim7__merge17predicate_wrapperIiiNSC_4lessIiEEEEEE10hipError_tPvRmT0_T1_T2_T3_T4_T5_mmT6_P12ihipStream_tbEUlT_E0_NS1_11comp_targetILNS1_3genE3ELNS1_11target_archE908ELNS1_3gpuE7ELNS1_3repE0EEENS1_30default_config_static_selectorELNS0_4arch9wavefront6targetE0EEEvSS_ ; -- Begin function _ZN7rocprim17ROCPRIM_400000_NS6detail17trampoline_kernelINS0_14default_configENS1_21merge_config_selectorINS0_5tupleIJiiEEENS0_10empty_typeEEEZNS1_10merge_implIS3_NS0_12zip_iteratorINS5_IJN6thrust23THRUST_200600_302600_NS10device_ptrIiEESE_EEEEESG_SG_PS7_SH_SH_NSC_11hip_rocprim7__merge17predicate_wrapperIiiNSC_4lessIiEEEEEE10hipError_tPvRmT0_T1_T2_T3_T4_T5_mmT6_P12ihipStream_tbEUlT_E0_NS1_11comp_targetILNS1_3genE3ELNS1_11target_archE908ELNS1_3gpuE7ELNS1_3repE0EEENS1_30default_config_static_selectorELNS0_4arch9wavefront6targetE0EEEvSS_
	.globl	_ZN7rocprim17ROCPRIM_400000_NS6detail17trampoline_kernelINS0_14default_configENS1_21merge_config_selectorINS0_5tupleIJiiEEENS0_10empty_typeEEEZNS1_10merge_implIS3_NS0_12zip_iteratorINS5_IJN6thrust23THRUST_200600_302600_NS10device_ptrIiEESE_EEEEESG_SG_PS7_SH_SH_NSC_11hip_rocprim7__merge17predicate_wrapperIiiNSC_4lessIiEEEEEE10hipError_tPvRmT0_T1_T2_T3_T4_T5_mmT6_P12ihipStream_tbEUlT_E0_NS1_11comp_targetILNS1_3genE3ELNS1_11target_archE908ELNS1_3gpuE7ELNS1_3repE0EEENS1_30default_config_static_selectorELNS0_4arch9wavefront6targetE0EEEvSS_
	.p2align	8
	.type	_ZN7rocprim17ROCPRIM_400000_NS6detail17trampoline_kernelINS0_14default_configENS1_21merge_config_selectorINS0_5tupleIJiiEEENS0_10empty_typeEEEZNS1_10merge_implIS3_NS0_12zip_iteratorINS5_IJN6thrust23THRUST_200600_302600_NS10device_ptrIiEESE_EEEEESG_SG_PS7_SH_SH_NSC_11hip_rocprim7__merge17predicate_wrapperIiiNSC_4lessIiEEEEEE10hipError_tPvRmT0_T1_T2_T3_T4_T5_mmT6_P12ihipStream_tbEUlT_E0_NS1_11comp_targetILNS1_3genE3ELNS1_11target_archE908ELNS1_3gpuE7ELNS1_3repE0EEENS1_30default_config_static_selectorELNS0_4arch9wavefront6targetE0EEEvSS_,@function
_ZN7rocprim17ROCPRIM_400000_NS6detail17trampoline_kernelINS0_14default_configENS1_21merge_config_selectorINS0_5tupleIJiiEEENS0_10empty_typeEEEZNS1_10merge_implIS3_NS0_12zip_iteratorINS5_IJN6thrust23THRUST_200600_302600_NS10device_ptrIiEESE_EEEEESG_SG_PS7_SH_SH_NSC_11hip_rocprim7__merge17predicate_wrapperIiiNSC_4lessIiEEEEEE10hipError_tPvRmT0_T1_T2_T3_T4_T5_mmT6_P12ihipStream_tbEUlT_E0_NS1_11comp_targetILNS1_3genE3ELNS1_11target_archE908ELNS1_3gpuE7ELNS1_3repE0EEENS1_30default_config_static_selectorELNS0_4arch9wavefront6targetE0EEEvSS_: ; @_ZN7rocprim17ROCPRIM_400000_NS6detail17trampoline_kernelINS0_14default_configENS1_21merge_config_selectorINS0_5tupleIJiiEEENS0_10empty_typeEEEZNS1_10merge_implIS3_NS0_12zip_iteratorINS5_IJN6thrust23THRUST_200600_302600_NS10device_ptrIiEESE_EEEEESG_SG_PS7_SH_SH_NSC_11hip_rocprim7__merge17predicate_wrapperIiiNSC_4lessIiEEEEEE10hipError_tPvRmT0_T1_T2_T3_T4_T5_mmT6_P12ihipStream_tbEUlT_E0_NS1_11comp_targetILNS1_3genE3ELNS1_11target_archE908ELNS1_3gpuE7ELNS1_3repE0EEENS1_30default_config_static_selectorELNS0_4arch9wavefront6targetE0EEEvSS_
; %bb.0:
	.section	.rodata,"a",@progbits
	.p2align	6, 0x0
	.amdhsa_kernel _ZN7rocprim17ROCPRIM_400000_NS6detail17trampoline_kernelINS0_14default_configENS1_21merge_config_selectorINS0_5tupleIJiiEEENS0_10empty_typeEEEZNS1_10merge_implIS3_NS0_12zip_iteratorINS5_IJN6thrust23THRUST_200600_302600_NS10device_ptrIiEESE_EEEEESG_SG_PS7_SH_SH_NSC_11hip_rocprim7__merge17predicate_wrapperIiiNSC_4lessIiEEEEEE10hipError_tPvRmT0_T1_T2_T3_T4_T5_mmT6_P12ihipStream_tbEUlT_E0_NS1_11comp_targetILNS1_3genE3ELNS1_11target_archE908ELNS1_3gpuE7ELNS1_3repE0EEENS1_30default_config_static_selectorELNS0_4arch9wavefront6targetE0EEEvSS_
		.amdhsa_group_segment_fixed_size 0
		.amdhsa_private_segment_fixed_size 0
		.amdhsa_kernarg_size 112
		.amdhsa_user_sgpr_count 6
		.amdhsa_user_sgpr_private_segment_buffer 1
		.amdhsa_user_sgpr_dispatch_ptr 0
		.amdhsa_user_sgpr_queue_ptr 0
		.amdhsa_user_sgpr_kernarg_segment_ptr 1
		.amdhsa_user_sgpr_dispatch_id 0
		.amdhsa_user_sgpr_flat_scratch_init 0
		.amdhsa_user_sgpr_private_segment_size 0
		.amdhsa_wavefront_size32 1
		.amdhsa_uses_dynamic_stack 0
		.amdhsa_system_sgpr_private_segment_wavefront_offset 0
		.amdhsa_system_sgpr_workgroup_id_x 1
		.amdhsa_system_sgpr_workgroup_id_y 0
		.amdhsa_system_sgpr_workgroup_id_z 0
		.amdhsa_system_sgpr_workgroup_info 0
		.amdhsa_system_vgpr_workitem_id 0
		.amdhsa_next_free_vgpr 1
		.amdhsa_next_free_sgpr 1
		.amdhsa_reserve_vcc 0
		.amdhsa_reserve_flat_scratch 0
		.amdhsa_float_round_mode_32 0
		.amdhsa_float_round_mode_16_64 0
		.amdhsa_float_denorm_mode_32 3
		.amdhsa_float_denorm_mode_16_64 3
		.amdhsa_dx10_clamp 1
		.amdhsa_ieee_mode 1
		.amdhsa_fp16_overflow 0
		.amdhsa_workgroup_processor_mode 1
		.amdhsa_memory_ordered 1
		.amdhsa_forward_progress 1
		.amdhsa_shared_vgpr_count 0
		.amdhsa_exception_fp_ieee_invalid_op 0
		.amdhsa_exception_fp_denorm_src 0
		.amdhsa_exception_fp_ieee_div_zero 0
		.amdhsa_exception_fp_ieee_overflow 0
		.amdhsa_exception_fp_ieee_underflow 0
		.amdhsa_exception_fp_ieee_inexact 0
		.amdhsa_exception_int_div_zero 0
	.end_amdhsa_kernel
	.section	.text._ZN7rocprim17ROCPRIM_400000_NS6detail17trampoline_kernelINS0_14default_configENS1_21merge_config_selectorINS0_5tupleIJiiEEENS0_10empty_typeEEEZNS1_10merge_implIS3_NS0_12zip_iteratorINS5_IJN6thrust23THRUST_200600_302600_NS10device_ptrIiEESE_EEEEESG_SG_PS7_SH_SH_NSC_11hip_rocprim7__merge17predicate_wrapperIiiNSC_4lessIiEEEEEE10hipError_tPvRmT0_T1_T2_T3_T4_T5_mmT6_P12ihipStream_tbEUlT_E0_NS1_11comp_targetILNS1_3genE3ELNS1_11target_archE908ELNS1_3gpuE7ELNS1_3repE0EEENS1_30default_config_static_selectorELNS0_4arch9wavefront6targetE0EEEvSS_,"axG",@progbits,_ZN7rocprim17ROCPRIM_400000_NS6detail17trampoline_kernelINS0_14default_configENS1_21merge_config_selectorINS0_5tupleIJiiEEENS0_10empty_typeEEEZNS1_10merge_implIS3_NS0_12zip_iteratorINS5_IJN6thrust23THRUST_200600_302600_NS10device_ptrIiEESE_EEEEESG_SG_PS7_SH_SH_NSC_11hip_rocprim7__merge17predicate_wrapperIiiNSC_4lessIiEEEEEE10hipError_tPvRmT0_T1_T2_T3_T4_T5_mmT6_P12ihipStream_tbEUlT_E0_NS1_11comp_targetILNS1_3genE3ELNS1_11target_archE908ELNS1_3gpuE7ELNS1_3repE0EEENS1_30default_config_static_selectorELNS0_4arch9wavefront6targetE0EEEvSS_,comdat
.Lfunc_end636:
	.size	_ZN7rocprim17ROCPRIM_400000_NS6detail17trampoline_kernelINS0_14default_configENS1_21merge_config_selectorINS0_5tupleIJiiEEENS0_10empty_typeEEEZNS1_10merge_implIS3_NS0_12zip_iteratorINS5_IJN6thrust23THRUST_200600_302600_NS10device_ptrIiEESE_EEEEESG_SG_PS7_SH_SH_NSC_11hip_rocprim7__merge17predicate_wrapperIiiNSC_4lessIiEEEEEE10hipError_tPvRmT0_T1_T2_T3_T4_T5_mmT6_P12ihipStream_tbEUlT_E0_NS1_11comp_targetILNS1_3genE3ELNS1_11target_archE908ELNS1_3gpuE7ELNS1_3repE0EEENS1_30default_config_static_selectorELNS0_4arch9wavefront6targetE0EEEvSS_, .Lfunc_end636-_ZN7rocprim17ROCPRIM_400000_NS6detail17trampoline_kernelINS0_14default_configENS1_21merge_config_selectorINS0_5tupleIJiiEEENS0_10empty_typeEEEZNS1_10merge_implIS3_NS0_12zip_iteratorINS5_IJN6thrust23THRUST_200600_302600_NS10device_ptrIiEESE_EEEEESG_SG_PS7_SH_SH_NSC_11hip_rocprim7__merge17predicate_wrapperIiiNSC_4lessIiEEEEEE10hipError_tPvRmT0_T1_T2_T3_T4_T5_mmT6_P12ihipStream_tbEUlT_E0_NS1_11comp_targetILNS1_3genE3ELNS1_11target_archE908ELNS1_3gpuE7ELNS1_3repE0EEENS1_30default_config_static_selectorELNS0_4arch9wavefront6targetE0EEEvSS_
                                        ; -- End function
	.set _ZN7rocprim17ROCPRIM_400000_NS6detail17trampoline_kernelINS0_14default_configENS1_21merge_config_selectorINS0_5tupleIJiiEEENS0_10empty_typeEEEZNS1_10merge_implIS3_NS0_12zip_iteratorINS5_IJN6thrust23THRUST_200600_302600_NS10device_ptrIiEESE_EEEEESG_SG_PS7_SH_SH_NSC_11hip_rocprim7__merge17predicate_wrapperIiiNSC_4lessIiEEEEEE10hipError_tPvRmT0_T1_T2_T3_T4_T5_mmT6_P12ihipStream_tbEUlT_E0_NS1_11comp_targetILNS1_3genE3ELNS1_11target_archE908ELNS1_3gpuE7ELNS1_3repE0EEENS1_30default_config_static_selectorELNS0_4arch9wavefront6targetE0EEEvSS_.num_vgpr, 0
	.set _ZN7rocprim17ROCPRIM_400000_NS6detail17trampoline_kernelINS0_14default_configENS1_21merge_config_selectorINS0_5tupleIJiiEEENS0_10empty_typeEEEZNS1_10merge_implIS3_NS0_12zip_iteratorINS5_IJN6thrust23THRUST_200600_302600_NS10device_ptrIiEESE_EEEEESG_SG_PS7_SH_SH_NSC_11hip_rocprim7__merge17predicate_wrapperIiiNSC_4lessIiEEEEEE10hipError_tPvRmT0_T1_T2_T3_T4_T5_mmT6_P12ihipStream_tbEUlT_E0_NS1_11comp_targetILNS1_3genE3ELNS1_11target_archE908ELNS1_3gpuE7ELNS1_3repE0EEENS1_30default_config_static_selectorELNS0_4arch9wavefront6targetE0EEEvSS_.num_agpr, 0
	.set _ZN7rocprim17ROCPRIM_400000_NS6detail17trampoline_kernelINS0_14default_configENS1_21merge_config_selectorINS0_5tupleIJiiEEENS0_10empty_typeEEEZNS1_10merge_implIS3_NS0_12zip_iteratorINS5_IJN6thrust23THRUST_200600_302600_NS10device_ptrIiEESE_EEEEESG_SG_PS7_SH_SH_NSC_11hip_rocprim7__merge17predicate_wrapperIiiNSC_4lessIiEEEEEE10hipError_tPvRmT0_T1_T2_T3_T4_T5_mmT6_P12ihipStream_tbEUlT_E0_NS1_11comp_targetILNS1_3genE3ELNS1_11target_archE908ELNS1_3gpuE7ELNS1_3repE0EEENS1_30default_config_static_selectorELNS0_4arch9wavefront6targetE0EEEvSS_.numbered_sgpr, 0
	.set _ZN7rocprim17ROCPRIM_400000_NS6detail17trampoline_kernelINS0_14default_configENS1_21merge_config_selectorINS0_5tupleIJiiEEENS0_10empty_typeEEEZNS1_10merge_implIS3_NS0_12zip_iteratorINS5_IJN6thrust23THRUST_200600_302600_NS10device_ptrIiEESE_EEEEESG_SG_PS7_SH_SH_NSC_11hip_rocprim7__merge17predicate_wrapperIiiNSC_4lessIiEEEEEE10hipError_tPvRmT0_T1_T2_T3_T4_T5_mmT6_P12ihipStream_tbEUlT_E0_NS1_11comp_targetILNS1_3genE3ELNS1_11target_archE908ELNS1_3gpuE7ELNS1_3repE0EEENS1_30default_config_static_selectorELNS0_4arch9wavefront6targetE0EEEvSS_.num_named_barrier, 0
	.set _ZN7rocprim17ROCPRIM_400000_NS6detail17trampoline_kernelINS0_14default_configENS1_21merge_config_selectorINS0_5tupleIJiiEEENS0_10empty_typeEEEZNS1_10merge_implIS3_NS0_12zip_iteratorINS5_IJN6thrust23THRUST_200600_302600_NS10device_ptrIiEESE_EEEEESG_SG_PS7_SH_SH_NSC_11hip_rocprim7__merge17predicate_wrapperIiiNSC_4lessIiEEEEEE10hipError_tPvRmT0_T1_T2_T3_T4_T5_mmT6_P12ihipStream_tbEUlT_E0_NS1_11comp_targetILNS1_3genE3ELNS1_11target_archE908ELNS1_3gpuE7ELNS1_3repE0EEENS1_30default_config_static_selectorELNS0_4arch9wavefront6targetE0EEEvSS_.private_seg_size, 0
	.set _ZN7rocprim17ROCPRIM_400000_NS6detail17trampoline_kernelINS0_14default_configENS1_21merge_config_selectorINS0_5tupleIJiiEEENS0_10empty_typeEEEZNS1_10merge_implIS3_NS0_12zip_iteratorINS5_IJN6thrust23THRUST_200600_302600_NS10device_ptrIiEESE_EEEEESG_SG_PS7_SH_SH_NSC_11hip_rocprim7__merge17predicate_wrapperIiiNSC_4lessIiEEEEEE10hipError_tPvRmT0_T1_T2_T3_T4_T5_mmT6_P12ihipStream_tbEUlT_E0_NS1_11comp_targetILNS1_3genE3ELNS1_11target_archE908ELNS1_3gpuE7ELNS1_3repE0EEENS1_30default_config_static_selectorELNS0_4arch9wavefront6targetE0EEEvSS_.uses_vcc, 0
	.set _ZN7rocprim17ROCPRIM_400000_NS6detail17trampoline_kernelINS0_14default_configENS1_21merge_config_selectorINS0_5tupleIJiiEEENS0_10empty_typeEEEZNS1_10merge_implIS3_NS0_12zip_iteratorINS5_IJN6thrust23THRUST_200600_302600_NS10device_ptrIiEESE_EEEEESG_SG_PS7_SH_SH_NSC_11hip_rocprim7__merge17predicate_wrapperIiiNSC_4lessIiEEEEEE10hipError_tPvRmT0_T1_T2_T3_T4_T5_mmT6_P12ihipStream_tbEUlT_E0_NS1_11comp_targetILNS1_3genE3ELNS1_11target_archE908ELNS1_3gpuE7ELNS1_3repE0EEENS1_30default_config_static_selectorELNS0_4arch9wavefront6targetE0EEEvSS_.uses_flat_scratch, 0
	.set _ZN7rocprim17ROCPRIM_400000_NS6detail17trampoline_kernelINS0_14default_configENS1_21merge_config_selectorINS0_5tupleIJiiEEENS0_10empty_typeEEEZNS1_10merge_implIS3_NS0_12zip_iteratorINS5_IJN6thrust23THRUST_200600_302600_NS10device_ptrIiEESE_EEEEESG_SG_PS7_SH_SH_NSC_11hip_rocprim7__merge17predicate_wrapperIiiNSC_4lessIiEEEEEE10hipError_tPvRmT0_T1_T2_T3_T4_T5_mmT6_P12ihipStream_tbEUlT_E0_NS1_11comp_targetILNS1_3genE3ELNS1_11target_archE908ELNS1_3gpuE7ELNS1_3repE0EEENS1_30default_config_static_selectorELNS0_4arch9wavefront6targetE0EEEvSS_.has_dyn_sized_stack, 0
	.set _ZN7rocprim17ROCPRIM_400000_NS6detail17trampoline_kernelINS0_14default_configENS1_21merge_config_selectorINS0_5tupleIJiiEEENS0_10empty_typeEEEZNS1_10merge_implIS3_NS0_12zip_iteratorINS5_IJN6thrust23THRUST_200600_302600_NS10device_ptrIiEESE_EEEEESG_SG_PS7_SH_SH_NSC_11hip_rocprim7__merge17predicate_wrapperIiiNSC_4lessIiEEEEEE10hipError_tPvRmT0_T1_T2_T3_T4_T5_mmT6_P12ihipStream_tbEUlT_E0_NS1_11comp_targetILNS1_3genE3ELNS1_11target_archE908ELNS1_3gpuE7ELNS1_3repE0EEENS1_30default_config_static_selectorELNS0_4arch9wavefront6targetE0EEEvSS_.has_recursion, 0
	.set _ZN7rocprim17ROCPRIM_400000_NS6detail17trampoline_kernelINS0_14default_configENS1_21merge_config_selectorINS0_5tupleIJiiEEENS0_10empty_typeEEEZNS1_10merge_implIS3_NS0_12zip_iteratorINS5_IJN6thrust23THRUST_200600_302600_NS10device_ptrIiEESE_EEEEESG_SG_PS7_SH_SH_NSC_11hip_rocprim7__merge17predicate_wrapperIiiNSC_4lessIiEEEEEE10hipError_tPvRmT0_T1_T2_T3_T4_T5_mmT6_P12ihipStream_tbEUlT_E0_NS1_11comp_targetILNS1_3genE3ELNS1_11target_archE908ELNS1_3gpuE7ELNS1_3repE0EEENS1_30default_config_static_selectorELNS0_4arch9wavefront6targetE0EEEvSS_.has_indirect_call, 0
	.section	.AMDGPU.csdata,"",@progbits
; Kernel info:
; codeLenInByte = 0
; TotalNumSgprs: 0
; NumVgprs: 0
; ScratchSize: 0
; MemoryBound: 0
; FloatMode: 240
; IeeeMode: 1
; LDSByteSize: 0 bytes/workgroup (compile time only)
; SGPRBlocks: 0
; VGPRBlocks: 0
; NumSGPRsForWavesPerEU: 1
; NumVGPRsForWavesPerEU: 1
; Occupancy: 16
; WaveLimiterHint : 0
; COMPUTE_PGM_RSRC2:SCRATCH_EN: 0
; COMPUTE_PGM_RSRC2:USER_SGPR: 6
; COMPUTE_PGM_RSRC2:TRAP_HANDLER: 0
; COMPUTE_PGM_RSRC2:TGID_X_EN: 1
; COMPUTE_PGM_RSRC2:TGID_Y_EN: 0
; COMPUTE_PGM_RSRC2:TGID_Z_EN: 0
; COMPUTE_PGM_RSRC2:TIDIG_COMP_CNT: 0
	.section	.text._ZN7rocprim17ROCPRIM_400000_NS6detail17trampoline_kernelINS0_14default_configENS1_21merge_config_selectorINS0_5tupleIJiiEEENS0_10empty_typeEEEZNS1_10merge_implIS3_NS0_12zip_iteratorINS5_IJN6thrust23THRUST_200600_302600_NS10device_ptrIiEESE_EEEEESG_SG_PS7_SH_SH_NSC_11hip_rocprim7__merge17predicate_wrapperIiiNSC_4lessIiEEEEEE10hipError_tPvRmT0_T1_T2_T3_T4_T5_mmT6_P12ihipStream_tbEUlT_E0_NS1_11comp_targetILNS1_3genE2ELNS1_11target_archE906ELNS1_3gpuE6ELNS1_3repE0EEENS1_30default_config_static_selectorELNS0_4arch9wavefront6targetE0EEEvSS_,"axG",@progbits,_ZN7rocprim17ROCPRIM_400000_NS6detail17trampoline_kernelINS0_14default_configENS1_21merge_config_selectorINS0_5tupleIJiiEEENS0_10empty_typeEEEZNS1_10merge_implIS3_NS0_12zip_iteratorINS5_IJN6thrust23THRUST_200600_302600_NS10device_ptrIiEESE_EEEEESG_SG_PS7_SH_SH_NSC_11hip_rocprim7__merge17predicate_wrapperIiiNSC_4lessIiEEEEEE10hipError_tPvRmT0_T1_T2_T3_T4_T5_mmT6_P12ihipStream_tbEUlT_E0_NS1_11comp_targetILNS1_3genE2ELNS1_11target_archE906ELNS1_3gpuE6ELNS1_3repE0EEENS1_30default_config_static_selectorELNS0_4arch9wavefront6targetE0EEEvSS_,comdat
	.protected	_ZN7rocprim17ROCPRIM_400000_NS6detail17trampoline_kernelINS0_14default_configENS1_21merge_config_selectorINS0_5tupleIJiiEEENS0_10empty_typeEEEZNS1_10merge_implIS3_NS0_12zip_iteratorINS5_IJN6thrust23THRUST_200600_302600_NS10device_ptrIiEESE_EEEEESG_SG_PS7_SH_SH_NSC_11hip_rocprim7__merge17predicate_wrapperIiiNSC_4lessIiEEEEEE10hipError_tPvRmT0_T1_T2_T3_T4_T5_mmT6_P12ihipStream_tbEUlT_E0_NS1_11comp_targetILNS1_3genE2ELNS1_11target_archE906ELNS1_3gpuE6ELNS1_3repE0EEENS1_30default_config_static_selectorELNS0_4arch9wavefront6targetE0EEEvSS_ ; -- Begin function _ZN7rocprim17ROCPRIM_400000_NS6detail17trampoline_kernelINS0_14default_configENS1_21merge_config_selectorINS0_5tupleIJiiEEENS0_10empty_typeEEEZNS1_10merge_implIS3_NS0_12zip_iteratorINS5_IJN6thrust23THRUST_200600_302600_NS10device_ptrIiEESE_EEEEESG_SG_PS7_SH_SH_NSC_11hip_rocprim7__merge17predicate_wrapperIiiNSC_4lessIiEEEEEE10hipError_tPvRmT0_T1_T2_T3_T4_T5_mmT6_P12ihipStream_tbEUlT_E0_NS1_11comp_targetILNS1_3genE2ELNS1_11target_archE906ELNS1_3gpuE6ELNS1_3repE0EEENS1_30default_config_static_selectorELNS0_4arch9wavefront6targetE0EEEvSS_
	.globl	_ZN7rocprim17ROCPRIM_400000_NS6detail17trampoline_kernelINS0_14default_configENS1_21merge_config_selectorINS0_5tupleIJiiEEENS0_10empty_typeEEEZNS1_10merge_implIS3_NS0_12zip_iteratorINS5_IJN6thrust23THRUST_200600_302600_NS10device_ptrIiEESE_EEEEESG_SG_PS7_SH_SH_NSC_11hip_rocprim7__merge17predicate_wrapperIiiNSC_4lessIiEEEEEE10hipError_tPvRmT0_T1_T2_T3_T4_T5_mmT6_P12ihipStream_tbEUlT_E0_NS1_11comp_targetILNS1_3genE2ELNS1_11target_archE906ELNS1_3gpuE6ELNS1_3repE0EEENS1_30default_config_static_selectorELNS0_4arch9wavefront6targetE0EEEvSS_
	.p2align	8
	.type	_ZN7rocprim17ROCPRIM_400000_NS6detail17trampoline_kernelINS0_14default_configENS1_21merge_config_selectorINS0_5tupleIJiiEEENS0_10empty_typeEEEZNS1_10merge_implIS3_NS0_12zip_iteratorINS5_IJN6thrust23THRUST_200600_302600_NS10device_ptrIiEESE_EEEEESG_SG_PS7_SH_SH_NSC_11hip_rocprim7__merge17predicate_wrapperIiiNSC_4lessIiEEEEEE10hipError_tPvRmT0_T1_T2_T3_T4_T5_mmT6_P12ihipStream_tbEUlT_E0_NS1_11comp_targetILNS1_3genE2ELNS1_11target_archE906ELNS1_3gpuE6ELNS1_3repE0EEENS1_30default_config_static_selectorELNS0_4arch9wavefront6targetE0EEEvSS_,@function
_ZN7rocprim17ROCPRIM_400000_NS6detail17trampoline_kernelINS0_14default_configENS1_21merge_config_selectorINS0_5tupleIJiiEEENS0_10empty_typeEEEZNS1_10merge_implIS3_NS0_12zip_iteratorINS5_IJN6thrust23THRUST_200600_302600_NS10device_ptrIiEESE_EEEEESG_SG_PS7_SH_SH_NSC_11hip_rocprim7__merge17predicate_wrapperIiiNSC_4lessIiEEEEEE10hipError_tPvRmT0_T1_T2_T3_T4_T5_mmT6_P12ihipStream_tbEUlT_E0_NS1_11comp_targetILNS1_3genE2ELNS1_11target_archE906ELNS1_3gpuE6ELNS1_3repE0EEENS1_30default_config_static_selectorELNS0_4arch9wavefront6targetE0EEEvSS_: ; @_ZN7rocprim17ROCPRIM_400000_NS6detail17trampoline_kernelINS0_14default_configENS1_21merge_config_selectorINS0_5tupleIJiiEEENS0_10empty_typeEEEZNS1_10merge_implIS3_NS0_12zip_iteratorINS5_IJN6thrust23THRUST_200600_302600_NS10device_ptrIiEESE_EEEEESG_SG_PS7_SH_SH_NSC_11hip_rocprim7__merge17predicate_wrapperIiiNSC_4lessIiEEEEEE10hipError_tPvRmT0_T1_T2_T3_T4_T5_mmT6_P12ihipStream_tbEUlT_E0_NS1_11comp_targetILNS1_3genE2ELNS1_11target_archE906ELNS1_3gpuE6ELNS1_3repE0EEENS1_30default_config_static_selectorELNS0_4arch9wavefront6targetE0EEEvSS_
; %bb.0:
	.section	.rodata,"a",@progbits
	.p2align	6, 0x0
	.amdhsa_kernel _ZN7rocprim17ROCPRIM_400000_NS6detail17trampoline_kernelINS0_14default_configENS1_21merge_config_selectorINS0_5tupleIJiiEEENS0_10empty_typeEEEZNS1_10merge_implIS3_NS0_12zip_iteratorINS5_IJN6thrust23THRUST_200600_302600_NS10device_ptrIiEESE_EEEEESG_SG_PS7_SH_SH_NSC_11hip_rocprim7__merge17predicate_wrapperIiiNSC_4lessIiEEEEEE10hipError_tPvRmT0_T1_T2_T3_T4_T5_mmT6_P12ihipStream_tbEUlT_E0_NS1_11comp_targetILNS1_3genE2ELNS1_11target_archE906ELNS1_3gpuE6ELNS1_3repE0EEENS1_30default_config_static_selectorELNS0_4arch9wavefront6targetE0EEEvSS_
		.amdhsa_group_segment_fixed_size 0
		.amdhsa_private_segment_fixed_size 0
		.amdhsa_kernarg_size 112
		.amdhsa_user_sgpr_count 6
		.amdhsa_user_sgpr_private_segment_buffer 1
		.amdhsa_user_sgpr_dispatch_ptr 0
		.amdhsa_user_sgpr_queue_ptr 0
		.amdhsa_user_sgpr_kernarg_segment_ptr 1
		.amdhsa_user_sgpr_dispatch_id 0
		.amdhsa_user_sgpr_flat_scratch_init 0
		.amdhsa_user_sgpr_private_segment_size 0
		.amdhsa_wavefront_size32 1
		.amdhsa_uses_dynamic_stack 0
		.amdhsa_system_sgpr_private_segment_wavefront_offset 0
		.amdhsa_system_sgpr_workgroup_id_x 1
		.amdhsa_system_sgpr_workgroup_id_y 0
		.amdhsa_system_sgpr_workgroup_id_z 0
		.amdhsa_system_sgpr_workgroup_info 0
		.amdhsa_system_vgpr_workitem_id 0
		.amdhsa_next_free_vgpr 1
		.amdhsa_next_free_sgpr 1
		.amdhsa_reserve_vcc 0
		.amdhsa_reserve_flat_scratch 0
		.amdhsa_float_round_mode_32 0
		.amdhsa_float_round_mode_16_64 0
		.amdhsa_float_denorm_mode_32 3
		.amdhsa_float_denorm_mode_16_64 3
		.amdhsa_dx10_clamp 1
		.amdhsa_ieee_mode 1
		.amdhsa_fp16_overflow 0
		.amdhsa_workgroup_processor_mode 1
		.amdhsa_memory_ordered 1
		.amdhsa_forward_progress 1
		.amdhsa_shared_vgpr_count 0
		.amdhsa_exception_fp_ieee_invalid_op 0
		.amdhsa_exception_fp_denorm_src 0
		.amdhsa_exception_fp_ieee_div_zero 0
		.amdhsa_exception_fp_ieee_overflow 0
		.amdhsa_exception_fp_ieee_underflow 0
		.amdhsa_exception_fp_ieee_inexact 0
		.amdhsa_exception_int_div_zero 0
	.end_amdhsa_kernel
	.section	.text._ZN7rocprim17ROCPRIM_400000_NS6detail17trampoline_kernelINS0_14default_configENS1_21merge_config_selectorINS0_5tupleIJiiEEENS0_10empty_typeEEEZNS1_10merge_implIS3_NS0_12zip_iteratorINS5_IJN6thrust23THRUST_200600_302600_NS10device_ptrIiEESE_EEEEESG_SG_PS7_SH_SH_NSC_11hip_rocprim7__merge17predicate_wrapperIiiNSC_4lessIiEEEEEE10hipError_tPvRmT0_T1_T2_T3_T4_T5_mmT6_P12ihipStream_tbEUlT_E0_NS1_11comp_targetILNS1_3genE2ELNS1_11target_archE906ELNS1_3gpuE6ELNS1_3repE0EEENS1_30default_config_static_selectorELNS0_4arch9wavefront6targetE0EEEvSS_,"axG",@progbits,_ZN7rocprim17ROCPRIM_400000_NS6detail17trampoline_kernelINS0_14default_configENS1_21merge_config_selectorINS0_5tupleIJiiEEENS0_10empty_typeEEEZNS1_10merge_implIS3_NS0_12zip_iteratorINS5_IJN6thrust23THRUST_200600_302600_NS10device_ptrIiEESE_EEEEESG_SG_PS7_SH_SH_NSC_11hip_rocprim7__merge17predicate_wrapperIiiNSC_4lessIiEEEEEE10hipError_tPvRmT0_T1_T2_T3_T4_T5_mmT6_P12ihipStream_tbEUlT_E0_NS1_11comp_targetILNS1_3genE2ELNS1_11target_archE906ELNS1_3gpuE6ELNS1_3repE0EEENS1_30default_config_static_selectorELNS0_4arch9wavefront6targetE0EEEvSS_,comdat
.Lfunc_end637:
	.size	_ZN7rocprim17ROCPRIM_400000_NS6detail17trampoline_kernelINS0_14default_configENS1_21merge_config_selectorINS0_5tupleIJiiEEENS0_10empty_typeEEEZNS1_10merge_implIS3_NS0_12zip_iteratorINS5_IJN6thrust23THRUST_200600_302600_NS10device_ptrIiEESE_EEEEESG_SG_PS7_SH_SH_NSC_11hip_rocprim7__merge17predicate_wrapperIiiNSC_4lessIiEEEEEE10hipError_tPvRmT0_T1_T2_T3_T4_T5_mmT6_P12ihipStream_tbEUlT_E0_NS1_11comp_targetILNS1_3genE2ELNS1_11target_archE906ELNS1_3gpuE6ELNS1_3repE0EEENS1_30default_config_static_selectorELNS0_4arch9wavefront6targetE0EEEvSS_, .Lfunc_end637-_ZN7rocprim17ROCPRIM_400000_NS6detail17trampoline_kernelINS0_14default_configENS1_21merge_config_selectorINS0_5tupleIJiiEEENS0_10empty_typeEEEZNS1_10merge_implIS3_NS0_12zip_iteratorINS5_IJN6thrust23THRUST_200600_302600_NS10device_ptrIiEESE_EEEEESG_SG_PS7_SH_SH_NSC_11hip_rocprim7__merge17predicate_wrapperIiiNSC_4lessIiEEEEEE10hipError_tPvRmT0_T1_T2_T3_T4_T5_mmT6_P12ihipStream_tbEUlT_E0_NS1_11comp_targetILNS1_3genE2ELNS1_11target_archE906ELNS1_3gpuE6ELNS1_3repE0EEENS1_30default_config_static_selectorELNS0_4arch9wavefront6targetE0EEEvSS_
                                        ; -- End function
	.set _ZN7rocprim17ROCPRIM_400000_NS6detail17trampoline_kernelINS0_14default_configENS1_21merge_config_selectorINS0_5tupleIJiiEEENS0_10empty_typeEEEZNS1_10merge_implIS3_NS0_12zip_iteratorINS5_IJN6thrust23THRUST_200600_302600_NS10device_ptrIiEESE_EEEEESG_SG_PS7_SH_SH_NSC_11hip_rocprim7__merge17predicate_wrapperIiiNSC_4lessIiEEEEEE10hipError_tPvRmT0_T1_T2_T3_T4_T5_mmT6_P12ihipStream_tbEUlT_E0_NS1_11comp_targetILNS1_3genE2ELNS1_11target_archE906ELNS1_3gpuE6ELNS1_3repE0EEENS1_30default_config_static_selectorELNS0_4arch9wavefront6targetE0EEEvSS_.num_vgpr, 0
	.set _ZN7rocprim17ROCPRIM_400000_NS6detail17trampoline_kernelINS0_14default_configENS1_21merge_config_selectorINS0_5tupleIJiiEEENS0_10empty_typeEEEZNS1_10merge_implIS3_NS0_12zip_iteratorINS5_IJN6thrust23THRUST_200600_302600_NS10device_ptrIiEESE_EEEEESG_SG_PS7_SH_SH_NSC_11hip_rocprim7__merge17predicate_wrapperIiiNSC_4lessIiEEEEEE10hipError_tPvRmT0_T1_T2_T3_T4_T5_mmT6_P12ihipStream_tbEUlT_E0_NS1_11comp_targetILNS1_3genE2ELNS1_11target_archE906ELNS1_3gpuE6ELNS1_3repE0EEENS1_30default_config_static_selectorELNS0_4arch9wavefront6targetE0EEEvSS_.num_agpr, 0
	.set _ZN7rocprim17ROCPRIM_400000_NS6detail17trampoline_kernelINS0_14default_configENS1_21merge_config_selectorINS0_5tupleIJiiEEENS0_10empty_typeEEEZNS1_10merge_implIS3_NS0_12zip_iteratorINS5_IJN6thrust23THRUST_200600_302600_NS10device_ptrIiEESE_EEEEESG_SG_PS7_SH_SH_NSC_11hip_rocprim7__merge17predicate_wrapperIiiNSC_4lessIiEEEEEE10hipError_tPvRmT0_T1_T2_T3_T4_T5_mmT6_P12ihipStream_tbEUlT_E0_NS1_11comp_targetILNS1_3genE2ELNS1_11target_archE906ELNS1_3gpuE6ELNS1_3repE0EEENS1_30default_config_static_selectorELNS0_4arch9wavefront6targetE0EEEvSS_.numbered_sgpr, 0
	.set _ZN7rocprim17ROCPRIM_400000_NS6detail17trampoline_kernelINS0_14default_configENS1_21merge_config_selectorINS0_5tupleIJiiEEENS0_10empty_typeEEEZNS1_10merge_implIS3_NS0_12zip_iteratorINS5_IJN6thrust23THRUST_200600_302600_NS10device_ptrIiEESE_EEEEESG_SG_PS7_SH_SH_NSC_11hip_rocprim7__merge17predicate_wrapperIiiNSC_4lessIiEEEEEE10hipError_tPvRmT0_T1_T2_T3_T4_T5_mmT6_P12ihipStream_tbEUlT_E0_NS1_11comp_targetILNS1_3genE2ELNS1_11target_archE906ELNS1_3gpuE6ELNS1_3repE0EEENS1_30default_config_static_selectorELNS0_4arch9wavefront6targetE0EEEvSS_.num_named_barrier, 0
	.set _ZN7rocprim17ROCPRIM_400000_NS6detail17trampoline_kernelINS0_14default_configENS1_21merge_config_selectorINS0_5tupleIJiiEEENS0_10empty_typeEEEZNS1_10merge_implIS3_NS0_12zip_iteratorINS5_IJN6thrust23THRUST_200600_302600_NS10device_ptrIiEESE_EEEEESG_SG_PS7_SH_SH_NSC_11hip_rocprim7__merge17predicate_wrapperIiiNSC_4lessIiEEEEEE10hipError_tPvRmT0_T1_T2_T3_T4_T5_mmT6_P12ihipStream_tbEUlT_E0_NS1_11comp_targetILNS1_3genE2ELNS1_11target_archE906ELNS1_3gpuE6ELNS1_3repE0EEENS1_30default_config_static_selectorELNS0_4arch9wavefront6targetE0EEEvSS_.private_seg_size, 0
	.set _ZN7rocprim17ROCPRIM_400000_NS6detail17trampoline_kernelINS0_14default_configENS1_21merge_config_selectorINS0_5tupleIJiiEEENS0_10empty_typeEEEZNS1_10merge_implIS3_NS0_12zip_iteratorINS5_IJN6thrust23THRUST_200600_302600_NS10device_ptrIiEESE_EEEEESG_SG_PS7_SH_SH_NSC_11hip_rocprim7__merge17predicate_wrapperIiiNSC_4lessIiEEEEEE10hipError_tPvRmT0_T1_T2_T3_T4_T5_mmT6_P12ihipStream_tbEUlT_E0_NS1_11comp_targetILNS1_3genE2ELNS1_11target_archE906ELNS1_3gpuE6ELNS1_3repE0EEENS1_30default_config_static_selectorELNS0_4arch9wavefront6targetE0EEEvSS_.uses_vcc, 0
	.set _ZN7rocprim17ROCPRIM_400000_NS6detail17trampoline_kernelINS0_14default_configENS1_21merge_config_selectorINS0_5tupleIJiiEEENS0_10empty_typeEEEZNS1_10merge_implIS3_NS0_12zip_iteratorINS5_IJN6thrust23THRUST_200600_302600_NS10device_ptrIiEESE_EEEEESG_SG_PS7_SH_SH_NSC_11hip_rocprim7__merge17predicate_wrapperIiiNSC_4lessIiEEEEEE10hipError_tPvRmT0_T1_T2_T3_T4_T5_mmT6_P12ihipStream_tbEUlT_E0_NS1_11comp_targetILNS1_3genE2ELNS1_11target_archE906ELNS1_3gpuE6ELNS1_3repE0EEENS1_30default_config_static_selectorELNS0_4arch9wavefront6targetE0EEEvSS_.uses_flat_scratch, 0
	.set _ZN7rocprim17ROCPRIM_400000_NS6detail17trampoline_kernelINS0_14default_configENS1_21merge_config_selectorINS0_5tupleIJiiEEENS0_10empty_typeEEEZNS1_10merge_implIS3_NS0_12zip_iteratorINS5_IJN6thrust23THRUST_200600_302600_NS10device_ptrIiEESE_EEEEESG_SG_PS7_SH_SH_NSC_11hip_rocprim7__merge17predicate_wrapperIiiNSC_4lessIiEEEEEE10hipError_tPvRmT0_T1_T2_T3_T4_T5_mmT6_P12ihipStream_tbEUlT_E0_NS1_11comp_targetILNS1_3genE2ELNS1_11target_archE906ELNS1_3gpuE6ELNS1_3repE0EEENS1_30default_config_static_selectorELNS0_4arch9wavefront6targetE0EEEvSS_.has_dyn_sized_stack, 0
	.set _ZN7rocprim17ROCPRIM_400000_NS6detail17trampoline_kernelINS0_14default_configENS1_21merge_config_selectorINS0_5tupleIJiiEEENS0_10empty_typeEEEZNS1_10merge_implIS3_NS0_12zip_iteratorINS5_IJN6thrust23THRUST_200600_302600_NS10device_ptrIiEESE_EEEEESG_SG_PS7_SH_SH_NSC_11hip_rocprim7__merge17predicate_wrapperIiiNSC_4lessIiEEEEEE10hipError_tPvRmT0_T1_T2_T3_T4_T5_mmT6_P12ihipStream_tbEUlT_E0_NS1_11comp_targetILNS1_3genE2ELNS1_11target_archE906ELNS1_3gpuE6ELNS1_3repE0EEENS1_30default_config_static_selectorELNS0_4arch9wavefront6targetE0EEEvSS_.has_recursion, 0
	.set _ZN7rocprim17ROCPRIM_400000_NS6detail17trampoline_kernelINS0_14default_configENS1_21merge_config_selectorINS0_5tupleIJiiEEENS0_10empty_typeEEEZNS1_10merge_implIS3_NS0_12zip_iteratorINS5_IJN6thrust23THRUST_200600_302600_NS10device_ptrIiEESE_EEEEESG_SG_PS7_SH_SH_NSC_11hip_rocprim7__merge17predicate_wrapperIiiNSC_4lessIiEEEEEE10hipError_tPvRmT0_T1_T2_T3_T4_T5_mmT6_P12ihipStream_tbEUlT_E0_NS1_11comp_targetILNS1_3genE2ELNS1_11target_archE906ELNS1_3gpuE6ELNS1_3repE0EEENS1_30default_config_static_selectorELNS0_4arch9wavefront6targetE0EEEvSS_.has_indirect_call, 0
	.section	.AMDGPU.csdata,"",@progbits
; Kernel info:
; codeLenInByte = 0
; TotalNumSgprs: 0
; NumVgprs: 0
; ScratchSize: 0
; MemoryBound: 0
; FloatMode: 240
; IeeeMode: 1
; LDSByteSize: 0 bytes/workgroup (compile time only)
; SGPRBlocks: 0
; VGPRBlocks: 0
; NumSGPRsForWavesPerEU: 1
; NumVGPRsForWavesPerEU: 1
; Occupancy: 16
; WaveLimiterHint : 0
; COMPUTE_PGM_RSRC2:SCRATCH_EN: 0
; COMPUTE_PGM_RSRC2:USER_SGPR: 6
; COMPUTE_PGM_RSRC2:TRAP_HANDLER: 0
; COMPUTE_PGM_RSRC2:TGID_X_EN: 1
; COMPUTE_PGM_RSRC2:TGID_Y_EN: 0
; COMPUTE_PGM_RSRC2:TGID_Z_EN: 0
; COMPUTE_PGM_RSRC2:TIDIG_COMP_CNT: 0
	.section	.text._ZN7rocprim17ROCPRIM_400000_NS6detail17trampoline_kernelINS0_14default_configENS1_21merge_config_selectorINS0_5tupleIJiiEEENS0_10empty_typeEEEZNS1_10merge_implIS3_NS0_12zip_iteratorINS5_IJN6thrust23THRUST_200600_302600_NS10device_ptrIiEESE_EEEEESG_SG_PS7_SH_SH_NSC_11hip_rocprim7__merge17predicate_wrapperIiiNSC_4lessIiEEEEEE10hipError_tPvRmT0_T1_T2_T3_T4_T5_mmT6_P12ihipStream_tbEUlT_E0_NS1_11comp_targetILNS1_3genE10ELNS1_11target_archE1201ELNS1_3gpuE5ELNS1_3repE0EEENS1_30default_config_static_selectorELNS0_4arch9wavefront6targetE0EEEvSS_,"axG",@progbits,_ZN7rocprim17ROCPRIM_400000_NS6detail17trampoline_kernelINS0_14default_configENS1_21merge_config_selectorINS0_5tupleIJiiEEENS0_10empty_typeEEEZNS1_10merge_implIS3_NS0_12zip_iteratorINS5_IJN6thrust23THRUST_200600_302600_NS10device_ptrIiEESE_EEEEESG_SG_PS7_SH_SH_NSC_11hip_rocprim7__merge17predicate_wrapperIiiNSC_4lessIiEEEEEE10hipError_tPvRmT0_T1_T2_T3_T4_T5_mmT6_P12ihipStream_tbEUlT_E0_NS1_11comp_targetILNS1_3genE10ELNS1_11target_archE1201ELNS1_3gpuE5ELNS1_3repE0EEENS1_30default_config_static_selectorELNS0_4arch9wavefront6targetE0EEEvSS_,comdat
	.protected	_ZN7rocprim17ROCPRIM_400000_NS6detail17trampoline_kernelINS0_14default_configENS1_21merge_config_selectorINS0_5tupleIJiiEEENS0_10empty_typeEEEZNS1_10merge_implIS3_NS0_12zip_iteratorINS5_IJN6thrust23THRUST_200600_302600_NS10device_ptrIiEESE_EEEEESG_SG_PS7_SH_SH_NSC_11hip_rocprim7__merge17predicate_wrapperIiiNSC_4lessIiEEEEEE10hipError_tPvRmT0_T1_T2_T3_T4_T5_mmT6_P12ihipStream_tbEUlT_E0_NS1_11comp_targetILNS1_3genE10ELNS1_11target_archE1201ELNS1_3gpuE5ELNS1_3repE0EEENS1_30default_config_static_selectorELNS0_4arch9wavefront6targetE0EEEvSS_ ; -- Begin function _ZN7rocprim17ROCPRIM_400000_NS6detail17trampoline_kernelINS0_14default_configENS1_21merge_config_selectorINS0_5tupleIJiiEEENS0_10empty_typeEEEZNS1_10merge_implIS3_NS0_12zip_iteratorINS5_IJN6thrust23THRUST_200600_302600_NS10device_ptrIiEESE_EEEEESG_SG_PS7_SH_SH_NSC_11hip_rocprim7__merge17predicate_wrapperIiiNSC_4lessIiEEEEEE10hipError_tPvRmT0_T1_T2_T3_T4_T5_mmT6_P12ihipStream_tbEUlT_E0_NS1_11comp_targetILNS1_3genE10ELNS1_11target_archE1201ELNS1_3gpuE5ELNS1_3repE0EEENS1_30default_config_static_selectorELNS0_4arch9wavefront6targetE0EEEvSS_
	.globl	_ZN7rocprim17ROCPRIM_400000_NS6detail17trampoline_kernelINS0_14default_configENS1_21merge_config_selectorINS0_5tupleIJiiEEENS0_10empty_typeEEEZNS1_10merge_implIS3_NS0_12zip_iteratorINS5_IJN6thrust23THRUST_200600_302600_NS10device_ptrIiEESE_EEEEESG_SG_PS7_SH_SH_NSC_11hip_rocprim7__merge17predicate_wrapperIiiNSC_4lessIiEEEEEE10hipError_tPvRmT0_T1_T2_T3_T4_T5_mmT6_P12ihipStream_tbEUlT_E0_NS1_11comp_targetILNS1_3genE10ELNS1_11target_archE1201ELNS1_3gpuE5ELNS1_3repE0EEENS1_30default_config_static_selectorELNS0_4arch9wavefront6targetE0EEEvSS_
	.p2align	8
	.type	_ZN7rocprim17ROCPRIM_400000_NS6detail17trampoline_kernelINS0_14default_configENS1_21merge_config_selectorINS0_5tupleIJiiEEENS0_10empty_typeEEEZNS1_10merge_implIS3_NS0_12zip_iteratorINS5_IJN6thrust23THRUST_200600_302600_NS10device_ptrIiEESE_EEEEESG_SG_PS7_SH_SH_NSC_11hip_rocprim7__merge17predicate_wrapperIiiNSC_4lessIiEEEEEE10hipError_tPvRmT0_T1_T2_T3_T4_T5_mmT6_P12ihipStream_tbEUlT_E0_NS1_11comp_targetILNS1_3genE10ELNS1_11target_archE1201ELNS1_3gpuE5ELNS1_3repE0EEENS1_30default_config_static_selectorELNS0_4arch9wavefront6targetE0EEEvSS_,@function
_ZN7rocprim17ROCPRIM_400000_NS6detail17trampoline_kernelINS0_14default_configENS1_21merge_config_selectorINS0_5tupleIJiiEEENS0_10empty_typeEEEZNS1_10merge_implIS3_NS0_12zip_iteratorINS5_IJN6thrust23THRUST_200600_302600_NS10device_ptrIiEESE_EEEEESG_SG_PS7_SH_SH_NSC_11hip_rocprim7__merge17predicate_wrapperIiiNSC_4lessIiEEEEEE10hipError_tPvRmT0_T1_T2_T3_T4_T5_mmT6_P12ihipStream_tbEUlT_E0_NS1_11comp_targetILNS1_3genE10ELNS1_11target_archE1201ELNS1_3gpuE5ELNS1_3repE0EEENS1_30default_config_static_selectorELNS0_4arch9wavefront6targetE0EEEvSS_: ; @_ZN7rocprim17ROCPRIM_400000_NS6detail17trampoline_kernelINS0_14default_configENS1_21merge_config_selectorINS0_5tupleIJiiEEENS0_10empty_typeEEEZNS1_10merge_implIS3_NS0_12zip_iteratorINS5_IJN6thrust23THRUST_200600_302600_NS10device_ptrIiEESE_EEEEESG_SG_PS7_SH_SH_NSC_11hip_rocprim7__merge17predicate_wrapperIiiNSC_4lessIiEEEEEE10hipError_tPvRmT0_T1_T2_T3_T4_T5_mmT6_P12ihipStream_tbEUlT_E0_NS1_11comp_targetILNS1_3genE10ELNS1_11target_archE1201ELNS1_3gpuE5ELNS1_3repE0EEENS1_30default_config_static_selectorELNS0_4arch9wavefront6targetE0EEEvSS_
; %bb.0:
	.section	.rodata,"a",@progbits
	.p2align	6, 0x0
	.amdhsa_kernel _ZN7rocprim17ROCPRIM_400000_NS6detail17trampoline_kernelINS0_14default_configENS1_21merge_config_selectorINS0_5tupleIJiiEEENS0_10empty_typeEEEZNS1_10merge_implIS3_NS0_12zip_iteratorINS5_IJN6thrust23THRUST_200600_302600_NS10device_ptrIiEESE_EEEEESG_SG_PS7_SH_SH_NSC_11hip_rocprim7__merge17predicate_wrapperIiiNSC_4lessIiEEEEEE10hipError_tPvRmT0_T1_T2_T3_T4_T5_mmT6_P12ihipStream_tbEUlT_E0_NS1_11comp_targetILNS1_3genE10ELNS1_11target_archE1201ELNS1_3gpuE5ELNS1_3repE0EEENS1_30default_config_static_selectorELNS0_4arch9wavefront6targetE0EEEvSS_
		.amdhsa_group_segment_fixed_size 0
		.amdhsa_private_segment_fixed_size 0
		.amdhsa_kernarg_size 112
		.amdhsa_user_sgpr_count 6
		.amdhsa_user_sgpr_private_segment_buffer 1
		.amdhsa_user_sgpr_dispatch_ptr 0
		.amdhsa_user_sgpr_queue_ptr 0
		.amdhsa_user_sgpr_kernarg_segment_ptr 1
		.amdhsa_user_sgpr_dispatch_id 0
		.amdhsa_user_sgpr_flat_scratch_init 0
		.amdhsa_user_sgpr_private_segment_size 0
		.amdhsa_wavefront_size32 1
		.amdhsa_uses_dynamic_stack 0
		.amdhsa_system_sgpr_private_segment_wavefront_offset 0
		.amdhsa_system_sgpr_workgroup_id_x 1
		.amdhsa_system_sgpr_workgroup_id_y 0
		.amdhsa_system_sgpr_workgroup_id_z 0
		.amdhsa_system_sgpr_workgroup_info 0
		.amdhsa_system_vgpr_workitem_id 0
		.amdhsa_next_free_vgpr 1
		.amdhsa_next_free_sgpr 1
		.amdhsa_reserve_vcc 0
		.amdhsa_reserve_flat_scratch 0
		.amdhsa_float_round_mode_32 0
		.amdhsa_float_round_mode_16_64 0
		.amdhsa_float_denorm_mode_32 3
		.amdhsa_float_denorm_mode_16_64 3
		.amdhsa_dx10_clamp 1
		.amdhsa_ieee_mode 1
		.amdhsa_fp16_overflow 0
		.amdhsa_workgroup_processor_mode 1
		.amdhsa_memory_ordered 1
		.amdhsa_forward_progress 1
		.amdhsa_shared_vgpr_count 0
		.amdhsa_exception_fp_ieee_invalid_op 0
		.amdhsa_exception_fp_denorm_src 0
		.amdhsa_exception_fp_ieee_div_zero 0
		.amdhsa_exception_fp_ieee_overflow 0
		.amdhsa_exception_fp_ieee_underflow 0
		.amdhsa_exception_fp_ieee_inexact 0
		.amdhsa_exception_int_div_zero 0
	.end_amdhsa_kernel
	.section	.text._ZN7rocprim17ROCPRIM_400000_NS6detail17trampoline_kernelINS0_14default_configENS1_21merge_config_selectorINS0_5tupleIJiiEEENS0_10empty_typeEEEZNS1_10merge_implIS3_NS0_12zip_iteratorINS5_IJN6thrust23THRUST_200600_302600_NS10device_ptrIiEESE_EEEEESG_SG_PS7_SH_SH_NSC_11hip_rocprim7__merge17predicate_wrapperIiiNSC_4lessIiEEEEEE10hipError_tPvRmT0_T1_T2_T3_T4_T5_mmT6_P12ihipStream_tbEUlT_E0_NS1_11comp_targetILNS1_3genE10ELNS1_11target_archE1201ELNS1_3gpuE5ELNS1_3repE0EEENS1_30default_config_static_selectorELNS0_4arch9wavefront6targetE0EEEvSS_,"axG",@progbits,_ZN7rocprim17ROCPRIM_400000_NS6detail17trampoline_kernelINS0_14default_configENS1_21merge_config_selectorINS0_5tupleIJiiEEENS0_10empty_typeEEEZNS1_10merge_implIS3_NS0_12zip_iteratorINS5_IJN6thrust23THRUST_200600_302600_NS10device_ptrIiEESE_EEEEESG_SG_PS7_SH_SH_NSC_11hip_rocprim7__merge17predicate_wrapperIiiNSC_4lessIiEEEEEE10hipError_tPvRmT0_T1_T2_T3_T4_T5_mmT6_P12ihipStream_tbEUlT_E0_NS1_11comp_targetILNS1_3genE10ELNS1_11target_archE1201ELNS1_3gpuE5ELNS1_3repE0EEENS1_30default_config_static_selectorELNS0_4arch9wavefront6targetE0EEEvSS_,comdat
.Lfunc_end638:
	.size	_ZN7rocprim17ROCPRIM_400000_NS6detail17trampoline_kernelINS0_14default_configENS1_21merge_config_selectorINS0_5tupleIJiiEEENS0_10empty_typeEEEZNS1_10merge_implIS3_NS0_12zip_iteratorINS5_IJN6thrust23THRUST_200600_302600_NS10device_ptrIiEESE_EEEEESG_SG_PS7_SH_SH_NSC_11hip_rocprim7__merge17predicate_wrapperIiiNSC_4lessIiEEEEEE10hipError_tPvRmT0_T1_T2_T3_T4_T5_mmT6_P12ihipStream_tbEUlT_E0_NS1_11comp_targetILNS1_3genE10ELNS1_11target_archE1201ELNS1_3gpuE5ELNS1_3repE0EEENS1_30default_config_static_selectorELNS0_4arch9wavefront6targetE0EEEvSS_, .Lfunc_end638-_ZN7rocprim17ROCPRIM_400000_NS6detail17trampoline_kernelINS0_14default_configENS1_21merge_config_selectorINS0_5tupleIJiiEEENS0_10empty_typeEEEZNS1_10merge_implIS3_NS0_12zip_iteratorINS5_IJN6thrust23THRUST_200600_302600_NS10device_ptrIiEESE_EEEEESG_SG_PS7_SH_SH_NSC_11hip_rocprim7__merge17predicate_wrapperIiiNSC_4lessIiEEEEEE10hipError_tPvRmT0_T1_T2_T3_T4_T5_mmT6_P12ihipStream_tbEUlT_E0_NS1_11comp_targetILNS1_3genE10ELNS1_11target_archE1201ELNS1_3gpuE5ELNS1_3repE0EEENS1_30default_config_static_selectorELNS0_4arch9wavefront6targetE0EEEvSS_
                                        ; -- End function
	.set _ZN7rocprim17ROCPRIM_400000_NS6detail17trampoline_kernelINS0_14default_configENS1_21merge_config_selectorINS0_5tupleIJiiEEENS0_10empty_typeEEEZNS1_10merge_implIS3_NS0_12zip_iteratorINS5_IJN6thrust23THRUST_200600_302600_NS10device_ptrIiEESE_EEEEESG_SG_PS7_SH_SH_NSC_11hip_rocprim7__merge17predicate_wrapperIiiNSC_4lessIiEEEEEE10hipError_tPvRmT0_T1_T2_T3_T4_T5_mmT6_P12ihipStream_tbEUlT_E0_NS1_11comp_targetILNS1_3genE10ELNS1_11target_archE1201ELNS1_3gpuE5ELNS1_3repE0EEENS1_30default_config_static_selectorELNS0_4arch9wavefront6targetE0EEEvSS_.num_vgpr, 0
	.set _ZN7rocprim17ROCPRIM_400000_NS6detail17trampoline_kernelINS0_14default_configENS1_21merge_config_selectorINS0_5tupleIJiiEEENS0_10empty_typeEEEZNS1_10merge_implIS3_NS0_12zip_iteratorINS5_IJN6thrust23THRUST_200600_302600_NS10device_ptrIiEESE_EEEEESG_SG_PS7_SH_SH_NSC_11hip_rocprim7__merge17predicate_wrapperIiiNSC_4lessIiEEEEEE10hipError_tPvRmT0_T1_T2_T3_T4_T5_mmT6_P12ihipStream_tbEUlT_E0_NS1_11comp_targetILNS1_3genE10ELNS1_11target_archE1201ELNS1_3gpuE5ELNS1_3repE0EEENS1_30default_config_static_selectorELNS0_4arch9wavefront6targetE0EEEvSS_.num_agpr, 0
	.set _ZN7rocprim17ROCPRIM_400000_NS6detail17trampoline_kernelINS0_14default_configENS1_21merge_config_selectorINS0_5tupleIJiiEEENS0_10empty_typeEEEZNS1_10merge_implIS3_NS0_12zip_iteratorINS5_IJN6thrust23THRUST_200600_302600_NS10device_ptrIiEESE_EEEEESG_SG_PS7_SH_SH_NSC_11hip_rocprim7__merge17predicate_wrapperIiiNSC_4lessIiEEEEEE10hipError_tPvRmT0_T1_T2_T3_T4_T5_mmT6_P12ihipStream_tbEUlT_E0_NS1_11comp_targetILNS1_3genE10ELNS1_11target_archE1201ELNS1_3gpuE5ELNS1_3repE0EEENS1_30default_config_static_selectorELNS0_4arch9wavefront6targetE0EEEvSS_.numbered_sgpr, 0
	.set _ZN7rocprim17ROCPRIM_400000_NS6detail17trampoline_kernelINS0_14default_configENS1_21merge_config_selectorINS0_5tupleIJiiEEENS0_10empty_typeEEEZNS1_10merge_implIS3_NS0_12zip_iteratorINS5_IJN6thrust23THRUST_200600_302600_NS10device_ptrIiEESE_EEEEESG_SG_PS7_SH_SH_NSC_11hip_rocprim7__merge17predicate_wrapperIiiNSC_4lessIiEEEEEE10hipError_tPvRmT0_T1_T2_T3_T4_T5_mmT6_P12ihipStream_tbEUlT_E0_NS1_11comp_targetILNS1_3genE10ELNS1_11target_archE1201ELNS1_3gpuE5ELNS1_3repE0EEENS1_30default_config_static_selectorELNS0_4arch9wavefront6targetE0EEEvSS_.num_named_barrier, 0
	.set _ZN7rocprim17ROCPRIM_400000_NS6detail17trampoline_kernelINS0_14default_configENS1_21merge_config_selectorINS0_5tupleIJiiEEENS0_10empty_typeEEEZNS1_10merge_implIS3_NS0_12zip_iteratorINS5_IJN6thrust23THRUST_200600_302600_NS10device_ptrIiEESE_EEEEESG_SG_PS7_SH_SH_NSC_11hip_rocprim7__merge17predicate_wrapperIiiNSC_4lessIiEEEEEE10hipError_tPvRmT0_T1_T2_T3_T4_T5_mmT6_P12ihipStream_tbEUlT_E0_NS1_11comp_targetILNS1_3genE10ELNS1_11target_archE1201ELNS1_3gpuE5ELNS1_3repE0EEENS1_30default_config_static_selectorELNS0_4arch9wavefront6targetE0EEEvSS_.private_seg_size, 0
	.set _ZN7rocprim17ROCPRIM_400000_NS6detail17trampoline_kernelINS0_14default_configENS1_21merge_config_selectorINS0_5tupleIJiiEEENS0_10empty_typeEEEZNS1_10merge_implIS3_NS0_12zip_iteratorINS5_IJN6thrust23THRUST_200600_302600_NS10device_ptrIiEESE_EEEEESG_SG_PS7_SH_SH_NSC_11hip_rocprim7__merge17predicate_wrapperIiiNSC_4lessIiEEEEEE10hipError_tPvRmT0_T1_T2_T3_T4_T5_mmT6_P12ihipStream_tbEUlT_E0_NS1_11comp_targetILNS1_3genE10ELNS1_11target_archE1201ELNS1_3gpuE5ELNS1_3repE0EEENS1_30default_config_static_selectorELNS0_4arch9wavefront6targetE0EEEvSS_.uses_vcc, 0
	.set _ZN7rocprim17ROCPRIM_400000_NS6detail17trampoline_kernelINS0_14default_configENS1_21merge_config_selectorINS0_5tupleIJiiEEENS0_10empty_typeEEEZNS1_10merge_implIS3_NS0_12zip_iteratorINS5_IJN6thrust23THRUST_200600_302600_NS10device_ptrIiEESE_EEEEESG_SG_PS7_SH_SH_NSC_11hip_rocprim7__merge17predicate_wrapperIiiNSC_4lessIiEEEEEE10hipError_tPvRmT0_T1_T2_T3_T4_T5_mmT6_P12ihipStream_tbEUlT_E0_NS1_11comp_targetILNS1_3genE10ELNS1_11target_archE1201ELNS1_3gpuE5ELNS1_3repE0EEENS1_30default_config_static_selectorELNS0_4arch9wavefront6targetE0EEEvSS_.uses_flat_scratch, 0
	.set _ZN7rocprim17ROCPRIM_400000_NS6detail17trampoline_kernelINS0_14default_configENS1_21merge_config_selectorINS0_5tupleIJiiEEENS0_10empty_typeEEEZNS1_10merge_implIS3_NS0_12zip_iteratorINS5_IJN6thrust23THRUST_200600_302600_NS10device_ptrIiEESE_EEEEESG_SG_PS7_SH_SH_NSC_11hip_rocprim7__merge17predicate_wrapperIiiNSC_4lessIiEEEEEE10hipError_tPvRmT0_T1_T2_T3_T4_T5_mmT6_P12ihipStream_tbEUlT_E0_NS1_11comp_targetILNS1_3genE10ELNS1_11target_archE1201ELNS1_3gpuE5ELNS1_3repE0EEENS1_30default_config_static_selectorELNS0_4arch9wavefront6targetE0EEEvSS_.has_dyn_sized_stack, 0
	.set _ZN7rocprim17ROCPRIM_400000_NS6detail17trampoline_kernelINS0_14default_configENS1_21merge_config_selectorINS0_5tupleIJiiEEENS0_10empty_typeEEEZNS1_10merge_implIS3_NS0_12zip_iteratorINS5_IJN6thrust23THRUST_200600_302600_NS10device_ptrIiEESE_EEEEESG_SG_PS7_SH_SH_NSC_11hip_rocprim7__merge17predicate_wrapperIiiNSC_4lessIiEEEEEE10hipError_tPvRmT0_T1_T2_T3_T4_T5_mmT6_P12ihipStream_tbEUlT_E0_NS1_11comp_targetILNS1_3genE10ELNS1_11target_archE1201ELNS1_3gpuE5ELNS1_3repE0EEENS1_30default_config_static_selectorELNS0_4arch9wavefront6targetE0EEEvSS_.has_recursion, 0
	.set _ZN7rocprim17ROCPRIM_400000_NS6detail17trampoline_kernelINS0_14default_configENS1_21merge_config_selectorINS0_5tupleIJiiEEENS0_10empty_typeEEEZNS1_10merge_implIS3_NS0_12zip_iteratorINS5_IJN6thrust23THRUST_200600_302600_NS10device_ptrIiEESE_EEEEESG_SG_PS7_SH_SH_NSC_11hip_rocprim7__merge17predicate_wrapperIiiNSC_4lessIiEEEEEE10hipError_tPvRmT0_T1_T2_T3_T4_T5_mmT6_P12ihipStream_tbEUlT_E0_NS1_11comp_targetILNS1_3genE10ELNS1_11target_archE1201ELNS1_3gpuE5ELNS1_3repE0EEENS1_30default_config_static_selectorELNS0_4arch9wavefront6targetE0EEEvSS_.has_indirect_call, 0
	.section	.AMDGPU.csdata,"",@progbits
; Kernel info:
; codeLenInByte = 0
; TotalNumSgprs: 0
; NumVgprs: 0
; ScratchSize: 0
; MemoryBound: 0
; FloatMode: 240
; IeeeMode: 1
; LDSByteSize: 0 bytes/workgroup (compile time only)
; SGPRBlocks: 0
; VGPRBlocks: 0
; NumSGPRsForWavesPerEU: 1
; NumVGPRsForWavesPerEU: 1
; Occupancy: 16
; WaveLimiterHint : 0
; COMPUTE_PGM_RSRC2:SCRATCH_EN: 0
; COMPUTE_PGM_RSRC2:USER_SGPR: 6
; COMPUTE_PGM_RSRC2:TRAP_HANDLER: 0
; COMPUTE_PGM_RSRC2:TGID_X_EN: 1
; COMPUTE_PGM_RSRC2:TGID_Y_EN: 0
; COMPUTE_PGM_RSRC2:TGID_Z_EN: 0
; COMPUTE_PGM_RSRC2:TIDIG_COMP_CNT: 0
	.section	.text._ZN7rocprim17ROCPRIM_400000_NS6detail17trampoline_kernelINS0_14default_configENS1_21merge_config_selectorINS0_5tupleIJiiEEENS0_10empty_typeEEEZNS1_10merge_implIS3_NS0_12zip_iteratorINS5_IJN6thrust23THRUST_200600_302600_NS10device_ptrIiEESE_EEEEESG_SG_PS7_SH_SH_NSC_11hip_rocprim7__merge17predicate_wrapperIiiNSC_4lessIiEEEEEE10hipError_tPvRmT0_T1_T2_T3_T4_T5_mmT6_P12ihipStream_tbEUlT_E0_NS1_11comp_targetILNS1_3genE10ELNS1_11target_archE1200ELNS1_3gpuE4ELNS1_3repE0EEENS1_30default_config_static_selectorELNS0_4arch9wavefront6targetE0EEEvSS_,"axG",@progbits,_ZN7rocprim17ROCPRIM_400000_NS6detail17trampoline_kernelINS0_14default_configENS1_21merge_config_selectorINS0_5tupleIJiiEEENS0_10empty_typeEEEZNS1_10merge_implIS3_NS0_12zip_iteratorINS5_IJN6thrust23THRUST_200600_302600_NS10device_ptrIiEESE_EEEEESG_SG_PS7_SH_SH_NSC_11hip_rocprim7__merge17predicate_wrapperIiiNSC_4lessIiEEEEEE10hipError_tPvRmT0_T1_T2_T3_T4_T5_mmT6_P12ihipStream_tbEUlT_E0_NS1_11comp_targetILNS1_3genE10ELNS1_11target_archE1200ELNS1_3gpuE4ELNS1_3repE0EEENS1_30default_config_static_selectorELNS0_4arch9wavefront6targetE0EEEvSS_,comdat
	.protected	_ZN7rocprim17ROCPRIM_400000_NS6detail17trampoline_kernelINS0_14default_configENS1_21merge_config_selectorINS0_5tupleIJiiEEENS0_10empty_typeEEEZNS1_10merge_implIS3_NS0_12zip_iteratorINS5_IJN6thrust23THRUST_200600_302600_NS10device_ptrIiEESE_EEEEESG_SG_PS7_SH_SH_NSC_11hip_rocprim7__merge17predicate_wrapperIiiNSC_4lessIiEEEEEE10hipError_tPvRmT0_T1_T2_T3_T4_T5_mmT6_P12ihipStream_tbEUlT_E0_NS1_11comp_targetILNS1_3genE10ELNS1_11target_archE1200ELNS1_3gpuE4ELNS1_3repE0EEENS1_30default_config_static_selectorELNS0_4arch9wavefront6targetE0EEEvSS_ ; -- Begin function _ZN7rocprim17ROCPRIM_400000_NS6detail17trampoline_kernelINS0_14default_configENS1_21merge_config_selectorINS0_5tupleIJiiEEENS0_10empty_typeEEEZNS1_10merge_implIS3_NS0_12zip_iteratorINS5_IJN6thrust23THRUST_200600_302600_NS10device_ptrIiEESE_EEEEESG_SG_PS7_SH_SH_NSC_11hip_rocprim7__merge17predicate_wrapperIiiNSC_4lessIiEEEEEE10hipError_tPvRmT0_T1_T2_T3_T4_T5_mmT6_P12ihipStream_tbEUlT_E0_NS1_11comp_targetILNS1_3genE10ELNS1_11target_archE1200ELNS1_3gpuE4ELNS1_3repE0EEENS1_30default_config_static_selectorELNS0_4arch9wavefront6targetE0EEEvSS_
	.globl	_ZN7rocprim17ROCPRIM_400000_NS6detail17trampoline_kernelINS0_14default_configENS1_21merge_config_selectorINS0_5tupleIJiiEEENS0_10empty_typeEEEZNS1_10merge_implIS3_NS0_12zip_iteratorINS5_IJN6thrust23THRUST_200600_302600_NS10device_ptrIiEESE_EEEEESG_SG_PS7_SH_SH_NSC_11hip_rocprim7__merge17predicate_wrapperIiiNSC_4lessIiEEEEEE10hipError_tPvRmT0_T1_T2_T3_T4_T5_mmT6_P12ihipStream_tbEUlT_E0_NS1_11comp_targetILNS1_3genE10ELNS1_11target_archE1200ELNS1_3gpuE4ELNS1_3repE0EEENS1_30default_config_static_selectorELNS0_4arch9wavefront6targetE0EEEvSS_
	.p2align	8
	.type	_ZN7rocprim17ROCPRIM_400000_NS6detail17trampoline_kernelINS0_14default_configENS1_21merge_config_selectorINS0_5tupleIJiiEEENS0_10empty_typeEEEZNS1_10merge_implIS3_NS0_12zip_iteratorINS5_IJN6thrust23THRUST_200600_302600_NS10device_ptrIiEESE_EEEEESG_SG_PS7_SH_SH_NSC_11hip_rocprim7__merge17predicate_wrapperIiiNSC_4lessIiEEEEEE10hipError_tPvRmT0_T1_T2_T3_T4_T5_mmT6_P12ihipStream_tbEUlT_E0_NS1_11comp_targetILNS1_3genE10ELNS1_11target_archE1200ELNS1_3gpuE4ELNS1_3repE0EEENS1_30default_config_static_selectorELNS0_4arch9wavefront6targetE0EEEvSS_,@function
_ZN7rocprim17ROCPRIM_400000_NS6detail17trampoline_kernelINS0_14default_configENS1_21merge_config_selectorINS0_5tupleIJiiEEENS0_10empty_typeEEEZNS1_10merge_implIS3_NS0_12zip_iteratorINS5_IJN6thrust23THRUST_200600_302600_NS10device_ptrIiEESE_EEEEESG_SG_PS7_SH_SH_NSC_11hip_rocprim7__merge17predicate_wrapperIiiNSC_4lessIiEEEEEE10hipError_tPvRmT0_T1_T2_T3_T4_T5_mmT6_P12ihipStream_tbEUlT_E0_NS1_11comp_targetILNS1_3genE10ELNS1_11target_archE1200ELNS1_3gpuE4ELNS1_3repE0EEENS1_30default_config_static_selectorELNS0_4arch9wavefront6targetE0EEEvSS_: ; @_ZN7rocprim17ROCPRIM_400000_NS6detail17trampoline_kernelINS0_14default_configENS1_21merge_config_selectorINS0_5tupleIJiiEEENS0_10empty_typeEEEZNS1_10merge_implIS3_NS0_12zip_iteratorINS5_IJN6thrust23THRUST_200600_302600_NS10device_ptrIiEESE_EEEEESG_SG_PS7_SH_SH_NSC_11hip_rocprim7__merge17predicate_wrapperIiiNSC_4lessIiEEEEEE10hipError_tPvRmT0_T1_T2_T3_T4_T5_mmT6_P12ihipStream_tbEUlT_E0_NS1_11comp_targetILNS1_3genE10ELNS1_11target_archE1200ELNS1_3gpuE4ELNS1_3repE0EEENS1_30default_config_static_selectorELNS0_4arch9wavefront6targetE0EEEvSS_
; %bb.0:
	.section	.rodata,"a",@progbits
	.p2align	6, 0x0
	.amdhsa_kernel _ZN7rocprim17ROCPRIM_400000_NS6detail17trampoline_kernelINS0_14default_configENS1_21merge_config_selectorINS0_5tupleIJiiEEENS0_10empty_typeEEEZNS1_10merge_implIS3_NS0_12zip_iteratorINS5_IJN6thrust23THRUST_200600_302600_NS10device_ptrIiEESE_EEEEESG_SG_PS7_SH_SH_NSC_11hip_rocprim7__merge17predicate_wrapperIiiNSC_4lessIiEEEEEE10hipError_tPvRmT0_T1_T2_T3_T4_T5_mmT6_P12ihipStream_tbEUlT_E0_NS1_11comp_targetILNS1_3genE10ELNS1_11target_archE1200ELNS1_3gpuE4ELNS1_3repE0EEENS1_30default_config_static_selectorELNS0_4arch9wavefront6targetE0EEEvSS_
		.amdhsa_group_segment_fixed_size 0
		.amdhsa_private_segment_fixed_size 0
		.amdhsa_kernarg_size 112
		.amdhsa_user_sgpr_count 6
		.amdhsa_user_sgpr_private_segment_buffer 1
		.amdhsa_user_sgpr_dispatch_ptr 0
		.amdhsa_user_sgpr_queue_ptr 0
		.amdhsa_user_sgpr_kernarg_segment_ptr 1
		.amdhsa_user_sgpr_dispatch_id 0
		.amdhsa_user_sgpr_flat_scratch_init 0
		.amdhsa_user_sgpr_private_segment_size 0
		.amdhsa_wavefront_size32 1
		.amdhsa_uses_dynamic_stack 0
		.amdhsa_system_sgpr_private_segment_wavefront_offset 0
		.amdhsa_system_sgpr_workgroup_id_x 1
		.amdhsa_system_sgpr_workgroup_id_y 0
		.amdhsa_system_sgpr_workgroup_id_z 0
		.amdhsa_system_sgpr_workgroup_info 0
		.amdhsa_system_vgpr_workitem_id 0
		.amdhsa_next_free_vgpr 1
		.amdhsa_next_free_sgpr 1
		.amdhsa_reserve_vcc 0
		.amdhsa_reserve_flat_scratch 0
		.amdhsa_float_round_mode_32 0
		.amdhsa_float_round_mode_16_64 0
		.amdhsa_float_denorm_mode_32 3
		.amdhsa_float_denorm_mode_16_64 3
		.amdhsa_dx10_clamp 1
		.amdhsa_ieee_mode 1
		.amdhsa_fp16_overflow 0
		.amdhsa_workgroup_processor_mode 1
		.amdhsa_memory_ordered 1
		.amdhsa_forward_progress 1
		.amdhsa_shared_vgpr_count 0
		.amdhsa_exception_fp_ieee_invalid_op 0
		.amdhsa_exception_fp_denorm_src 0
		.amdhsa_exception_fp_ieee_div_zero 0
		.amdhsa_exception_fp_ieee_overflow 0
		.amdhsa_exception_fp_ieee_underflow 0
		.amdhsa_exception_fp_ieee_inexact 0
		.amdhsa_exception_int_div_zero 0
	.end_amdhsa_kernel
	.section	.text._ZN7rocprim17ROCPRIM_400000_NS6detail17trampoline_kernelINS0_14default_configENS1_21merge_config_selectorINS0_5tupleIJiiEEENS0_10empty_typeEEEZNS1_10merge_implIS3_NS0_12zip_iteratorINS5_IJN6thrust23THRUST_200600_302600_NS10device_ptrIiEESE_EEEEESG_SG_PS7_SH_SH_NSC_11hip_rocprim7__merge17predicate_wrapperIiiNSC_4lessIiEEEEEE10hipError_tPvRmT0_T1_T2_T3_T4_T5_mmT6_P12ihipStream_tbEUlT_E0_NS1_11comp_targetILNS1_3genE10ELNS1_11target_archE1200ELNS1_3gpuE4ELNS1_3repE0EEENS1_30default_config_static_selectorELNS0_4arch9wavefront6targetE0EEEvSS_,"axG",@progbits,_ZN7rocprim17ROCPRIM_400000_NS6detail17trampoline_kernelINS0_14default_configENS1_21merge_config_selectorINS0_5tupleIJiiEEENS0_10empty_typeEEEZNS1_10merge_implIS3_NS0_12zip_iteratorINS5_IJN6thrust23THRUST_200600_302600_NS10device_ptrIiEESE_EEEEESG_SG_PS7_SH_SH_NSC_11hip_rocprim7__merge17predicate_wrapperIiiNSC_4lessIiEEEEEE10hipError_tPvRmT0_T1_T2_T3_T4_T5_mmT6_P12ihipStream_tbEUlT_E0_NS1_11comp_targetILNS1_3genE10ELNS1_11target_archE1200ELNS1_3gpuE4ELNS1_3repE0EEENS1_30default_config_static_selectorELNS0_4arch9wavefront6targetE0EEEvSS_,comdat
.Lfunc_end639:
	.size	_ZN7rocprim17ROCPRIM_400000_NS6detail17trampoline_kernelINS0_14default_configENS1_21merge_config_selectorINS0_5tupleIJiiEEENS0_10empty_typeEEEZNS1_10merge_implIS3_NS0_12zip_iteratorINS5_IJN6thrust23THRUST_200600_302600_NS10device_ptrIiEESE_EEEEESG_SG_PS7_SH_SH_NSC_11hip_rocprim7__merge17predicate_wrapperIiiNSC_4lessIiEEEEEE10hipError_tPvRmT0_T1_T2_T3_T4_T5_mmT6_P12ihipStream_tbEUlT_E0_NS1_11comp_targetILNS1_3genE10ELNS1_11target_archE1200ELNS1_3gpuE4ELNS1_3repE0EEENS1_30default_config_static_selectorELNS0_4arch9wavefront6targetE0EEEvSS_, .Lfunc_end639-_ZN7rocprim17ROCPRIM_400000_NS6detail17trampoline_kernelINS0_14default_configENS1_21merge_config_selectorINS0_5tupleIJiiEEENS0_10empty_typeEEEZNS1_10merge_implIS3_NS0_12zip_iteratorINS5_IJN6thrust23THRUST_200600_302600_NS10device_ptrIiEESE_EEEEESG_SG_PS7_SH_SH_NSC_11hip_rocprim7__merge17predicate_wrapperIiiNSC_4lessIiEEEEEE10hipError_tPvRmT0_T1_T2_T3_T4_T5_mmT6_P12ihipStream_tbEUlT_E0_NS1_11comp_targetILNS1_3genE10ELNS1_11target_archE1200ELNS1_3gpuE4ELNS1_3repE0EEENS1_30default_config_static_selectorELNS0_4arch9wavefront6targetE0EEEvSS_
                                        ; -- End function
	.set _ZN7rocprim17ROCPRIM_400000_NS6detail17trampoline_kernelINS0_14default_configENS1_21merge_config_selectorINS0_5tupleIJiiEEENS0_10empty_typeEEEZNS1_10merge_implIS3_NS0_12zip_iteratorINS5_IJN6thrust23THRUST_200600_302600_NS10device_ptrIiEESE_EEEEESG_SG_PS7_SH_SH_NSC_11hip_rocprim7__merge17predicate_wrapperIiiNSC_4lessIiEEEEEE10hipError_tPvRmT0_T1_T2_T3_T4_T5_mmT6_P12ihipStream_tbEUlT_E0_NS1_11comp_targetILNS1_3genE10ELNS1_11target_archE1200ELNS1_3gpuE4ELNS1_3repE0EEENS1_30default_config_static_selectorELNS0_4arch9wavefront6targetE0EEEvSS_.num_vgpr, 0
	.set _ZN7rocprim17ROCPRIM_400000_NS6detail17trampoline_kernelINS0_14default_configENS1_21merge_config_selectorINS0_5tupleIJiiEEENS0_10empty_typeEEEZNS1_10merge_implIS3_NS0_12zip_iteratorINS5_IJN6thrust23THRUST_200600_302600_NS10device_ptrIiEESE_EEEEESG_SG_PS7_SH_SH_NSC_11hip_rocprim7__merge17predicate_wrapperIiiNSC_4lessIiEEEEEE10hipError_tPvRmT0_T1_T2_T3_T4_T5_mmT6_P12ihipStream_tbEUlT_E0_NS1_11comp_targetILNS1_3genE10ELNS1_11target_archE1200ELNS1_3gpuE4ELNS1_3repE0EEENS1_30default_config_static_selectorELNS0_4arch9wavefront6targetE0EEEvSS_.num_agpr, 0
	.set _ZN7rocprim17ROCPRIM_400000_NS6detail17trampoline_kernelINS0_14default_configENS1_21merge_config_selectorINS0_5tupleIJiiEEENS0_10empty_typeEEEZNS1_10merge_implIS3_NS0_12zip_iteratorINS5_IJN6thrust23THRUST_200600_302600_NS10device_ptrIiEESE_EEEEESG_SG_PS7_SH_SH_NSC_11hip_rocprim7__merge17predicate_wrapperIiiNSC_4lessIiEEEEEE10hipError_tPvRmT0_T1_T2_T3_T4_T5_mmT6_P12ihipStream_tbEUlT_E0_NS1_11comp_targetILNS1_3genE10ELNS1_11target_archE1200ELNS1_3gpuE4ELNS1_3repE0EEENS1_30default_config_static_selectorELNS0_4arch9wavefront6targetE0EEEvSS_.numbered_sgpr, 0
	.set _ZN7rocprim17ROCPRIM_400000_NS6detail17trampoline_kernelINS0_14default_configENS1_21merge_config_selectorINS0_5tupleIJiiEEENS0_10empty_typeEEEZNS1_10merge_implIS3_NS0_12zip_iteratorINS5_IJN6thrust23THRUST_200600_302600_NS10device_ptrIiEESE_EEEEESG_SG_PS7_SH_SH_NSC_11hip_rocprim7__merge17predicate_wrapperIiiNSC_4lessIiEEEEEE10hipError_tPvRmT0_T1_T2_T3_T4_T5_mmT6_P12ihipStream_tbEUlT_E0_NS1_11comp_targetILNS1_3genE10ELNS1_11target_archE1200ELNS1_3gpuE4ELNS1_3repE0EEENS1_30default_config_static_selectorELNS0_4arch9wavefront6targetE0EEEvSS_.num_named_barrier, 0
	.set _ZN7rocprim17ROCPRIM_400000_NS6detail17trampoline_kernelINS0_14default_configENS1_21merge_config_selectorINS0_5tupleIJiiEEENS0_10empty_typeEEEZNS1_10merge_implIS3_NS0_12zip_iteratorINS5_IJN6thrust23THRUST_200600_302600_NS10device_ptrIiEESE_EEEEESG_SG_PS7_SH_SH_NSC_11hip_rocprim7__merge17predicate_wrapperIiiNSC_4lessIiEEEEEE10hipError_tPvRmT0_T1_T2_T3_T4_T5_mmT6_P12ihipStream_tbEUlT_E0_NS1_11comp_targetILNS1_3genE10ELNS1_11target_archE1200ELNS1_3gpuE4ELNS1_3repE0EEENS1_30default_config_static_selectorELNS0_4arch9wavefront6targetE0EEEvSS_.private_seg_size, 0
	.set _ZN7rocprim17ROCPRIM_400000_NS6detail17trampoline_kernelINS0_14default_configENS1_21merge_config_selectorINS0_5tupleIJiiEEENS0_10empty_typeEEEZNS1_10merge_implIS3_NS0_12zip_iteratorINS5_IJN6thrust23THRUST_200600_302600_NS10device_ptrIiEESE_EEEEESG_SG_PS7_SH_SH_NSC_11hip_rocprim7__merge17predicate_wrapperIiiNSC_4lessIiEEEEEE10hipError_tPvRmT0_T1_T2_T3_T4_T5_mmT6_P12ihipStream_tbEUlT_E0_NS1_11comp_targetILNS1_3genE10ELNS1_11target_archE1200ELNS1_3gpuE4ELNS1_3repE0EEENS1_30default_config_static_selectorELNS0_4arch9wavefront6targetE0EEEvSS_.uses_vcc, 0
	.set _ZN7rocprim17ROCPRIM_400000_NS6detail17trampoline_kernelINS0_14default_configENS1_21merge_config_selectorINS0_5tupleIJiiEEENS0_10empty_typeEEEZNS1_10merge_implIS3_NS0_12zip_iteratorINS5_IJN6thrust23THRUST_200600_302600_NS10device_ptrIiEESE_EEEEESG_SG_PS7_SH_SH_NSC_11hip_rocprim7__merge17predicate_wrapperIiiNSC_4lessIiEEEEEE10hipError_tPvRmT0_T1_T2_T3_T4_T5_mmT6_P12ihipStream_tbEUlT_E0_NS1_11comp_targetILNS1_3genE10ELNS1_11target_archE1200ELNS1_3gpuE4ELNS1_3repE0EEENS1_30default_config_static_selectorELNS0_4arch9wavefront6targetE0EEEvSS_.uses_flat_scratch, 0
	.set _ZN7rocprim17ROCPRIM_400000_NS6detail17trampoline_kernelINS0_14default_configENS1_21merge_config_selectorINS0_5tupleIJiiEEENS0_10empty_typeEEEZNS1_10merge_implIS3_NS0_12zip_iteratorINS5_IJN6thrust23THRUST_200600_302600_NS10device_ptrIiEESE_EEEEESG_SG_PS7_SH_SH_NSC_11hip_rocprim7__merge17predicate_wrapperIiiNSC_4lessIiEEEEEE10hipError_tPvRmT0_T1_T2_T3_T4_T5_mmT6_P12ihipStream_tbEUlT_E0_NS1_11comp_targetILNS1_3genE10ELNS1_11target_archE1200ELNS1_3gpuE4ELNS1_3repE0EEENS1_30default_config_static_selectorELNS0_4arch9wavefront6targetE0EEEvSS_.has_dyn_sized_stack, 0
	.set _ZN7rocprim17ROCPRIM_400000_NS6detail17trampoline_kernelINS0_14default_configENS1_21merge_config_selectorINS0_5tupleIJiiEEENS0_10empty_typeEEEZNS1_10merge_implIS3_NS0_12zip_iteratorINS5_IJN6thrust23THRUST_200600_302600_NS10device_ptrIiEESE_EEEEESG_SG_PS7_SH_SH_NSC_11hip_rocprim7__merge17predicate_wrapperIiiNSC_4lessIiEEEEEE10hipError_tPvRmT0_T1_T2_T3_T4_T5_mmT6_P12ihipStream_tbEUlT_E0_NS1_11comp_targetILNS1_3genE10ELNS1_11target_archE1200ELNS1_3gpuE4ELNS1_3repE0EEENS1_30default_config_static_selectorELNS0_4arch9wavefront6targetE0EEEvSS_.has_recursion, 0
	.set _ZN7rocprim17ROCPRIM_400000_NS6detail17trampoline_kernelINS0_14default_configENS1_21merge_config_selectorINS0_5tupleIJiiEEENS0_10empty_typeEEEZNS1_10merge_implIS3_NS0_12zip_iteratorINS5_IJN6thrust23THRUST_200600_302600_NS10device_ptrIiEESE_EEEEESG_SG_PS7_SH_SH_NSC_11hip_rocprim7__merge17predicate_wrapperIiiNSC_4lessIiEEEEEE10hipError_tPvRmT0_T1_T2_T3_T4_T5_mmT6_P12ihipStream_tbEUlT_E0_NS1_11comp_targetILNS1_3genE10ELNS1_11target_archE1200ELNS1_3gpuE4ELNS1_3repE0EEENS1_30default_config_static_selectorELNS0_4arch9wavefront6targetE0EEEvSS_.has_indirect_call, 0
	.section	.AMDGPU.csdata,"",@progbits
; Kernel info:
; codeLenInByte = 0
; TotalNumSgprs: 0
; NumVgprs: 0
; ScratchSize: 0
; MemoryBound: 0
; FloatMode: 240
; IeeeMode: 1
; LDSByteSize: 0 bytes/workgroup (compile time only)
; SGPRBlocks: 0
; VGPRBlocks: 0
; NumSGPRsForWavesPerEU: 1
; NumVGPRsForWavesPerEU: 1
; Occupancy: 16
; WaveLimiterHint : 0
; COMPUTE_PGM_RSRC2:SCRATCH_EN: 0
; COMPUTE_PGM_RSRC2:USER_SGPR: 6
; COMPUTE_PGM_RSRC2:TRAP_HANDLER: 0
; COMPUTE_PGM_RSRC2:TGID_X_EN: 1
; COMPUTE_PGM_RSRC2:TGID_Y_EN: 0
; COMPUTE_PGM_RSRC2:TGID_Z_EN: 0
; COMPUTE_PGM_RSRC2:TIDIG_COMP_CNT: 0
	.section	.text._ZN7rocprim17ROCPRIM_400000_NS6detail17trampoline_kernelINS0_14default_configENS1_21merge_config_selectorINS0_5tupleIJiiEEENS0_10empty_typeEEEZNS1_10merge_implIS3_NS0_12zip_iteratorINS5_IJN6thrust23THRUST_200600_302600_NS10device_ptrIiEESE_EEEEESG_SG_PS7_SH_SH_NSC_11hip_rocprim7__merge17predicate_wrapperIiiNSC_4lessIiEEEEEE10hipError_tPvRmT0_T1_T2_T3_T4_T5_mmT6_P12ihipStream_tbEUlT_E0_NS1_11comp_targetILNS1_3genE9ELNS1_11target_archE1100ELNS1_3gpuE3ELNS1_3repE0EEENS1_30default_config_static_selectorELNS0_4arch9wavefront6targetE0EEEvSS_,"axG",@progbits,_ZN7rocprim17ROCPRIM_400000_NS6detail17trampoline_kernelINS0_14default_configENS1_21merge_config_selectorINS0_5tupleIJiiEEENS0_10empty_typeEEEZNS1_10merge_implIS3_NS0_12zip_iteratorINS5_IJN6thrust23THRUST_200600_302600_NS10device_ptrIiEESE_EEEEESG_SG_PS7_SH_SH_NSC_11hip_rocprim7__merge17predicate_wrapperIiiNSC_4lessIiEEEEEE10hipError_tPvRmT0_T1_T2_T3_T4_T5_mmT6_P12ihipStream_tbEUlT_E0_NS1_11comp_targetILNS1_3genE9ELNS1_11target_archE1100ELNS1_3gpuE3ELNS1_3repE0EEENS1_30default_config_static_selectorELNS0_4arch9wavefront6targetE0EEEvSS_,comdat
	.protected	_ZN7rocprim17ROCPRIM_400000_NS6detail17trampoline_kernelINS0_14default_configENS1_21merge_config_selectorINS0_5tupleIJiiEEENS0_10empty_typeEEEZNS1_10merge_implIS3_NS0_12zip_iteratorINS5_IJN6thrust23THRUST_200600_302600_NS10device_ptrIiEESE_EEEEESG_SG_PS7_SH_SH_NSC_11hip_rocprim7__merge17predicate_wrapperIiiNSC_4lessIiEEEEEE10hipError_tPvRmT0_T1_T2_T3_T4_T5_mmT6_P12ihipStream_tbEUlT_E0_NS1_11comp_targetILNS1_3genE9ELNS1_11target_archE1100ELNS1_3gpuE3ELNS1_3repE0EEENS1_30default_config_static_selectorELNS0_4arch9wavefront6targetE0EEEvSS_ ; -- Begin function _ZN7rocprim17ROCPRIM_400000_NS6detail17trampoline_kernelINS0_14default_configENS1_21merge_config_selectorINS0_5tupleIJiiEEENS0_10empty_typeEEEZNS1_10merge_implIS3_NS0_12zip_iteratorINS5_IJN6thrust23THRUST_200600_302600_NS10device_ptrIiEESE_EEEEESG_SG_PS7_SH_SH_NSC_11hip_rocprim7__merge17predicate_wrapperIiiNSC_4lessIiEEEEEE10hipError_tPvRmT0_T1_T2_T3_T4_T5_mmT6_P12ihipStream_tbEUlT_E0_NS1_11comp_targetILNS1_3genE9ELNS1_11target_archE1100ELNS1_3gpuE3ELNS1_3repE0EEENS1_30default_config_static_selectorELNS0_4arch9wavefront6targetE0EEEvSS_
	.globl	_ZN7rocprim17ROCPRIM_400000_NS6detail17trampoline_kernelINS0_14default_configENS1_21merge_config_selectorINS0_5tupleIJiiEEENS0_10empty_typeEEEZNS1_10merge_implIS3_NS0_12zip_iteratorINS5_IJN6thrust23THRUST_200600_302600_NS10device_ptrIiEESE_EEEEESG_SG_PS7_SH_SH_NSC_11hip_rocprim7__merge17predicate_wrapperIiiNSC_4lessIiEEEEEE10hipError_tPvRmT0_T1_T2_T3_T4_T5_mmT6_P12ihipStream_tbEUlT_E0_NS1_11comp_targetILNS1_3genE9ELNS1_11target_archE1100ELNS1_3gpuE3ELNS1_3repE0EEENS1_30default_config_static_selectorELNS0_4arch9wavefront6targetE0EEEvSS_
	.p2align	8
	.type	_ZN7rocprim17ROCPRIM_400000_NS6detail17trampoline_kernelINS0_14default_configENS1_21merge_config_selectorINS0_5tupleIJiiEEENS0_10empty_typeEEEZNS1_10merge_implIS3_NS0_12zip_iteratorINS5_IJN6thrust23THRUST_200600_302600_NS10device_ptrIiEESE_EEEEESG_SG_PS7_SH_SH_NSC_11hip_rocprim7__merge17predicate_wrapperIiiNSC_4lessIiEEEEEE10hipError_tPvRmT0_T1_T2_T3_T4_T5_mmT6_P12ihipStream_tbEUlT_E0_NS1_11comp_targetILNS1_3genE9ELNS1_11target_archE1100ELNS1_3gpuE3ELNS1_3repE0EEENS1_30default_config_static_selectorELNS0_4arch9wavefront6targetE0EEEvSS_,@function
_ZN7rocprim17ROCPRIM_400000_NS6detail17trampoline_kernelINS0_14default_configENS1_21merge_config_selectorINS0_5tupleIJiiEEENS0_10empty_typeEEEZNS1_10merge_implIS3_NS0_12zip_iteratorINS5_IJN6thrust23THRUST_200600_302600_NS10device_ptrIiEESE_EEEEESG_SG_PS7_SH_SH_NSC_11hip_rocprim7__merge17predicate_wrapperIiiNSC_4lessIiEEEEEE10hipError_tPvRmT0_T1_T2_T3_T4_T5_mmT6_P12ihipStream_tbEUlT_E0_NS1_11comp_targetILNS1_3genE9ELNS1_11target_archE1100ELNS1_3gpuE3ELNS1_3repE0EEENS1_30default_config_static_selectorELNS0_4arch9wavefront6targetE0EEEvSS_: ; @_ZN7rocprim17ROCPRIM_400000_NS6detail17trampoline_kernelINS0_14default_configENS1_21merge_config_selectorINS0_5tupleIJiiEEENS0_10empty_typeEEEZNS1_10merge_implIS3_NS0_12zip_iteratorINS5_IJN6thrust23THRUST_200600_302600_NS10device_ptrIiEESE_EEEEESG_SG_PS7_SH_SH_NSC_11hip_rocprim7__merge17predicate_wrapperIiiNSC_4lessIiEEEEEE10hipError_tPvRmT0_T1_T2_T3_T4_T5_mmT6_P12ihipStream_tbEUlT_E0_NS1_11comp_targetILNS1_3genE9ELNS1_11target_archE1100ELNS1_3gpuE3ELNS1_3repE0EEENS1_30default_config_static_selectorELNS0_4arch9wavefront6targetE0EEEvSS_
; %bb.0:
	.section	.rodata,"a",@progbits
	.p2align	6, 0x0
	.amdhsa_kernel _ZN7rocprim17ROCPRIM_400000_NS6detail17trampoline_kernelINS0_14default_configENS1_21merge_config_selectorINS0_5tupleIJiiEEENS0_10empty_typeEEEZNS1_10merge_implIS3_NS0_12zip_iteratorINS5_IJN6thrust23THRUST_200600_302600_NS10device_ptrIiEESE_EEEEESG_SG_PS7_SH_SH_NSC_11hip_rocprim7__merge17predicate_wrapperIiiNSC_4lessIiEEEEEE10hipError_tPvRmT0_T1_T2_T3_T4_T5_mmT6_P12ihipStream_tbEUlT_E0_NS1_11comp_targetILNS1_3genE9ELNS1_11target_archE1100ELNS1_3gpuE3ELNS1_3repE0EEENS1_30default_config_static_selectorELNS0_4arch9wavefront6targetE0EEEvSS_
		.amdhsa_group_segment_fixed_size 0
		.amdhsa_private_segment_fixed_size 0
		.amdhsa_kernarg_size 112
		.amdhsa_user_sgpr_count 6
		.amdhsa_user_sgpr_private_segment_buffer 1
		.amdhsa_user_sgpr_dispatch_ptr 0
		.amdhsa_user_sgpr_queue_ptr 0
		.amdhsa_user_sgpr_kernarg_segment_ptr 1
		.amdhsa_user_sgpr_dispatch_id 0
		.amdhsa_user_sgpr_flat_scratch_init 0
		.amdhsa_user_sgpr_private_segment_size 0
		.amdhsa_wavefront_size32 1
		.amdhsa_uses_dynamic_stack 0
		.amdhsa_system_sgpr_private_segment_wavefront_offset 0
		.amdhsa_system_sgpr_workgroup_id_x 1
		.amdhsa_system_sgpr_workgroup_id_y 0
		.amdhsa_system_sgpr_workgroup_id_z 0
		.amdhsa_system_sgpr_workgroup_info 0
		.amdhsa_system_vgpr_workitem_id 0
		.amdhsa_next_free_vgpr 1
		.amdhsa_next_free_sgpr 1
		.amdhsa_reserve_vcc 0
		.amdhsa_reserve_flat_scratch 0
		.amdhsa_float_round_mode_32 0
		.amdhsa_float_round_mode_16_64 0
		.amdhsa_float_denorm_mode_32 3
		.amdhsa_float_denorm_mode_16_64 3
		.amdhsa_dx10_clamp 1
		.amdhsa_ieee_mode 1
		.amdhsa_fp16_overflow 0
		.amdhsa_workgroup_processor_mode 1
		.amdhsa_memory_ordered 1
		.amdhsa_forward_progress 1
		.amdhsa_shared_vgpr_count 0
		.amdhsa_exception_fp_ieee_invalid_op 0
		.amdhsa_exception_fp_denorm_src 0
		.amdhsa_exception_fp_ieee_div_zero 0
		.amdhsa_exception_fp_ieee_overflow 0
		.amdhsa_exception_fp_ieee_underflow 0
		.amdhsa_exception_fp_ieee_inexact 0
		.amdhsa_exception_int_div_zero 0
	.end_amdhsa_kernel
	.section	.text._ZN7rocprim17ROCPRIM_400000_NS6detail17trampoline_kernelINS0_14default_configENS1_21merge_config_selectorINS0_5tupleIJiiEEENS0_10empty_typeEEEZNS1_10merge_implIS3_NS0_12zip_iteratorINS5_IJN6thrust23THRUST_200600_302600_NS10device_ptrIiEESE_EEEEESG_SG_PS7_SH_SH_NSC_11hip_rocprim7__merge17predicate_wrapperIiiNSC_4lessIiEEEEEE10hipError_tPvRmT0_T1_T2_T3_T4_T5_mmT6_P12ihipStream_tbEUlT_E0_NS1_11comp_targetILNS1_3genE9ELNS1_11target_archE1100ELNS1_3gpuE3ELNS1_3repE0EEENS1_30default_config_static_selectorELNS0_4arch9wavefront6targetE0EEEvSS_,"axG",@progbits,_ZN7rocprim17ROCPRIM_400000_NS6detail17trampoline_kernelINS0_14default_configENS1_21merge_config_selectorINS0_5tupleIJiiEEENS0_10empty_typeEEEZNS1_10merge_implIS3_NS0_12zip_iteratorINS5_IJN6thrust23THRUST_200600_302600_NS10device_ptrIiEESE_EEEEESG_SG_PS7_SH_SH_NSC_11hip_rocprim7__merge17predicate_wrapperIiiNSC_4lessIiEEEEEE10hipError_tPvRmT0_T1_T2_T3_T4_T5_mmT6_P12ihipStream_tbEUlT_E0_NS1_11comp_targetILNS1_3genE9ELNS1_11target_archE1100ELNS1_3gpuE3ELNS1_3repE0EEENS1_30default_config_static_selectorELNS0_4arch9wavefront6targetE0EEEvSS_,comdat
.Lfunc_end640:
	.size	_ZN7rocprim17ROCPRIM_400000_NS6detail17trampoline_kernelINS0_14default_configENS1_21merge_config_selectorINS0_5tupleIJiiEEENS0_10empty_typeEEEZNS1_10merge_implIS3_NS0_12zip_iteratorINS5_IJN6thrust23THRUST_200600_302600_NS10device_ptrIiEESE_EEEEESG_SG_PS7_SH_SH_NSC_11hip_rocprim7__merge17predicate_wrapperIiiNSC_4lessIiEEEEEE10hipError_tPvRmT0_T1_T2_T3_T4_T5_mmT6_P12ihipStream_tbEUlT_E0_NS1_11comp_targetILNS1_3genE9ELNS1_11target_archE1100ELNS1_3gpuE3ELNS1_3repE0EEENS1_30default_config_static_selectorELNS0_4arch9wavefront6targetE0EEEvSS_, .Lfunc_end640-_ZN7rocprim17ROCPRIM_400000_NS6detail17trampoline_kernelINS0_14default_configENS1_21merge_config_selectorINS0_5tupleIJiiEEENS0_10empty_typeEEEZNS1_10merge_implIS3_NS0_12zip_iteratorINS5_IJN6thrust23THRUST_200600_302600_NS10device_ptrIiEESE_EEEEESG_SG_PS7_SH_SH_NSC_11hip_rocprim7__merge17predicate_wrapperIiiNSC_4lessIiEEEEEE10hipError_tPvRmT0_T1_T2_T3_T4_T5_mmT6_P12ihipStream_tbEUlT_E0_NS1_11comp_targetILNS1_3genE9ELNS1_11target_archE1100ELNS1_3gpuE3ELNS1_3repE0EEENS1_30default_config_static_selectorELNS0_4arch9wavefront6targetE0EEEvSS_
                                        ; -- End function
	.set _ZN7rocprim17ROCPRIM_400000_NS6detail17trampoline_kernelINS0_14default_configENS1_21merge_config_selectorINS0_5tupleIJiiEEENS0_10empty_typeEEEZNS1_10merge_implIS3_NS0_12zip_iteratorINS5_IJN6thrust23THRUST_200600_302600_NS10device_ptrIiEESE_EEEEESG_SG_PS7_SH_SH_NSC_11hip_rocprim7__merge17predicate_wrapperIiiNSC_4lessIiEEEEEE10hipError_tPvRmT0_T1_T2_T3_T4_T5_mmT6_P12ihipStream_tbEUlT_E0_NS1_11comp_targetILNS1_3genE9ELNS1_11target_archE1100ELNS1_3gpuE3ELNS1_3repE0EEENS1_30default_config_static_selectorELNS0_4arch9wavefront6targetE0EEEvSS_.num_vgpr, 0
	.set _ZN7rocprim17ROCPRIM_400000_NS6detail17trampoline_kernelINS0_14default_configENS1_21merge_config_selectorINS0_5tupleIJiiEEENS0_10empty_typeEEEZNS1_10merge_implIS3_NS0_12zip_iteratorINS5_IJN6thrust23THRUST_200600_302600_NS10device_ptrIiEESE_EEEEESG_SG_PS7_SH_SH_NSC_11hip_rocprim7__merge17predicate_wrapperIiiNSC_4lessIiEEEEEE10hipError_tPvRmT0_T1_T2_T3_T4_T5_mmT6_P12ihipStream_tbEUlT_E0_NS1_11comp_targetILNS1_3genE9ELNS1_11target_archE1100ELNS1_3gpuE3ELNS1_3repE0EEENS1_30default_config_static_selectorELNS0_4arch9wavefront6targetE0EEEvSS_.num_agpr, 0
	.set _ZN7rocprim17ROCPRIM_400000_NS6detail17trampoline_kernelINS0_14default_configENS1_21merge_config_selectorINS0_5tupleIJiiEEENS0_10empty_typeEEEZNS1_10merge_implIS3_NS0_12zip_iteratorINS5_IJN6thrust23THRUST_200600_302600_NS10device_ptrIiEESE_EEEEESG_SG_PS7_SH_SH_NSC_11hip_rocprim7__merge17predicate_wrapperIiiNSC_4lessIiEEEEEE10hipError_tPvRmT0_T1_T2_T3_T4_T5_mmT6_P12ihipStream_tbEUlT_E0_NS1_11comp_targetILNS1_3genE9ELNS1_11target_archE1100ELNS1_3gpuE3ELNS1_3repE0EEENS1_30default_config_static_selectorELNS0_4arch9wavefront6targetE0EEEvSS_.numbered_sgpr, 0
	.set _ZN7rocprim17ROCPRIM_400000_NS6detail17trampoline_kernelINS0_14default_configENS1_21merge_config_selectorINS0_5tupleIJiiEEENS0_10empty_typeEEEZNS1_10merge_implIS3_NS0_12zip_iteratorINS5_IJN6thrust23THRUST_200600_302600_NS10device_ptrIiEESE_EEEEESG_SG_PS7_SH_SH_NSC_11hip_rocprim7__merge17predicate_wrapperIiiNSC_4lessIiEEEEEE10hipError_tPvRmT0_T1_T2_T3_T4_T5_mmT6_P12ihipStream_tbEUlT_E0_NS1_11comp_targetILNS1_3genE9ELNS1_11target_archE1100ELNS1_3gpuE3ELNS1_3repE0EEENS1_30default_config_static_selectorELNS0_4arch9wavefront6targetE0EEEvSS_.num_named_barrier, 0
	.set _ZN7rocprim17ROCPRIM_400000_NS6detail17trampoline_kernelINS0_14default_configENS1_21merge_config_selectorINS0_5tupleIJiiEEENS0_10empty_typeEEEZNS1_10merge_implIS3_NS0_12zip_iteratorINS5_IJN6thrust23THRUST_200600_302600_NS10device_ptrIiEESE_EEEEESG_SG_PS7_SH_SH_NSC_11hip_rocprim7__merge17predicate_wrapperIiiNSC_4lessIiEEEEEE10hipError_tPvRmT0_T1_T2_T3_T4_T5_mmT6_P12ihipStream_tbEUlT_E0_NS1_11comp_targetILNS1_3genE9ELNS1_11target_archE1100ELNS1_3gpuE3ELNS1_3repE0EEENS1_30default_config_static_selectorELNS0_4arch9wavefront6targetE0EEEvSS_.private_seg_size, 0
	.set _ZN7rocprim17ROCPRIM_400000_NS6detail17trampoline_kernelINS0_14default_configENS1_21merge_config_selectorINS0_5tupleIJiiEEENS0_10empty_typeEEEZNS1_10merge_implIS3_NS0_12zip_iteratorINS5_IJN6thrust23THRUST_200600_302600_NS10device_ptrIiEESE_EEEEESG_SG_PS7_SH_SH_NSC_11hip_rocprim7__merge17predicate_wrapperIiiNSC_4lessIiEEEEEE10hipError_tPvRmT0_T1_T2_T3_T4_T5_mmT6_P12ihipStream_tbEUlT_E0_NS1_11comp_targetILNS1_3genE9ELNS1_11target_archE1100ELNS1_3gpuE3ELNS1_3repE0EEENS1_30default_config_static_selectorELNS0_4arch9wavefront6targetE0EEEvSS_.uses_vcc, 0
	.set _ZN7rocprim17ROCPRIM_400000_NS6detail17trampoline_kernelINS0_14default_configENS1_21merge_config_selectorINS0_5tupleIJiiEEENS0_10empty_typeEEEZNS1_10merge_implIS3_NS0_12zip_iteratorINS5_IJN6thrust23THRUST_200600_302600_NS10device_ptrIiEESE_EEEEESG_SG_PS7_SH_SH_NSC_11hip_rocprim7__merge17predicate_wrapperIiiNSC_4lessIiEEEEEE10hipError_tPvRmT0_T1_T2_T3_T4_T5_mmT6_P12ihipStream_tbEUlT_E0_NS1_11comp_targetILNS1_3genE9ELNS1_11target_archE1100ELNS1_3gpuE3ELNS1_3repE0EEENS1_30default_config_static_selectorELNS0_4arch9wavefront6targetE0EEEvSS_.uses_flat_scratch, 0
	.set _ZN7rocprim17ROCPRIM_400000_NS6detail17trampoline_kernelINS0_14default_configENS1_21merge_config_selectorINS0_5tupleIJiiEEENS0_10empty_typeEEEZNS1_10merge_implIS3_NS0_12zip_iteratorINS5_IJN6thrust23THRUST_200600_302600_NS10device_ptrIiEESE_EEEEESG_SG_PS7_SH_SH_NSC_11hip_rocprim7__merge17predicate_wrapperIiiNSC_4lessIiEEEEEE10hipError_tPvRmT0_T1_T2_T3_T4_T5_mmT6_P12ihipStream_tbEUlT_E0_NS1_11comp_targetILNS1_3genE9ELNS1_11target_archE1100ELNS1_3gpuE3ELNS1_3repE0EEENS1_30default_config_static_selectorELNS0_4arch9wavefront6targetE0EEEvSS_.has_dyn_sized_stack, 0
	.set _ZN7rocprim17ROCPRIM_400000_NS6detail17trampoline_kernelINS0_14default_configENS1_21merge_config_selectorINS0_5tupleIJiiEEENS0_10empty_typeEEEZNS1_10merge_implIS3_NS0_12zip_iteratorINS5_IJN6thrust23THRUST_200600_302600_NS10device_ptrIiEESE_EEEEESG_SG_PS7_SH_SH_NSC_11hip_rocprim7__merge17predicate_wrapperIiiNSC_4lessIiEEEEEE10hipError_tPvRmT0_T1_T2_T3_T4_T5_mmT6_P12ihipStream_tbEUlT_E0_NS1_11comp_targetILNS1_3genE9ELNS1_11target_archE1100ELNS1_3gpuE3ELNS1_3repE0EEENS1_30default_config_static_selectorELNS0_4arch9wavefront6targetE0EEEvSS_.has_recursion, 0
	.set _ZN7rocprim17ROCPRIM_400000_NS6detail17trampoline_kernelINS0_14default_configENS1_21merge_config_selectorINS0_5tupleIJiiEEENS0_10empty_typeEEEZNS1_10merge_implIS3_NS0_12zip_iteratorINS5_IJN6thrust23THRUST_200600_302600_NS10device_ptrIiEESE_EEEEESG_SG_PS7_SH_SH_NSC_11hip_rocprim7__merge17predicate_wrapperIiiNSC_4lessIiEEEEEE10hipError_tPvRmT0_T1_T2_T3_T4_T5_mmT6_P12ihipStream_tbEUlT_E0_NS1_11comp_targetILNS1_3genE9ELNS1_11target_archE1100ELNS1_3gpuE3ELNS1_3repE0EEENS1_30default_config_static_selectorELNS0_4arch9wavefront6targetE0EEEvSS_.has_indirect_call, 0
	.section	.AMDGPU.csdata,"",@progbits
; Kernel info:
; codeLenInByte = 0
; TotalNumSgprs: 0
; NumVgprs: 0
; ScratchSize: 0
; MemoryBound: 0
; FloatMode: 240
; IeeeMode: 1
; LDSByteSize: 0 bytes/workgroup (compile time only)
; SGPRBlocks: 0
; VGPRBlocks: 0
; NumSGPRsForWavesPerEU: 1
; NumVGPRsForWavesPerEU: 1
; Occupancy: 16
; WaveLimiterHint : 0
; COMPUTE_PGM_RSRC2:SCRATCH_EN: 0
; COMPUTE_PGM_RSRC2:USER_SGPR: 6
; COMPUTE_PGM_RSRC2:TRAP_HANDLER: 0
; COMPUTE_PGM_RSRC2:TGID_X_EN: 1
; COMPUTE_PGM_RSRC2:TGID_Y_EN: 0
; COMPUTE_PGM_RSRC2:TGID_Z_EN: 0
; COMPUTE_PGM_RSRC2:TIDIG_COMP_CNT: 0
	.section	.text._ZN7rocprim17ROCPRIM_400000_NS6detail17trampoline_kernelINS0_14default_configENS1_21merge_config_selectorINS0_5tupleIJiiEEENS0_10empty_typeEEEZNS1_10merge_implIS3_NS0_12zip_iteratorINS5_IJN6thrust23THRUST_200600_302600_NS10device_ptrIiEESE_EEEEESG_SG_PS7_SH_SH_NSC_11hip_rocprim7__merge17predicate_wrapperIiiNSC_4lessIiEEEEEE10hipError_tPvRmT0_T1_T2_T3_T4_T5_mmT6_P12ihipStream_tbEUlT_E0_NS1_11comp_targetILNS1_3genE8ELNS1_11target_archE1030ELNS1_3gpuE2ELNS1_3repE0EEENS1_30default_config_static_selectorELNS0_4arch9wavefront6targetE0EEEvSS_,"axG",@progbits,_ZN7rocprim17ROCPRIM_400000_NS6detail17trampoline_kernelINS0_14default_configENS1_21merge_config_selectorINS0_5tupleIJiiEEENS0_10empty_typeEEEZNS1_10merge_implIS3_NS0_12zip_iteratorINS5_IJN6thrust23THRUST_200600_302600_NS10device_ptrIiEESE_EEEEESG_SG_PS7_SH_SH_NSC_11hip_rocprim7__merge17predicate_wrapperIiiNSC_4lessIiEEEEEE10hipError_tPvRmT0_T1_T2_T3_T4_T5_mmT6_P12ihipStream_tbEUlT_E0_NS1_11comp_targetILNS1_3genE8ELNS1_11target_archE1030ELNS1_3gpuE2ELNS1_3repE0EEENS1_30default_config_static_selectorELNS0_4arch9wavefront6targetE0EEEvSS_,comdat
	.protected	_ZN7rocprim17ROCPRIM_400000_NS6detail17trampoline_kernelINS0_14default_configENS1_21merge_config_selectorINS0_5tupleIJiiEEENS0_10empty_typeEEEZNS1_10merge_implIS3_NS0_12zip_iteratorINS5_IJN6thrust23THRUST_200600_302600_NS10device_ptrIiEESE_EEEEESG_SG_PS7_SH_SH_NSC_11hip_rocprim7__merge17predicate_wrapperIiiNSC_4lessIiEEEEEE10hipError_tPvRmT0_T1_T2_T3_T4_T5_mmT6_P12ihipStream_tbEUlT_E0_NS1_11comp_targetILNS1_3genE8ELNS1_11target_archE1030ELNS1_3gpuE2ELNS1_3repE0EEENS1_30default_config_static_selectorELNS0_4arch9wavefront6targetE0EEEvSS_ ; -- Begin function _ZN7rocprim17ROCPRIM_400000_NS6detail17trampoline_kernelINS0_14default_configENS1_21merge_config_selectorINS0_5tupleIJiiEEENS0_10empty_typeEEEZNS1_10merge_implIS3_NS0_12zip_iteratorINS5_IJN6thrust23THRUST_200600_302600_NS10device_ptrIiEESE_EEEEESG_SG_PS7_SH_SH_NSC_11hip_rocprim7__merge17predicate_wrapperIiiNSC_4lessIiEEEEEE10hipError_tPvRmT0_T1_T2_T3_T4_T5_mmT6_P12ihipStream_tbEUlT_E0_NS1_11comp_targetILNS1_3genE8ELNS1_11target_archE1030ELNS1_3gpuE2ELNS1_3repE0EEENS1_30default_config_static_selectorELNS0_4arch9wavefront6targetE0EEEvSS_
	.globl	_ZN7rocprim17ROCPRIM_400000_NS6detail17trampoline_kernelINS0_14default_configENS1_21merge_config_selectorINS0_5tupleIJiiEEENS0_10empty_typeEEEZNS1_10merge_implIS3_NS0_12zip_iteratorINS5_IJN6thrust23THRUST_200600_302600_NS10device_ptrIiEESE_EEEEESG_SG_PS7_SH_SH_NSC_11hip_rocprim7__merge17predicate_wrapperIiiNSC_4lessIiEEEEEE10hipError_tPvRmT0_T1_T2_T3_T4_T5_mmT6_P12ihipStream_tbEUlT_E0_NS1_11comp_targetILNS1_3genE8ELNS1_11target_archE1030ELNS1_3gpuE2ELNS1_3repE0EEENS1_30default_config_static_selectorELNS0_4arch9wavefront6targetE0EEEvSS_
	.p2align	8
	.type	_ZN7rocprim17ROCPRIM_400000_NS6detail17trampoline_kernelINS0_14default_configENS1_21merge_config_selectorINS0_5tupleIJiiEEENS0_10empty_typeEEEZNS1_10merge_implIS3_NS0_12zip_iteratorINS5_IJN6thrust23THRUST_200600_302600_NS10device_ptrIiEESE_EEEEESG_SG_PS7_SH_SH_NSC_11hip_rocprim7__merge17predicate_wrapperIiiNSC_4lessIiEEEEEE10hipError_tPvRmT0_T1_T2_T3_T4_T5_mmT6_P12ihipStream_tbEUlT_E0_NS1_11comp_targetILNS1_3genE8ELNS1_11target_archE1030ELNS1_3gpuE2ELNS1_3repE0EEENS1_30default_config_static_selectorELNS0_4arch9wavefront6targetE0EEEvSS_,@function
_ZN7rocprim17ROCPRIM_400000_NS6detail17trampoline_kernelINS0_14default_configENS1_21merge_config_selectorINS0_5tupleIJiiEEENS0_10empty_typeEEEZNS1_10merge_implIS3_NS0_12zip_iteratorINS5_IJN6thrust23THRUST_200600_302600_NS10device_ptrIiEESE_EEEEESG_SG_PS7_SH_SH_NSC_11hip_rocprim7__merge17predicate_wrapperIiiNSC_4lessIiEEEEEE10hipError_tPvRmT0_T1_T2_T3_T4_T5_mmT6_P12ihipStream_tbEUlT_E0_NS1_11comp_targetILNS1_3genE8ELNS1_11target_archE1030ELNS1_3gpuE2ELNS1_3repE0EEENS1_30default_config_static_selectorELNS0_4arch9wavefront6targetE0EEEvSS_: ; @_ZN7rocprim17ROCPRIM_400000_NS6detail17trampoline_kernelINS0_14default_configENS1_21merge_config_selectorINS0_5tupleIJiiEEENS0_10empty_typeEEEZNS1_10merge_implIS3_NS0_12zip_iteratorINS5_IJN6thrust23THRUST_200600_302600_NS10device_ptrIiEESE_EEEEESG_SG_PS7_SH_SH_NSC_11hip_rocprim7__merge17predicate_wrapperIiiNSC_4lessIiEEEEEE10hipError_tPvRmT0_T1_T2_T3_T4_T5_mmT6_P12ihipStream_tbEUlT_E0_NS1_11comp_targetILNS1_3genE8ELNS1_11target_archE1030ELNS1_3gpuE2ELNS1_3repE0EEENS1_30default_config_static_selectorELNS0_4arch9wavefront6targetE0EEEvSS_
; %bb.0:
	s_clause 0x2
	s_load_dwordx4 s[0:3], s[4:5], 0x58
	s_load_dwordx8 s[8:15], s[4:5], 0x8
	s_load_dwordx4 s[16:19], s[4:5], 0x28
	s_lshl_b32 s20, s6, 12
	s_mov_b32 s25, 0
	v_mov_b32_e32 v1, 0
	s_mov_b32 s27, s25
	s_waitcnt lgkmcnt(0)
	s_add_i32 s22, s2, s0
	s_add_i32 s0, s22, 0xfff
	s_lshr_b32 s0, s0, 12
	s_min_u32 s1, s6, s0
	s_lshl_b32 s1, s1, 2
	s_load_dword s24, s[8:9], s1 offset:0x0
	s_add_i32 s1, s6, 1
	s_min_u32 s0, s1, s0
	s_lshl_b32 s0, s0, 2
	s_load_dword s21, s[8:9], s0 offset:0x0
	s_add_i32 s0, s20, 0x1000
	s_min_u32 s23, s22, s0
	s_waitcnt lgkmcnt(0)
	s_lshl_b64 s[2:3], s[24:25], 2
	s_sub_i32 s26, s20, s24
	s_add_u32 s0, s10, s2
	s_addc_u32 s1, s11, s3
	s_add_u32 s2, s12, s2
	s_addc_u32 s3, s13, s3
	s_lshl_b64 s[8:9], s[26:27], 2
	s_mov_b32 s13, exec_lo
	s_add_u32 s6, s14, s8
	s_addc_u32 s7, s15, s9
	s_add_u32 s8, s16, s8
	s_addc_u32 s9, s17, s9
	s_add_i32 s10, s26, s21
	s_sub_i32 s15, s21, s24
	s_sub_i32 s12, s23, s10
	s_add_u32 s10, s12, s15
	s_addc_u32 s11, 0, 0
	v_cmpx_le_u32_e64 s15, v0
	s_xor_b32 s13, exec_lo, s13
	s_cbranch_execz .LBB641_4
; %bb.1:
	s_mov_b32 s14, exec_lo
	v_cmpx_gt_u64_e64 s[10:11], v[0:1]
	s_cbranch_execz .LBB641_3
; %bb.2:
	v_subrev_nc_u32_e32 v1, s15, v0
	v_lshlrev_b32_e32 v3, 3, v0
	v_lshlrev_b32_e32 v2, 2, v1
	s_clause 0x1
	global_load_dword v1, v2, s[6:7]
	global_load_dword v2, v2, s[8:9]
	s_waitcnt vmcnt(0)
	ds_write_b64 v3, v[1:2]
.LBB641_3:
	s_or_b32 exec_lo, exec_lo, s14
.LBB641_4:
	s_or_saveexec_b32 s13, s13
	v_lshlrev_b32_e32 v50, 2, v0
	v_lshlrev_b32_e32 v51, 3, v0
	s_xor_b32 exec_lo, exec_lo, s13
	s_cbranch_execz .LBB641_6
; %bb.5:
	s_clause 0x1
	global_load_dword v1, v50, s[0:1]
	global_load_dword v2, v50, s[2:3]
	s_waitcnt vmcnt(0)
	ds_write_b64 v51, v[1:2]
.LBB641_6:
	s_or_b32 exec_lo, exec_lo, s13
	v_or_b32_e32 v1, 0x100, v0
	v_mov_b32_e32 v2, 0
	s_mov_b32 s13, exec_lo
	v_cmpx_le_u32_e64 s15, v1
	s_xor_b32 s13, exec_lo, s13
	s_cbranch_execz .LBB641_10
; %bb.7:
	s_mov_b32 s14, exec_lo
	v_cmpx_gt_u64_e64 s[10:11], v[1:2]
	s_cbranch_execz .LBB641_9
; %bb.8:
	v_sub_co_u32 v2, s16, v0, s15
	v_sub_co_ci_u32_e64 v3, null, 0, 0, s16
	v_lshlrev_b64 v[2:3], 2, v[2:3]
	v_add_co_u32 v4, vcc_lo, s6, v2
	v_add_co_ci_u32_e64 v5, null, s7, v3, vcc_lo
	v_add_co_u32 v2, vcc_lo, s8, v2
	v_add_co_ci_u32_e64 v3, null, s9, v3, vcc_lo
	global_load_dword v4, v[4:5], off offset:1024
	global_load_dword v5, v[2:3], off offset:1024
	s_waitcnt vmcnt(0)
	ds_write_b64 v51, v[4:5] offset:2048
.LBB641_9:
	s_or_b32 exec_lo, exec_lo, s14
.LBB641_10:
	s_andn2_saveexec_b32 s13, s13
	s_cbranch_execz .LBB641_12
; %bb.11:
	s_clause 0x1
	global_load_dword v2, v50, s[0:1] offset:1024
	global_load_dword v3, v50, s[2:3] offset:1024
	s_waitcnt vmcnt(0)
	ds_write_b64 v51, v[2:3] offset:2048
.LBB641_12:
	s_or_b32 exec_lo, exec_lo, s13
	v_or_b32_e32 v2, 0x200, v0
	v_mov_b32_e32 v3, 0
	s_mov_b32 s13, exec_lo
	v_cmpx_le_u32_e64 s15, v2
	s_xor_b32 s13, exec_lo, s13
	s_cbranch_execz .LBB641_16
; %bb.13:
	s_mov_b32 s14, exec_lo
	v_cmpx_gt_u64_e64 s[10:11], v[2:3]
	s_cbranch_execz .LBB641_15
; %bb.14:
	v_subrev_nc_u32_e32 v3, s15, v2
	v_lshlrev_b32_e32 v4, 2, v3
	s_clause 0x1
	global_load_dword v3, v4, s[6:7]
	global_load_dword v4, v4, s[8:9]
	s_waitcnt vmcnt(0)
	ds_write_b64 v51, v[3:4] offset:4096
.LBB641_15:
	s_or_b32 exec_lo, exec_lo, s14
.LBB641_16:
	s_andn2_saveexec_b32 s13, s13
	s_cbranch_execz .LBB641_18
; %bb.17:
	v_lshlrev_b32_e32 v4, 2, v2
	s_clause 0x1
	global_load_dword v3, v4, s[0:1]
	global_load_dword v4, v4, s[2:3]
	s_waitcnt vmcnt(0)
	ds_write_b64 v51, v[3:4] offset:4096
.LBB641_18:
	s_or_b32 exec_lo, exec_lo, s13
	v_or_b32_e32 v3, 0x300, v0
	v_mov_b32_e32 v4, 0
	s_mov_b32 s13, exec_lo
	v_cmpx_le_u32_e64 s15, v3
	s_xor_b32 s13, exec_lo, s13
	s_cbranch_execz .LBB641_22
; %bb.19:
	s_mov_b32 s14, exec_lo
	v_cmpx_gt_u64_e64 s[10:11], v[3:4]
	s_cbranch_execz .LBB641_21
; %bb.20:
	v_subrev_nc_u32_e32 v4, s15, v3
	v_lshlrev_b32_e32 v5, 2, v4
	s_clause 0x1
	global_load_dword v4, v5, s[6:7]
	global_load_dword v5, v5, s[8:9]
	s_waitcnt vmcnt(0)
	ds_write_b64 v51, v[4:5] offset:6144
.LBB641_21:
	s_or_b32 exec_lo, exec_lo, s14
.LBB641_22:
	s_andn2_saveexec_b32 s13, s13
	s_cbranch_execz .LBB641_24
; %bb.23:
	v_lshlrev_b32_e32 v5, 2, v3
	s_clause 0x1
	global_load_dword v4, v5, s[0:1]
	global_load_dword v5, v5, s[2:3]
	s_waitcnt vmcnt(0)
	ds_write_b64 v51, v[4:5] offset:6144
.LBB641_24:
	;; [unrolled: 32-line block ×13, first 2 shown]
	s_or_b32 exec_lo, exec_lo, s13
	v_or_b32_e32 v15, 0xf00, v0
	v_mov_b32_e32 v16, 0
	s_mov_b32 s13, exec_lo
	v_cmpx_le_u32_e64 s15, v15
	s_xor_b32 s13, exec_lo, s13
	s_cbranch_execz .LBB641_94
; %bb.91:
	v_cmp_gt_u64_e32 vcc_lo, s[10:11], v[15:16]
	s_and_saveexec_b32 s10, vcc_lo
	s_cbranch_execz .LBB641_93
; %bb.92:
	v_subrev_nc_u32_e32 v16, s15, v15
	v_lshlrev_b32_e32 v17, 2, v16
	s_clause 0x1
	global_load_dword v16, v17, s[6:7]
	global_load_dword v17, v17, s[8:9]
	s_waitcnt vmcnt(0)
	ds_write_b64 v51, v[16:17] offset:30720
.LBB641_93:
	s_or_b32 exec_lo, exec_lo, s10
.LBB641_94:
	s_or_saveexec_b32 s6, s13
	s_load_dwordx2 s[16:17], s[4:5], 0x38
	s_xor_b32 exec_lo, exec_lo, s6
	s_cbranch_execz .LBB641_96
; %bb.95:
	v_lshlrev_b32_e32 v17, 2, v15
	s_clause 0x1
	global_load_dword v16, v17, s[0:1]
	global_load_dword v17, v17, s[2:3]
	s_waitcnt vmcnt(0)
	ds_write_b64 v51, v[16:17] offset:30720
.LBB641_96:
	s_or_b32 exec_lo, exec_lo, s6
	v_lshlrev_b32_e32 v48, 4, v0
	s_mov_b32 s0, exec_lo
	s_waitcnt lgkmcnt(0)
	s_barrier
	buffer_gl0_inv
	v_sub_nc_u32_e64 v49, v48, s12 clamp
	v_min_u32_e32 v16, s15, v48
	v_cmpx_lt_u32_e64 v49, v16
	s_cbranch_execz .LBB641_100
; %bb.97:
	v_lshlrev_b32_e32 v17, 3, v48
	s_mov_b32 s1, 0
	v_lshl_add_u32 v17, s15, 3, v17
	.p2align	6
.LBB641_98:                             ; =>This Inner Loop Header: Depth=1
	v_add_nc_u32_e32 v18, v16, v49
	v_lshrrev_b32_e32 v18, 1, v18
	v_not_b32_e32 v19, v18
	v_lshlrev_b32_e32 v20, 3, v18
	v_add_nc_u32_e32 v21, 1, v18
	v_lshl_add_u32 v19, v19, 3, v17
	ds_read_b32 v20, v20
	ds_read_b32 v19, v19
	s_waitcnt lgkmcnt(0)
	v_cmp_lt_i32_e32 vcc_lo, v19, v20
	v_cndmask_b32_e32 v16, v16, v18, vcc_lo
	v_cndmask_b32_e32 v49, v21, v49, vcc_lo
	v_cmp_ge_u32_e32 vcc_lo, v49, v16
	s_or_b32 s1, vcc_lo, s1
	s_andn2_b32 exec_lo, exec_lo, s1
	s_cbranch_execnz .LBB641_98
; %bb.99:
	s_or_b32 exec_lo, exec_lo, s1
.LBB641_100:
	s_or_b32 exec_lo, exec_lo, s0
	v_add_nc_u32_e32 v18, s15, v48
	s_add_i32 s23, s12, s15
	v_cmp_ge_u32_e32 vcc_lo, s15, v49
	v_mov_b32_e32 v16, 0
	v_mov_b32_e32 v20, 0
	v_sub_nc_u32_e32 v52, v18, v49
	v_mov_b32_e32 v18, 0
	v_mov_b32_e32 v22, 0
	;; [unrolled: 1-line block ×4, first 2 shown]
	v_cmp_ge_u32_e64 s0, s23, v52
	v_mov_b32_e32 v36, 0
	v_mov_b32_e32 v38, 0
	;; [unrolled: 1-line block ×26, first 2 shown]
	s_or_b32 s0, vcc_lo, s0
	s_and_saveexec_b32 s21, s0
	s_cbranch_execz .LBB641_106
; %bb.101:
	v_cmp_gt_u32_e32 vcc_lo, s15, v49
	v_mov_b32_e32 v16, 0
	v_mov_b32_e32 v18, 0
	;; [unrolled: 1-line block ×3, first 2 shown]
	s_and_saveexec_b32 s0, vcc_lo
; %bb.102:
	v_lshlrev_b32_e32 v17, 3, v49
	ds_read_b64 v[18:19], v17
; %bb.103:
	s_or_b32 exec_lo, exec_lo, s0
	v_cmp_le_u32_e64 s0, s23, v52
	v_mov_b32_e32 v17, 0
	s_mov_b32 s2, exec_lo
	v_cmpx_gt_u32_e64 s23, v52
; %bb.104:
	v_lshlrev_b32_e32 v16, 3, v52
	ds_read_b64 v[16:17], v16
; %bb.105:
	s_or_b32 exec_lo, exec_lo, s2
	s_waitcnt lgkmcnt(0)
	v_cmp_ge_i32_e64 s1, v16, v18
	v_mov_b32_e32 v42, s15
	s_and_b32 s1, vcc_lo, s1
	s_or_b32 vcc_lo, s0, s1
	v_cndmask_b32_e32 v20, v52, v49, vcc_lo
	v_cndmask_b32_e32 v21, s23, v42, vcc_lo
	v_add_nc_u32_e32 v22, 1, v20
	v_add_nc_u32_e32 v20, -1, v21
	v_cndmask_b32_e32 v24, v49, v22, vcc_lo
	v_min_u32_e32 v20, v22, v20
	v_cndmask_b32_e32 v25, v22, v52, vcc_lo
	v_cmp_gt_u32_e64 s0, s15, v24
	v_lshlrev_b32_e32 v20, 3, v20
	v_cmp_le_u32_e64 s2, s23, v25
	ds_read_b64 v[20:21], v20
	s_waitcnt lgkmcnt(0)
	v_cndmask_b32_e32 v47, v20, v16, vcc_lo
	v_cndmask_b32_e32 v20, v18, v20, vcc_lo
	;; [unrolled: 1-line block ×3, first 2 shown]
	v_cmp_ge_i32_e64 s1, v47, v20
	s_and_b32 s0, s0, s1
	s_or_b32 s0, s2, s0
	v_cndmask_b32_e64 v22, v25, v24, s0
	v_cndmask_b32_e64 v23, s23, v42, s0
	v_add_nc_u32_e32 v26, 1, v22
	v_add_nc_u32_e32 v22, -1, v23
	v_cndmask_b32_e64 v27, v24, v26, s0
	v_min_u32_e32 v22, v26, v22
	v_cndmask_b32_e64 v26, v26, v25, s0
	v_cmp_gt_u32_e64 s1, s15, v27
	v_lshlrev_b32_e32 v22, 3, v22
	v_cmp_le_u32_e64 s3, s23, v26
	ds_read_b64 v[22:23], v22
	s_waitcnt lgkmcnt(0)
	v_cndmask_b32_e64 v49, v22, v47, s0
	v_cndmask_b32_e64 v22, v20, v22, s0
	;; [unrolled: 1-line block ×3, first 2 shown]
	v_cmp_ge_i32_e64 s2, v49, v22
	s_and_b32 s1, s1, s2
	s_or_b32 s1, s3, s1
	v_cndmask_b32_e64 v24, v26, v27, s1
	v_cndmask_b32_e64 v25, s23, v42, s1
	;; [unrolled: 1-line block ×3, first 2 shown]
	v_add_nc_u32_e32 v28, 1, v24
	v_add_nc_u32_e32 v24, -1, v25
	v_cndmask_b32_e64 v29, v27, v28, s1
	v_min_u32_e32 v24, v28, v24
	v_cndmask_b32_e64 v28, v28, v26, s1
	v_cmp_gt_u32_e64 s2, s15, v29
	v_lshlrev_b32_e32 v24, 3, v24
	v_cmp_le_u32_e64 s4, s23, v28
	ds_read_b64 v[24:25], v24
	s_waitcnt lgkmcnt(0)
	v_cndmask_b32_e64 v54, v24, v49, s1
	v_cndmask_b32_e64 v24, v22, v24, s1
	v_cmp_ge_i32_e64 s3, v54, v24
	s_and_b32 s2, s2, s3
	s_or_b32 s2, s4, s2
	v_cndmask_b32_e64 v26, v28, v29, s2
	v_cndmask_b32_e64 v27, s23, v42, s2
	v_cndmask_b32_e64 v22, v54, v24, s2
	v_add_nc_u32_e32 v30, 1, v26
	v_add_nc_u32_e32 v26, -1, v27
	v_cndmask_b32_e64 v31, v29, v30, s2
	v_min_u32_e32 v26, v30, v26
	v_cndmask_b32_e64 v30, v30, v28, s2
	v_cmp_gt_u32_e64 s3, s15, v31
	v_lshlrev_b32_e32 v26, 3, v26
	v_cmp_le_u32_e64 s5, s23, v30
	ds_read_b64 v[26:27], v26
	s_waitcnt lgkmcnt(0)
	v_cndmask_b32_e64 v55, v26, v54, s2
	v_cndmask_b32_e64 v26, v24, v26, s2
	v_cmp_ge_i32_e64 s4, v55, v26
	s_and_b32 s3, s3, s4
	s_or_b32 s3, s5, s3
	v_cndmask_b32_e64 v28, v30, v31, s3
	v_cndmask_b32_e64 v29, s23, v42, s3
	v_add_nc_u32_e32 v32, 1, v28
	v_add_nc_u32_e32 v28, -1, v29
	v_cndmask_b32_e64 v33, v31, v32, s3
	v_min_u32_e32 v28, v32, v28
	v_cndmask_b32_e64 v32, v32, v30, s3
	v_cmp_gt_u32_e64 s4, s15, v33
	v_lshlrev_b32_e32 v28, 3, v28
	v_cmp_le_u32_e64 s6, s23, v32
	ds_read_b64 v[28:29], v28
	s_waitcnt lgkmcnt(0)
	v_cndmask_b32_e64 v56, v28, v55, s3
	v_cndmask_b32_e64 v28, v26, v28, s3
	v_cmp_ge_i32_e64 s5, v56, v28
	s_and_b32 s4, s4, s5
	s_or_b32 s4, s6, s4
	v_cndmask_b32_e64 v30, v32, v33, s4
	v_cndmask_b32_e64 v31, s23, v42, s4
	;; [unrolled: 17-line block ×4, first 2 shown]
	v_add_nc_u32_e32 v38, 1, v34
	v_add_nc_u32_e32 v34, -1, v35
	v_cndmask_b32_e64 v39, v37, v38, s6
	v_min_u32_e32 v34, v38, v34
	v_cmp_gt_u32_e64 s7, s15, v39
	v_lshlrev_b32_e32 v34, 3, v34
	ds_read_b64 v[34:35], v34
	s_waitcnt lgkmcnt(0)
	v_cndmask_b32_e64 v59, v34, v58, s6
	v_cndmask_b32_e64 v60, v32, v34, s6
	;; [unrolled: 1-line block ×3, first 2 shown]
	v_cmp_ge_i32_e64 s8, v59, v60
	v_cmp_le_u32_e64 s9, s23, v34
	s_and_b32 s7, s7, s8
	s_or_b32 s7, s9, s7
	v_cndmask_b32_e64 v36, v34, v39, s7
	v_cndmask_b32_e64 v37, s23, v42, s7
	v_add_nc_u32_e32 v38, 1, v36
	v_add_nc_u32_e32 v36, -1, v37
	v_cndmask_b32_e64 v40, v39, v38, s7
	v_min_u32_e32 v36, v38, v36
	v_cndmask_b32_e64 v34, v38, v34, s7
	v_cmp_gt_u32_e64 s8, s15, v40
	v_lshlrev_b32_e32 v36, 3, v36
	v_cmp_le_u32_e64 s10, s23, v34
	ds_read_b64 v[36:37], v36
	s_waitcnt lgkmcnt(0)
	v_cndmask_b32_e64 v61, v36, v59, s7
	v_cndmask_b32_e64 v62, v60, v36, s7
	v_cmp_ge_i32_e64 s9, v61, v62
	s_and_b32 s8, s8, s9
	s_or_b32 s8, s10, s8
	v_cndmask_b32_e64 v36, v34, v40, s8
	v_cndmask_b32_e64 v38, s23, v42, s8
	v_add_nc_u32_e32 v36, 1, v36
	v_add_nc_u32_e32 v38, -1, v38
	v_cndmask_b32_e64 v43, v40, v36, s8
	v_min_u32_e32 v38, v36, v38
	v_cndmask_b32_e64 v34, v36, v34, s8
	v_cmp_gt_u32_e64 s9, s15, v43
	v_lshlrev_b32_e32 v38, 3, v38
	v_cmp_le_u32_e64 s11, s23, v34
	ds_read_b64 v[38:39], v38
	s_waitcnt lgkmcnt(0)
	v_cndmask_b32_e64 v63, v38, v61, s8
	v_cndmask_b32_e64 v64, v62, v38, s8
	v_cmp_ge_i32_e64 s10, v63, v64
	s_and_b32 s9, s9, s10
	s_or_b32 s9, s11, s9
	v_cndmask_b32_e64 v36, v34, v43, s9
	v_cndmask_b32_e64 v38, s23, v42, s9
	v_add_nc_u32_e32 v36, 1, v36
	v_add_nc_u32_e32 v38, -1, v38
	v_cndmask_b32_e64 v34, v36, v34, s9
	v_min_u32_e32 v38, v36, v38
	v_cmp_le_u32_e64 s12, s23, v34
	v_lshlrev_b32_e32 v38, 3, v38
	ds_read_b64 v[40:41], v38
	v_cndmask_b32_e64 v38, v43, v36, s9
	v_cmp_gt_u32_e64 s10, s15, v38
	s_waitcnt lgkmcnt(0)
	v_cndmask_b32_e64 v65, v40, v63, s9
	v_cndmask_b32_e64 v66, v64, v40, s9
	v_cmp_ge_i32_e64 s11, v65, v66
	s_and_b32 s10, s10, s11
	s_or_b32 s10, s12, s10
	v_cndmask_b32_e64 v36, v34, v38, s10
	v_cndmask_b32_e64 v40, s23, v42, s10
	v_add_nc_u32_e32 v36, 1, v36
	v_add_nc_u32_e32 v40, -1, v40
	v_cndmask_b32_e64 v38, v38, v36, s10
	v_min_u32_e32 v40, v36, v40
	v_cndmask_b32_e64 v34, v36, v34, s10
	v_cmp_gt_u32_e64 s11, s15, v38
	v_lshlrev_b32_e32 v40, 3, v40
	v_cmp_le_u32_e64 s13, s23, v34
	ds_read_b64 v[43:44], v40
	s_waitcnt lgkmcnt(0)
	v_cndmask_b32_e64 v67, v43, v65, s10
	v_cndmask_b32_e64 v68, v66, v43, s10
	v_cndmask_b32_e32 v43, v21, v17, vcc_lo
	v_cndmask_b32_e32 v21, v19, v21, vcc_lo
	;; [unrolled: 1-line block ×3, first 2 shown]
	v_cmp_ge_i32_e64 s12, v67, v68
	s_and_b32 s11, s11, s12
	s_or_b32 s11, s13, s11
	v_cndmask_b32_e64 v36, v34, v38, s11
	v_cndmask_b32_e64 v40, s23, v42, s11
	v_add_nc_u32_e32 v36, 1, v36
	v_add_nc_u32_e32 v40, -1, v40
	v_cndmask_b32_e64 v38, v38, v36, s11
	v_min_u32_e32 v40, v36, v40
	v_cndmask_b32_e64 v34, v36, v34, s11
	v_cmp_gt_u32_e64 s12, s15, v38
	v_lshlrev_b32_e32 v40, 3, v40
	v_cmp_le_u32_e64 s14, s23, v34
	ds_read_b64 v[45:46], v40
	s_waitcnt lgkmcnt(0)
	v_cndmask_b32_e64 v69, v45, v67, s11
	v_cndmask_b32_e64 v45, v68, v45, s11
	v_cmp_ge_i32_e64 s13, v69, v45
	s_and_b32 s12, s12, s13
	s_or_b32 s12, s14, s12
	v_cndmask_b32_e64 v36, v34, v38, s12
	v_cndmask_b32_e64 v40, s23, v42, s12
	v_add_nc_u32_e32 v36, 1, v36
	v_add_nc_u32_e32 v40, -1, v40
	v_cndmask_b32_e64 v47, v38, v36, s12
	v_min_u32_e32 v40, v36, v40
	v_cmp_gt_u32_e32 vcc_lo, s15, v47
	v_lshlrev_b32_e32 v40, 3, v40
	ds_read_b64 v[52:53], v40
	v_cndmask_b32_e64 v40, v23, v43, s0
	v_cndmask_b32_e64 v23, v21, v23, s0
	;; [unrolled: 1-line block ×11, first 2 shown]
	v_cmp_le_u32_e64 s1, s23, v70
	v_cndmask_b32_e64 v29, v25, v29, s3
	s_waitcnt lgkmcnt(0)
	v_cndmask_b32_e64 v49, v52, v69, s12
	v_cndmask_b32_e64 v52, v45, v52, s12
	;; [unrolled: 1-line block ×6, first 2 shown]
	v_cmp_ge_i32_e64 s0, v49, v52
	v_cndmask_b32_e64 v40, v33, v36, s5
	v_cndmask_b32_e64 v33, v31, v33, s5
	s_and_b32 s0, vcc_lo, s0
	s_or_b32 vcc_lo, s1, s0
	v_cndmask_b32_e64 v43, v33, v35, s6
	v_cndmask_b32_e32 v34, v70, v47, vcc_lo
	v_cndmask_b32_e32 v38, s23, v42, vcc_lo
	v_cndmask_b32_e64 v42, v35, v40, s6
	v_cndmask_b32_e64 v35, v27, v29, s4
	v_add_nc_u32_e32 v71, 1, v34
	v_add_nc_u32_e32 v26, -1, v38
	v_cndmask_b32_e64 v34, v56, v28, s4
	v_cndmask_b32_e64 v27, v37, v42, s7
	;; [unrolled: 1-line block ×4, first 2 shown]
	v_min_u32_e32 v26, v71, v26
	v_cndmask_b32_e64 v36, v57, v30, s5
	v_cndmask_b32_e64 v29, v39, v27, s8
	;; [unrolled: 1-line block ×4, first 2 shown]
	v_lshlrev_b32_e32 v26, 3, v26
	v_cndmask_b32_e64 v39, v40, v33, s6
	v_cndmask_b32_e64 v31, v41, v29, s9
	;; [unrolled: 1-line block ×4, first 2 shown]
	ds_read_b64 v[54:55], v26
	v_cndmask_b32_e64 v43, v27, v28, s8
	v_cndmask_b32_e64 v33, v44, v31, s10
	;; [unrolled: 1-line block ×9, first 2 shown]
	v_cndmask_b32_e32 v44, v47, v71, vcc_lo
	v_cndmask_b32_e32 v47, v71, v70, vcc_lo
	v_cndmask_b32_e64 v45, v53, v56, s12
	v_cndmask_b32_e64 v33, v56, v46, s12
	;; [unrolled: 1-line block ×3, first 2 shown]
	v_cmp_gt_u32_e64 s0, s15, v44
	v_cmp_le_u32_e64 s2, s23, v47
	v_cndmask_b32_e32 v44, v49, v52, vcc_lo
	v_cndmask_b32_e64 v40, v59, v60, s7
	v_cndmask_b32_e64 v42, v61, v62, s8
	s_waitcnt lgkmcnt(0)
	v_cndmask_b32_e32 v57, v54, v49, vcc_lo
	v_cndmask_b32_e32 v54, v52, v54, vcc_lo
	;; [unrolled: 1-line block ×5, first 2 shown]
	v_cndmask_b32_e64 v26, v63, v64, s9
	v_cmp_ge_i32_e64 s1, v57, v54
	v_cndmask_b32_e64 v28, v65, v66, s10
	v_cndmask_b32_e64 v30, v67, v68, s11
	s_and_b32 s0, s0, s1
	s_or_b32 vcc_lo, s2, s0
	v_cndmask_b32_e32 v47, v53, v47, vcc_lo
	v_cndmask_b32_e32 v46, v57, v54, vcc_lo
.LBB641_106:
	s_or_b32 exec_lo, exec_lo, s21
	v_and_b32_e32 v49, 0x3f8, v50
	s_mov_b32 s21, 0
	s_sub_i32 s4, s22, s20
	s_lshl_b64 s[2:3], s[20:21], 2
	v_lshl_add_u32 v48, v48, 3, v49
	s_add_u32 s0, s18, s2
	s_addc_u32 s1, s19, s3
	s_barrier
	buffer_gl0_inv
	ds_write2_b64 v48, v[16:17], v[20:21] offset1:1
	ds_write2_b64 v48, v[18:19], v[22:23] offset0:2 offset1:3
	ds_write2_b64 v48, v[24:25], v[34:35] offset0:4 offset1:5
	;; [unrolled: 1-line block ×4, first 2 shown]
	v_lshrrev_b32_e32 v40, 2, v1
	v_lshrrev_b32_e32 v39, 2, v2
	;; [unrolled: 1-line block ×15, first 2 shown]
	s_add_u32 s2, s16, s2
	s_addc_u32 s3, s17, s3
	s_cmpk_gt_u32 s4, 0xfff
	ds_write2_b64 v48, v[26:27], v[28:29] offset0:10 offset1:11
	ds_write2_b64 v48, v[30:31], v[32:33] offset0:12 offset1:13
	;; [unrolled: 1-line block ×3, first 2 shown]
	s_waitcnt lgkmcnt(0)
	s_cbranch_scc0 .LBB641_108
; %bb.107:
	v_lshrrev_b32_e32 v16, 2, v0
	v_and_b32_e32 v17, 0x78, v40
	v_and_b32_e32 v26, 0xf8, v39
	;; [unrolled: 1-line block ×5, first 2 shown]
	v_add_nc_u32_e32 v17, v17, v51
	v_and_b32_e32 v42, 0x1f8, v36
	v_add_nc_u32_e32 v30, v26, v51
	v_and_b32_e32 v43, 0x1f8, v35
	v_add_nc_u32_e32 v16, v16, v51
	v_add_nc_u32_e32 v32, v27, v51
	v_and_b32_e32 v44, 0x1f8, v34
	s_barrier
	buffer_gl0_inv
	ds_read_b64 v[26:27], v16
	ds_read_b64 v[28:29], v17 offset:2048
	ds_read_b64 v[30:31], v30 offset:4096
	;; [unrolled: 1-line block ×3, first 2 shown]
	v_add_nc_u32_e32 v16, v41, v51
	v_and_b32_e32 v52, 0x3f8, v24
	v_add_nc_u32_e32 v17, v42, v51
	v_and_b32_e32 v49, 0x3f8, v25
	v_and_b32_e32 v53, 0x3f8, v23
	v_add_nc_u32_e32 v45, v43, v51
	v_add_nc_u32_e32 v47, v44, v51
	ds_read_b64 v[41:42], v16 offset:8192
	ds_read_b64 v[43:44], v17 offset:10240
	;; [unrolled: 1-line block ×4, first 2 shown]
	v_add_nc_u32_e32 v17, v52, v51
	v_and_b32_e32 v52, 0x3f8, v22
	v_add_nc_u32_e32 v16, v49, v51
	v_add_nc_u32_e32 v49, v53, v51
	v_and_b32_e32 v53, 0x3f8, v21
	v_and_b32_e32 v54, 0x3f8, v20
	;; [unrolled: 1-line block ×4, first 2 shown]
	v_add_nc_u32_e32 v58, v52, v51
	v_add_nc_u32_e32 v60, v53, v51
	;; [unrolled: 1-line block ×5, first 2 shown]
	ds_read_b64 v[52:53], v16 offset:16384
	ds_read_b64 v[54:55], v17 offset:18432
	;; [unrolled: 1-line block ×8, first 2 shown]
	v_add_co_u32 v49, s5, s0, v50
	v_add_co_ci_u32_e64 v70, null, s1, 0, s5
	v_add_co_u32 v71, s5, s2, v50
	s_waitcnt lgkmcnt(15)
	global_store_dword v50, v26, s[0:1]
	global_store_dword v50, v27, s[2:3]
	s_waitcnt lgkmcnt(14)
	global_store_dword v50, v28, s[0:1] offset:1024
	global_store_dword v50, v29, s[2:3] offset:1024
	v_add_co_u32 v26, vcc_lo, 0x800, v49
	v_add_co_ci_u32_e64 v72, null, s3, 0, s5
	v_add_co_ci_u32_e64 v27, null, 0, v70, vcc_lo
	v_add_co_u32 v28, vcc_lo, v49, 0x1000
	v_add_co_ci_u32_e64 v29, null, 0, v70, vcc_lo
	v_add_co_u32 v66, vcc_lo, v71, 0x1000
	;; [unrolled: 2-line block ×3, first 2 shown]
	v_add_co_ci_u32_e64 v69, null, 0, v72, vcc_lo
	s_waitcnt lgkmcnt(13)
	global_store_dword v[28:29], v30, off offset:-2048
	global_store_dword v[66:67], v31, off offset:-2048
	s_waitcnt lgkmcnt(12)
	global_store_dword v[26:27], v32, off offset:1024
	global_store_dword v[68:69], v33, off offset:1024
	v_add_co_u32 v26, vcc_lo, 0x1000, v49
	v_add_co_ci_u32_e64 v27, null, 0, v70, vcc_lo
	s_waitcnt lgkmcnt(11)
	global_store_dword v[28:29], v41, off
	v_add_co_u32 v28, vcc_lo, 0x1000, v71
	v_add_co_ci_u32_e64 v29, null, 0, v72, vcc_lo
	global_store_dword v[66:67], v42, off
	s_waitcnt lgkmcnt(10)
	global_store_dword v[26:27], v43, off offset:1024
	v_add_co_u32 v26, vcc_lo, 0x1800, v49
	v_add_co_ci_u32_e64 v27, null, 0, v70, vcc_lo
	v_add_co_u32 v30, vcc_lo, v49, 0x2000
	v_add_co_ci_u32_e64 v31, null, 0, v70, vcc_lo
	;; [unrolled: 2-line block ×4, first 2 shown]
	global_store_dword v[28:29], v44, off offset:1024
	s_waitcnt lgkmcnt(9)
	global_store_dword v[30:31], v45, off offset:-2048
	global_store_dword v[32:33], v46, off offset:-2048
	s_waitcnt lgkmcnt(8)
	global_store_dword v[26:27], v47, off offset:1024
	global_store_dword v[41:42], v48, off offset:1024
	v_add_co_u32 v26, vcc_lo, 0x2000, v49
	v_add_co_ci_u32_e64 v27, null, 0, v70, vcc_lo
	v_add_co_u32 v28, vcc_lo, 0x2000, v71
	s_waitcnt lgkmcnt(7)
	global_store_dword v[30:31], v52, off
	v_add_co_ci_u32_e64 v29, null, 0, v72, vcc_lo
	global_store_dword v[32:33], v53, off
	s_waitcnt lgkmcnt(6)
	global_store_dword v[26:27], v54, off offset:1024
	v_add_co_u32 v26, vcc_lo, 0x2800, v49
	v_add_co_ci_u32_e64 v27, null, 0, v70, vcc_lo
	v_add_co_u32 v30, vcc_lo, v49, 0x3000
	v_add_co_ci_u32_e64 v31, null, 0, v70, vcc_lo
	;; [unrolled: 2-line block ×4, first 2 shown]
	global_store_dword v[28:29], v55, off offset:1024
	s_waitcnt lgkmcnt(5)
	global_store_dword v[30:31], v56, off offset:-2048
	global_store_dword v[32:33], v57, off offset:-2048
	s_waitcnt lgkmcnt(4)
	global_store_dword v[26:27], v58, off offset:1024
	global_store_dword v[41:42], v59, off offset:1024
	v_add_co_u32 v26, vcc_lo, 0x3000, v49
	v_add_co_ci_u32_e64 v27, null, 0, v70, vcc_lo
	v_add_co_u32 v28, vcc_lo, 0x3000, v71
	s_waitcnt lgkmcnt(3)
	global_store_dword v[30:31], v60, off
	v_add_co_ci_u32_e64 v29, null, 0, v72, vcc_lo
	v_add_co_u32 v30, vcc_lo, 0x3800, v49
	global_store_dword v[32:33], v61, off
	v_add_co_ci_u32_e64 v31, null, 0, v70, vcc_lo
	v_add_co_u32 v32, vcc_lo, 0x3800, v71
	v_add_co_ci_u32_e64 v33, null, 0, v72, vcc_lo
	s_waitcnt lgkmcnt(2)
	global_store_dword v[26:27], v62, off offset:1024
	global_store_dword v[28:29], v63, off offset:1024
	s_waitcnt lgkmcnt(1)
	global_store_dword v[30:31], v64, off
	s_mov_b32 s21, -1
	global_store_dword v[32:33], v65, off
	s_cbranch_execz .LBB641_109
	s_branch .LBB641_126
.LBB641_108:
                                        ; implicit-def: $vgpr17
.LBB641_109:
	s_waitcnt lgkmcnt(0)
	v_and_b32_e32 v16, 0x78, v40
	v_and_b32_e32 v17, 0xf8, v39
	;; [unrolled: 1-line block ×5, first 2 shown]
	v_add_nc_u32_e32 v16, v16, v51
	v_add_nc_u32_e32 v17, v17, v51
	v_and_b32_e32 v29, 0x1f8, v35
	v_add_nc_u32_e32 v26, v26, v51
	v_and_b32_e32 v30, 0x1f8, v34
	;; [unrolled: 2-line block ×3, first 2 shown]
	s_barrier
	s_waitcnt_vscnt null, 0x0
	buffer_gl0_inv
	ds_read_b64 v[48:49], v16 offset:2048
	ds_read_b64 v[46:47], v17 offset:4096
	;; [unrolled: 1-line block ×4, first 2 shown]
	v_add_nc_u32_e32 v16, v28, v51
	v_and_b32_e32 v24, 0x3f8, v24
	v_add_nc_u32_e32 v17, v29, v51
	v_and_b32_e32 v23, 0x3f8, v23
	;; [unrolled: 2-line block ×4, first 2 shown]
	v_and_b32_e32 v20, 0x3f8, v20
	v_and_b32_e32 v19, 0x3f8, v19
	ds_read_b64 v[40:41], v16 offset:10240
	ds_read_b64 v[38:39], v17 offset:12288
	ds_read_b64 v[36:37], v26 offset:14336
	ds_read_b64 v[32:33], v25 offset:16384
	v_add_nc_u32_e32 v16, v24, v51
	v_and_b32_e32 v18, 0x3f8, v18
	v_add_nc_u32_e32 v17, v23, v51
	v_add_nc_u32_e32 v22, v22, v51
	;; [unrolled: 1-line block ×6, first 2 shown]
	ds_read_b64 v[34:35], v16 offset:18432
	ds_read_b64 v[30:31], v17 offset:20480
	;; [unrolled: 1-line block ×7, first 2 shown]
	v_add_co_u32 v22, s5, s0, v50
	v_add_co_ci_u32_e64 v23, null, s1, 0, s5
	v_add_co_u32 v20, s5, s2, v50
	v_add_co_ci_u32_e64 v21, null, s3, 0, s5
	s_mov_b32 s5, exec_lo
	v_cmpx_gt_u32_e64 s4, v0
	s_cbranch_execnz .LBB641_129
; %bb.110:
	s_or_b32 exec_lo, exec_lo, s5
	s_mov_b32 s5, exec_lo
	v_cmpx_gt_u32_e64 s4, v1
	s_cbranch_execnz .LBB641_130
.LBB641_111:
	s_or_b32 exec_lo, exec_lo, s5
	s_mov_b32 s5, exec_lo
	v_cmpx_gt_u32_e64 s4, v2
	s_cbranch_execnz .LBB641_131
.LBB641_112:
	s_or_b32 exec_lo, exec_lo, s5
	s_mov_b32 s5, exec_lo
	v_cmpx_gt_u32_e64 s4, v3
	s_cbranch_execnz .LBB641_132
.LBB641_113:
	s_or_b32 exec_lo, exec_lo, s5
	s_mov_b32 s5, exec_lo
	v_cmpx_gt_u32_e64 s4, v4
	s_cbranch_execnz .LBB641_133
.LBB641_114:
	s_or_b32 exec_lo, exec_lo, s5
	s_mov_b32 s5, exec_lo
	v_cmpx_gt_u32_e64 s4, v5
	s_cbranch_execnz .LBB641_134
.LBB641_115:
	s_or_b32 exec_lo, exec_lo, s5
	s_mov_b32 s5, exec_lo
	v_cmpx_gt_u32_e64 s4, v6
	s_cbranch_execnz .LBB641_135
.LBB641_116:
	s_or_b32 exec_lo, exec_lo, s5
	s_mov_b32 s5, exec_lo
	v_cmpx_gt_u32_e64 s4, v7
	s_cbranch_execnz .LBB641_136
.LBB641_117:
	s_or_b32 exec_lo, exec_lo, s5
	s_mov_b32 s5, exec_lo
	v_cmpx_gt_u32_e64 s4, v8
	s_cbranch_execnz .LBB641_137
.LBB641_118:
	s_or_b32 exec_lo, exec_lo, s5
	s_mov_b32 s5, exec_lo
	v_cmpx_gt_u32_e64 s4, v9
	s_cbranch_execnz .LBB641_138
.LBB641_119:
	s_or_b32 exec_lo, exec_lo, s5
	s_mov_b32 s5, exec_lo
	v_cmpx_gt_u32_e64 s4, v10
	s_cbranch_execnz .LBB641_139
.LBB641_120:
	s_or_b32 exec_lo, exec_lo, s5
	s_mov_b32 s5, exec_lo
	v_cmpx_gt_u32_e64 s4, v11
	s_cbranch_execnz .LBB641_140
.LBB641_121:
	s_or_b32 exec_lo, exec_lo, s5
	s_mov_b32 s5, exec_lo
	v_cmpx_gt_u32_e64 s4, v12
	s_cbranch_execnz .LBB641_141
.LBB641_122:
	s_or_b32 exec_lo, exec_lo, s5
	s_mov_b32 s5, exec_lo
	v_cmpx_gt_u32_e64 s4, v13
	s_cbranch_execnz .LBB641_142
.LBB641_123:
	s_or_b32 exec_lo, exec_lo, s5
	s_mov_b32 s5, exec_lo
	v_cmpx_gt_u32_e64 s4, v14
	s_cbranch_execz .LBB641_125
.LBB641_124:
	v_add_co_u32 v0, vcc_lo, 0x3800, v22
	v_add_co_ci_u32_e64 v1, null, 0, v23, vcc_lo
	v_add_co_u32 v2, vcc_lo, 0x3800, v20
	v_add_co_ci_u32_e64 v3, null, 0, v21, vcc_lo
	s_waitcnt lgkmcnt(1)
	global_store_dword v[0:1], v18, off
	global_store_dword v[2:3], v19, off
.LBB641_125:
	s_or_b32 exec_lo, exec_lo, s5
	v_cmp_gt_u32_e64 s21, s4, v15
.LBB641_126:
	s_and_saveexec_b32 s4, s21
	s_cbranch_execnz .LBB641_128
; %bb.127:
	s_endpgm
.LBB641_128:
	v_add_co_u32 v0, s0, s0, v50
	v_add_co_ci_u32_e64 v1, null, s1, 0, s0
	v_add_co_u32 v2, s0, s2, v50
	v_add_co_ci_u32_e64 v3, null, s3, 0, s0
	v_add_co_u32 v0, vcc_lo, 0x3800, v0
	v_add_co_ci_u32_e64 v1, null, 0, v1, vcc_lo
	v_add_co_u32 v2, vcc_lo, 0x3800, v2
	v_add_co_ci_u32_e64 v3, null, 0, v3, vcc_lo
	s_waitcnt lgkmcnt(0)
	global_store_dword v[0:1], v16, off offset:1024
	global_store_dword v[2:3], v17, off offset:1024
	s_endpgm
.LBB641_129:
	v_lshrrev_b32_e32 v51, 2, v0
	v_and_b32_e32 v51, 56, v51
	v_lshl_add_u32 v0, v0, 3, v51
	ds_read_b64 v[51:52], v0
	s_waitcnt lgkmcnt(0)
	global_store_dword v[22:23], v51, off
	global_store_dword v[20:21], v52, off
	s_or_b32 exec_lo, exec_lo, s5
	s_mov_b32 s5, exec_lo
	v_cmpx_gt_u32_e64 s4, v1
	s_cbranch_execz .LBB641_111
.LBB641_130:
	s_waitcnt lgkmcnt(14)
	global_store_dword v[22:23], v48, off offset:1024
	global_store_dword v[20:21], v49, off offset:1024
	s_or_b32 exec_lo, exec_lo, s5
	s_mov_b32 s5, exec_lo
	v_cmpx_gt_u32_e64 s4, v2
	s_cbranch_execz .LBB641_112
.LBB641_131:
	v_add_co_u32 v0, vcc_lo, 0x800, v22
	v_add_co_ci_u32_e64 v1, null, 0, v23, vcc_lo
	s_waitcnt lgkmcnt(14)
	v_add_co_u32 v48, vcc_lo, 0x800, v20
	v_add_co_ci_u32_e64 v49, null, 0, v21, vcc_lo
	s_waitcnt lgkmcnt(13)
	global_store_dword v[0:1], v46, off
	global_store_dword v[48:49], v47, off
	s_or_b32 exec_lo, exec_lo, s5
	s_mov_b32 s5, exec_lo
	v_cmpx_gt_u32_e64 s4, v3
	s_cbranch_execz .LBB641_113
.LBB641_132:
	v_add_co_u32 v0, vcc_lo, 0x800, v22
	v_add_co_ci_u32_e64 v1, null, 0, v23, vcc_lo
	v_add_co_u32 v2, vcc_lo, 0x800, v20
	v_add_co_ci_u32_e64 v3, null, 0, v21, vcc_lo
	s_waitcnt lgkmcnt(12)
	global_store_dword v[0:1], v44, off offset:1024
	global_store_dword v[2:3], v45, off offset:1024
	s_or_b32 exec_lo, exec_lo, s5
	s_mov_b32 s5, exec_lo
	v_cmpx_gt_u32_e64 s4, v4
	s_cbranch_execz .LBB641_114
.LBB641_133:
	v_add_co_u32 v0, vcc_lo, 0x1000, v22
	v_add_co_ci_u32_e64 v1, null, 0, v23, vcc_lo
	v_add_co_u32 v2, vcc_lo, 0x1000, v20
	v_add_co_ci_u32_e64 v3, null, 0, v21, vcc_lo
	s_waitcnt lgkmcnt(11)
	global_store_dword v[0:1], v42, off
	global_store_dword v[2:3], v43, off
	s_or_b32 exec_lo, exec_lo, s5
	s_mov_b32 s5, exec_lo
	v_cmpx_gt_u32_e64 s4, v5
	s_cbranch_execz .LBB641_115
.LBB641_134:
	v_add_co_u32 v0, vcc_lo, 0x1000, v22
	v_add_co_ci_u32_e64 v1, null, 0, v23, vcc_lo
	v_add_co_u32 v2, vcc_lo, 0x1000, v20
	v_add_co_ci_u32_e64 v3, null, 0, v21, vcc_lo
	s_waitcnt lgkmcnt(10)
	global_store_dword v[0:1], v40, off offset:1024
	global_store_dword v[2:3], v41, off offset:1024
	s_or_b32 exec_lo, exec_lo, s5
	s_mov_b32 s5, exec_lo
	v_cmpx_gt_u32_e64 s4, v6
	s_cbranch_execz .LBB641_116
.LBB641_135:
	v_add_co_u32 v0, vcc_lo, 0x1800, v22
	v_add_co_ci_u32_e64 v1, null, 0, v23, vcc_lo
	v_add_co_u32 v2, vcc_lo, 0x1800, v20
	v_add_co_ci_u32_e64 v3, null, 0, v21, vcc_lo
	s_waitcnt lgkmcnt(9)
	global_store_dword v[0:1], v38, off
	global_store_dword v[2:3], v39, off
	s_or_b32 exec_lo, exec_lo, s5
	s_mov_b32 s5, exec_lo
	v_cmpx_gt_u32_e64 s4, v7
	s_cbranch_execz .LBB641_117
.LBB641_136:
	v_add_co_u32 v0, vcc_lo, 0x1800, v22
	v_add_co_ci_u32_e64 v1, null, 0, v23, vcc_lo
	v_add_co_u32 v2, vcc_lo, 0x1800, v20
	v_add_co_ci_u32_e64 v3, null, 0, v21, vcc_lo
	s_waitcnt lgkmcnt(8)
	global_store_dword v[0:1], v36, off offset:1024
	global_store_dword v[2:3], v37, off offset:1024
	s_or_b32 exec_lo, exec_lo, s5
	s_mov_b32 s5, exec_lo
	v_cmpx_gt_u32_e64 s4, v8
	s_cbranch_execz .LBB641_118
.LBB641_137:
	v_add_co_u32 v0, vcc_lo, 0x2000, v22
	v_add_co_ci_u32_e64 v1, null, 0, v23, vcc_lo
	v_add_co_u32 v2, vcc_lo, 0x2000, v20
	v_add_co_ci_u32_e64 v3, null, 0, v21, vcc_lo
	s_waitcnt lgkmcnt(7)
	global_store_dword v[0:1], v32, off
	global_store_dword v[2:3], v33, off
	s_or_b32 exec_lo, exec_lo, s5
	s_mov_b32 s5, exec_lo
	v_cmpx_gt_u32_e64 s4, v9
	s_cbranch_execz .LBB641_119
.LBB641_138:
	v_add_co_u32 v0, vcc_lo, 0x2000, v22
	v_add_co_ci_u32_e64 v1, null, 0, v23, vcc_lo
	v_add_co_u32 v2, vcc_lo, 0x2000, v20
	v_add_co_ci_u32_e64 v3, null, 0, v21, vcc_lo
	s_waitcnt lgkmcnt(6)
	global_store_dword v[0:1], v34, off offset:1024
	global_store_dword v[2:3], v35, off offset:1024
	s_or_b32 exec_lo, exec_lo, s5
	s_mov_b32 s5, exec_lo
	v_cmpx_gt_u32_e64 s4, v10
	s_cbranch_execz .LBB641_120
.LBB641_139:
	v_add_co_u32 v0, vcc_lo, 0x2800, v22
	v_add_co_ci_u32_e64 v1, null, 0, v23, vcc_lo
	v_add_co_u32 v2, vcc_lo, 0x2800, v20
	v_add_co_ci_u32_e64 v3, null, 0, v21, vcc_lo
	s_waitcnt lgkmcnt(5)
	global_store_dword v[0:1], v30, off
	global_store_dword v[2:3], v31, off
	s_or_b32 exec_lo, exec_lo, s5
	s_mov_b32 s5, exec_lo
	v_cmpx_gt_u32_e64 s4, v11
	s_cbranch_execz .LBB641_121
.LBB641_140:
	v_add_co_u32 v0, vcc_lo, 0x2800, v22
	v_add_co_ci_u32_e64 v1, null, 0, v23, vcc_lo
	v_add_co_u32 v2, vcc_lo, 0x2800, v20
	v_add_co_ci_u32_e64 v3, null, 0, v21, vcc_lo
	s_waitcnt lgkmcnt(4)
	global_store_dword v[0:1], v28, off offset:1024
	global_store_dword v[2:3], v29, off offset:1024
	s_or_b32 exec_lo, exec_lo, s5
	s_mov_b32 s5, exec_lo
	v_cmpx_gt_u32_e64 s4, v12
	s_cbranch_execz .LBB641_122
.LBB641_141:
	v_add_co_u32 v0, vcc_lo, 0x3000, v22
	v_add_co_ci_u32_e64 v1, null, 0, v23, vcc_lo
	v_add_co_u32 v2, vcc_lo, 0x3000, v20
	v_add_co_ci_u32_e64 v3, null, 0, v21, vcc_lo
	s_waitcnt lgkmcnt(3)
	global_store_dword v[0:1], v26, off
	global_store_dword v[2:3], v27, off
	s_or_b32 exec_lo, exec_lo, s5
	s_mov_b32 s5, exec_lo
	v_cmpx_gt_u32_e64 s4, v13
	s_cbranch_execz .LBB641_123
.LBB641_142:
	v_add_co_u32 v0, vcc_lo, 0x3000, v22
	v_add_co_ci_u32_e64 v1, null, 0, v23, vcc_lo
	v_add_co_u32 v2, vcc_lo, 0x3000, v20
	v_add_co_ci_u32_e64 v3, null, 0, v21, vcc_lo
	s_waitcnt lgkmcnt(2)
	global_store_dword v[0:1], v24, off offset:1024
	global_store_dword v[2:3], v25, off offset:1024
	s_or_b32 exec_lo, exec_lo, s5
	s_mov_b32 s5, exec_lo
	v_cmpx_gt_u32_e64 s4, v14
	s_cbranch_execnz .LBB641_124
	s_branch .LBB641_125
	.section	.rodata,"a",@progbits
	.p2align	6, 0x0
	.amdhsa_kernel _ZN7rocprim17ROCPRIM_400000_NS6detail17trampoline_kernelINS0_14default_configENS1_21merge_config_selectorINS0_5tupleIJiiEEENS0_10empty_typeEEEZNS1_10merge_implIS3_NS0_12zip_iteratorINS5_IJN6thrust23THRUST_200600_302600_NS10device_ptrIiEESE_EEEEESG_SG_PS7_SH_SH_NSC_11hip_rocprim7__merge17predicate_wrapperIiiNSC_4lessIiEEEEEE10hipError_tPvRmT0_T1_T2_T3_T4_T5_mmT6_P12ihipStream_tbEUlT_E0_NS1_11comp_targetILNS1_3genE8ELNS1_11target_archE1030ELNS1_3gpuE2ELNS1_3repE0EEENS1_30default_config_static_selectorELNS0_4arch9wavefront6targetE0EEEvSS_
		.amdhsa_group_segment_fixed_size 33792
		.amdhsa_private_segment_fixed_size 0
		.amdhsa_kernarg_size 112
		.amdhsa_user_sgpr_count 6
		.amdhsa_user_sgpr_private_segment_buffer 1
		.amdhsa_user_sgpr_dispatch_ptr 0
		.amdhsa_user_sgpr_queue_ptr 0
		.amdhsa_user_sgpr_kernarg_segment_ptr 1
		.amdhsa_user_sgpr_dispatch_id 0
		.amdhsa_user_sgpr_flat_scratch_init 0
		.amdhsa_user_sgpr_private_segment_size 0
		.amdhsa_wavefront_size32 1
		.amdhsa_uses_dynamic_stack 0
		.amdhsa_system_sgpr_private_segment_wavefront_offset 0
		.amdhsa_system_sgpr_workgroup_id_x 1
		.amdhsa_system_sgpr_workgroup_id_y 0
		.amdhsa_system_sgpr_workgroup_id_z 0
		.amdhsa_system_sgpr_workgroup_info 0
		.amdhsa_system_vgpr_workitem_id 0
		.amdhsa_next_free_vgpr 145
		.amdhsa_next_free_sgpr 28
		.amdhsa_reserve_vcc 1
		.amdhsa_reserve_flat_scratch 0
		.amdhsa_float_round_mode_32 0
		.amdhsa_float_round_mode_16_64 0
		.amdhsa_float_denorm_mode_32 3
		.amdhsa_float_denorm_mode_16_64 3
		.amdhsa_dx10_clamp 1
		.amdhsa_ieee_mode 1
		.amdhsa_fp16_overflow 0
		.amdhsa_workgroup_processor_mode 1
		.amdhsa_memory_ordered 1
		.amdhsa_forward_progress 1
		.amdhsa_shared_vgpr_count 0
		.amdhsa_exception_fp_ieee_invalid_op 0
		.amdhsa_exception_fp_denorm_src 0
		.amdhsa_exception_fp_ieee_div_zero 0
		.amdhsa_exception_fp_ieee_overflow 0
		.amdhsa_exception_fp_ieee_underflow 0
		.amdhsa_exception_fp_ieee_inexact 0
		.amdhsa_exception_int_div_zero 0
	.end_amdhsa_kernel
	.section	.text._ZN7rocprim17ROCPRIM_400000_NS6detail17trampoline_kernelINS0_14default_configENS1_21merge_config_selectorINS0_5tupleIJiiEEENS0_10empty_typeEEEZNS1_10merge_implIS3_NS0_12zip_iteratorINS5_IJN6thrust23THRUST_200600_302600_NS10device_ptrIiEESE_EEEEESG_SG_PS7_SH_SH_NSC_11hip_rocprim7__merge17predicate_wrapperIiiNSC_4lessIiEEEEEE10hipError_tPvRmT0_T1_T2_T3_T4_T5_mmT6_P12ihipStream_tbEUlT_E0_NS1_11comp_targetILNS1_3genE8ELNS1_11target_archE1030ELNS1_3gpuE2ELNS1_3repE0EEENS1_30default_config_static_selectorELNS0_4arch9wavefront6targetE0EEEvSS_,"axG",@progbits,_ZN7rocprim17ROCPRIM_400000_NS6detail17trampoline_kernelINS0_14default_configENS1_21merge_config_selectorINS0_5tupleIJiiEEENS0_10empty_typeEEEZNS1_10merge_implIS3_NS0_12zip_iteratorINS5_IJN6thrust23THRUST_200600_302600_NS10device_ptrIiEESE_EEEEESG_SG_PS7_SH_SH_NSC_11hip_rocprim7__merge17predicate_wrapperIiiNSC_4lessIiEEEEEE10hipError_tPvRmT0_T1_T2_T3_T4_T5_mmT6_P12ihipStream_tbEUlT_E0_NS1_11comp_targetILNS1_3genE8ELNS1_11target_archE1030ELNS1_3gpuE2ELNS1_3repE0EEENS1_30default_config_static_selectorELNS0_4arch9wavefront6targetE0EEEvSS_,comdat
.Lfunc_end641:
	.size	_ZN7rocprim17ROCPRIM_400000_NS6detail17trampoline_kernelINS0_14default_configENS1_21merge_config_selectorINS0_5tupleIJiiEEENS0_10empty_typeEEEZNS1_10merge_implIS3_NS0_12zip_iteratorINS5_IJN6thrust23THRUST_200600_302600_NS10device_ptrIiEESE_EEEEESG_SG_PS7_SH_SH_NSC_11hip_rocprim7__merge17predicate_wrapperIiiNSC_4lessIiEEEEEE10hipError_tPvRmT0_T1_T2_T3_T4_T5_mmT6_P12ihipStream_tbEUlT_E0_NS1_11comp_targetILNS1_3genE8ELNS1_11target_archE1030ELNS1_3gpuE2ELNS1_3repE0EEENS1_30default_config_static_selectorELNS0_4arch9wavefront6targetE0EEEvSS_, .Lfunc_end641-_ZN7rocprim17ROCPRIM_400000_NS6detail17trampoline_kernelINS0_14default_configENS1_21merge_config_selectorINS0_5tupleIJiiEEENS0_10empty_typeEEEZNS1_10merge_implIS3_NS0_12zip_iteratorINS5_IJN6thrust23THRUST_200600_302600_NS10device_ptrIiEESE_EEEEESG_SG_PS7_SH_SH_NSC_11hip_rocprim7__merge17predicate_wrapperIiiNSC_4lessIiEEEEEE10hipError_tPvRmT0_T1_T2_T3_T4_T5_mmT6_P12ihipStream_tbEUlT_E0_NS1_11comp_targetILNS1_3genE8ELNS1_11target_archE1030ELNS1_3gpuE2ELNS1_3repE0EEENS1_30default_config_static_selectorELNS0_4arch9wavefront6targetE0EEEvSS_
                                        ; -- End function
	.set _ZN7rocprim17ROCPRIM_400000_NS6detail17trampoline_kernelINS0_14default_configENS1_21merge_config_selectorINS0_5tupleIJiiEEENS0_10empty_typeEEEZNS1_10merge_implIS3_NS0_12zip_iteratorINS5_IJN6thrust23THRUST_200600_302600_NS10device_ptrIiEESE_EEEEESG_SG_PS7_SH_SH_NSC_11hip_rocprim7__merge17predicate_wrapperIiiNSC_4lessIiEEEEEE10hipError_tPvRmT0_T1_T2_T3_T4_T5_mmT6_P12ihipStream_tbEUlT_E0_NS1_11comp_targetILNS1_3genE8ELNS1_11target_archE1030ELNS1_3gpuE2ELNS1_3repE0EEENS1_30default_config_static_selectorELNS0_4arch9wavefront6targetE0EEEvSS_.num_vgpr, 73
	.set _ZN7rocprim17ROCPRIM_400000_NS6detail17trampoline_kernelINS0_14default_configENS1_21merge_config_selectorINS0_5tupleIJiiEEENS0_10empty_typeEEEZNS1_10merge_implIS3_NS0_12zip_iteratorINS5_IJN6thrust23THRUST_200600_302600_NS10device_ptrIiEESE_EEEEESG_SG_PS7_SH_SH_NSC_11hip_rocprim7__merge17predicate_wrapperIiiNSC_4lessIiEEEEEE10hipError_tPvRmT0_T1_T2_T3_T4_T5_mmT6_P12ihipStream_tbEUlT_E0_NS1_11comp_targetILNS1_3genE8ELNS1_11target_archE1030ELNS1_3gpuE2ELNS1_3repE0EEENS1_30default_config_static_selectorELNS0_4arch9wavefront6targetE0EEEvSS_.num_agpr, 0
	.set _ZN7rocprim17ROCPRIM_400000_NS6detail17trampoline_kernelINS0_14default_configENS1_21merge_config_selectorINS0_5tupleIJiiEEENS0_10empty_typeEEEZNS1_10merge_implIS3_NS0_12zip_iteratorINS5_IJN6thrust23THRUST_200600_302600_NS10device_ptrIiEESE_EEEEESG_SG_PS7_SH_SH_NSC_11hip_rocprim7__merge17predicate_wrapperIiiNSC_4lessIiEEEEEE10hipError_tPvRmT0_T1_T2_T3_T4_T5_mmT6_P12ihipStream_tbEUlT_E0_NS1_11comp_targetILNS1_3genE8ELNS1_11target_archE1030ELNS1_3gpuE2ELNS1_3repE0EEENS1_30default_config_static_selectorELNS0_4arch9wavefront6targetE0EEEvSS_.numbered_sgpr, 28
	.set _ZN7rocprim17ROCPRIM_400000_NS6detail17trampoline_kernelINS0_14default_configENS1_21merge_config_selectorINS0_5tupleIJiiEEENS0_10empty_typeEEEZNS1_10merge_implIS3_NS0_12zip_iteratorINS5_IJN6thrust23THRUST_200600_302600_NS10device_ptrIiEESE_EEEEESG_SG_PS7_SH_SH_NSC_11hip_rocprim7__merge17predicate_wrapperIiiNSC_4lessIiEEEEEE10hipError_tPvRmT0_T1_T2_T3_T4_T5_mmT6_P12ihipStream_tbEUlT_E0_NS1_11comp_targetILNS1_3genE8ELNS1_11target_archE1030ELNS1_3gpuE2ELNS1_3repE0EEENS1_30default_config_static_selectorELNS0_4arch9wavefront6targetE0EEEvSS_.num_named_barrier, 0
	.set _ZN7rocprim17ROCPRIM_400000_NS6detail17trampoline_kernelINS0_14default_configENS1_21merge_config_selectorINS0_5tupleIJiiEEENS0_10empty_typeEEEZNS1_10merge_implIS3_NS0_12zip_iteratorINS5_IJN6thrust23THRUST_200600_302600_NS10device_ptrIiEESE_EEEEESG_SG_PS7_SH_SH_NSC_11hip_rocprim7__merge17predicate_wrapperIiiNSC_4lessIiEEEEEE10hipError_tPvRmT0_T1_T2_T3_T4_T5_mmT6_P12ihipStream_tbEUlT_E0_NS1_11comp_targetILNS1_3genE8ELNS1_11target_archE1030ELNS1_3gpuE2ELNS1_3repE0EEENS1_30default_config_static_selectorELNS0_4arch9wavefront6targetE0EEEvSS_.private_seg_size, 0
	.set _ZN7rocprim17ROCPRIM_400000_NS6detail17trampoline_kernelINS0_14default_configENS1_21merge_config_selectorINS0_5tupleIJiiEEENS0_10empty_typeEEEZNS1_10merge_implIS3_NS0_12zip_iteratorINS5_IJN6thrust23THRUST_200600_302600_NS10device_ptrIiEESE_EEEEESG_SG_PS7_SH_SH_NSC_11hip_rocprim7__merge17predicate_wrapperIiiNSC_4lessIiEEEEEE10hipError_tPvRmT0_T1_T2_T3_T4_T5_mmT6_P12ihipStream_tbEUlT_E0_NS1_11comp_targetILNS1_3genE8ELNS1_11target_archE1030ELNS1_3gpuE2ELNS1_3repE0EEENS1_30default_config_static_selectorELNS0_4arch9wavefront6targetE0EEEvSS_.uses_vcc, 1
	.set _ZN7rocprim17ROCPRIM_400000_NS6detail17trampoline_kernelINS0_14default_configENS1_21merge_config_selectorINS0_5tupleIJiiEEENS0_10empty_typeEEEZNS1_10merge_implIS3_NS0_12zip_iteratorINS5_IJN6thrust23THRUST_200600_302600_NS10device_ptrIiEESE_EEEEESG_SG_PS7_SH_SH_NSC_11hip_rocprim7__merge17predicate_wrapperIiiNSC_4lessIiEEEEEE10hipError_tPvRmT0_T1_T2_T3_T4_T5_mmT6_P12ihipStream_tbEUlT_E0_NS1_11comp_targetILNS1_3genE8ELNS1_11target_archE1030ELNS1_3gpuE2ELNS1_3repE0EEENS1_30default_config_static_selectorELNS0_4arch9wavefront6targetE0EEEvSS_.uses_flat_scratch, 0
	.set _ZN7rocprim17ROCPRIM_400000_NS6detail17trampoline_kernelINS0_14default_configENS1_21merge_config_selectorINS0_5tupleIJiiEEENS0_10empty_typeEEEZNS1_10merge_implIS3_NS0_12zip_iteratorINS5_IJN6thrust23THRUST_200600_302600_NS10device_ptrIiEESE_EEEEESG_SG_PS7_SH_SH_NSC_11hip_rocprim7__merge17predicate_wrapperIiiNSC_4lessIiEEEEEE10hipError_tPvRmT0_T1_T2_T3_T4_T5_mmT6_P12ihipStream_tbEUlT_E0_NS1_11comp_targetILNS1_3genE8ELNS1_11target_archE1030ELNS1_3gpuE2ELNS1_3repE0EEENS1_30default_config_static_selectorELNS0_4arch9wavefront6targetE0EEEvSS_.has_dyn_sized_stack, 0
	.set _ZN7rocprim17ROCPRIM_400000_NS6detail17trampoline_kernelINS0_14default_configENS1_21merge_config_selectorINS0_5tupleIJiiEEENS0_10empty_typeEEEZNS1_10merge_implIS3_NS0_12zip_iteratorINS5_IJN6thrust23THRUST_200600_302600_NS10device_ptrIiEESE_EEEEESG_SG_PS7_SH_SH_NSC_11hip_rocprim7__merge17predicate_wrapperIiiNSC_4lessIiEEEEEE10hipError_tPvRmT0_T1_T2_T3_T4_T5_mmT6_P12ihipStream_tbEUlT_E0_NS1_11comp_targetILNS1_3genE8ELNS1_11target_archE1030ELNS1_3gpuE2ELNS1_3repE0EEENS1_30default_config_static_selectorELNS0_4arch9wavefront6targetE0EEEvSS_.has_recursion, 0
	.set _ZN7rocprim17ROCPRIM_400000_NS6detail17trampoline_kernelINS0_14default_configENS1_21merge_config_selectorINS0_5tupleIJiiEEENS0_10empty_typeEEEZNS1_10merge_implIS3_NS0_12zip_iteratorINS5_IJN6thrust23THRUST_200600_302600_NS10device_ptrIiEESE_EEEEESG_SG_PS7_SH_SH_NSC_11hip_rocprim7__merge17predicate_wrapperIiiNSC_4lessIiEEEEEE10hipError_tPvRmT0_T1_T2_T3_T4_T5_mmT6_P12ihipStream_tbEUlT_E0_NS1_11comp_targetILNS1_3genE8ELNS1_11target_archE1030ELNS1_3gpuE2ELNS1_3repE0EEENS1_30default_config_static_selectorELNS0_4arch9wavefront6targetE0EEEvSS_.has_indirect_call, 0
	.section	.AMDGPU.csdata,"",@progbits
; Kernel info:
; codeLenInByte = 8104
; TotalNumSgprs: 30
; NumVgprs: 73
; ScratchSize: 0
; MemoryBound: 0
; FloatMode: 240
; IeeeMode: 1
; LDSByteSize: 33792 bytes/workgroup (compile time only)
; SGPRBlocks: 0
; VGPRBlocks: 18
; NumSGPRsForWavesPerEU: 30
; NumVGPRsForWavesPerEU: 145
; Occupancy: 6
; WaveLimiterHint : 1
; COMPUTE_PGM_RSRC2:SCRATCH_EN: 0
; COMPUTE_PGM_RSRC2:USER_SGPR: 6
; COMPUTE_PGM_RSRC2:TRAP_HANDLER: 0
; COMPUTE_PGM_RSRC2:TGID_X_EN: 1
; COMPUTE_PGM_RSRC2:TGID_Y_EN: 0
; COMPUTE_PGM_RSRC2:TGID_Z_EN: 0
; COMPUTE_PGM_RSRC2:TIDIG_COMP_CNT: 0
	.section	.AMDGPU.gpr_maximums,"",@progbits
	.set amdgpu.max_num_vgpr, 0
	.set amdgpu.max_num_agpr, 0
	.set amdgpu.max_num_sgpr, 0
	.section	.AMDGPU.csdata,"",@progbits
	.type	__hip_cuid_9c9fe0cb18a24094,@object ; @__hip_cuid_9c9fe0cb18a24094
	.section	.bss,"aw",@nobits
	.globl	__hip_cuid_9c9fe0cb18a24094
__hip_cuid_9c9fe0cb18a24094:
	.byte	0                               ; 0x0
	.size	__hip_cuid_9c9fe0cb18a24094, 1

	.ident	"AMD clang version 22.0.0git (https://github.com/RadeonOpenCompute/llvm-project roc-7.2.4 26084 f58b06dce1f9c15707c5f808fd002e18c2accf7e)"
	.section	".note.GNU-stack","",@progbits
	.addrsig
	.addrsig_sym __hip_cuid_9c9fe0cb18a24094
	.amdgpu_metadata
---
amdhsa.kernels:
  - .args:
      - .offset:         0
        .size:           16
        .value_kind:     by_value
      - .offset:         16
        .size:           8
        .value_kind:     by_value
      - .offset:         24
        .size:           8
        .value_kind:     by_value
    .group_segment_fixed_size: 0
    .kernarg_segment_align: 8
    .kernarg_segment_size: 32
    .language:       OpenCL C
    .language_version:
      - 2
      - 0
    .max_flat_workgroup_size: 256
    .name:           _ZN6thrust23THRUST_200600_302600_NS11hip_rocprim14__parallel_for6kernelILj256ENS1_20__uninitialized_fill7functorINS0_10device_ptrIdEEdEEmLj1EEEvT0_T1_SA_
    .private_segment_fixed_size: 0
    .sgpr_count:     18
    .sgpr_spill_count: 0
    .symbol:         _ZN6thrust23THRUST_200600_302600_NS11hip_rocprim14__parallel_for6kernelILj256ENS1_20__uninitialized_fill7functorINS0_10device_ptrIdEEdEEmLj1EEEvT0_T1_SA_.kd
    .uniform_work_group_size: 1
    .uses_dynamic_stack: false
    .vgpr_count:     5
    .vgpr_spill_count: 0
    .wavefront_size: 32
    .workgroup_processor_mode: 1
  - .args:
      - .offset:         0
        .size:           64
        .value_kind:     by_value
    .group_segment_fixed_size: 0
    .kernarg_segment_align: 8
    .kernarg_segment_size: 64
    .language:       OpenCL C
    .language_version:
      - 2
      - 0
    .max_flat_workgroup_size: 512
    .name:           _ZN7rocprim17ROCPRIM_400000_NS6detail17trampoline_kernelINS0_14default_configENS1_21merge_config_selectorINS0_5tupleIJddEEENS0_10empty_typeEEEZNS1_10merge_implIS3_NS0_12zip_iteratorINS5_IJN6thrust23THRUST_200600_302600_NS6detail15normal_iteratorINSC_10device_ptrIKdEEEESI_EEEEESK_NSA_INS5_IJNSE_INSF_IdEEEESM_EEEEEPS7_SP_SP_NSC_11hip_rocprim7__merge17predicate_wrapperIddNSC_4lessIdEEEEEE10hipError_tPvRmT0_T1_T2_T3_T4_T5_mmT6_P12ihipStream_tbEUlT_E_NS1_11comp_targetILNS1_3genE0ELNS1_11target_archE4294967295ELNS1_3gpuE0ELNS1_3repE0EEENS1_30default_config_static_selectorELNS0_4arch9wavefront6targetE0EEEvS10_
    .private_segment_fixed_size: 0
    .sgpr_count:     0
    .sgpr_spill_count: 0
    .symbol:         _ZN7rocprim17ROCPRIM_400000_NS6detail17trampoline_kernelINS0_14default_configENS1_21merge_config_selectorINS0_5tupleIJddEEENS0_10empty_typeEEEZNS1_10merge_implIS3_NS0_12zip_iteratorINS5_IJN6thrust23THRUST_200600_302600_NS6detail15normal_iteratorINSC_10device_ptrIKdEEEESI_EEEEESK_NSA_INS5_IJNSE_INSF_IdEEEESM_EEEEEPS7_SP_SP_NSC_11hip_rocprim7__merge17predicate_wrapperIddNSC_4lessIdEEEEEE10hipError_tPvRmT0_T1_T2_T3_T4_T5_mmT6_P12ihipStream_tbEUlT_E_NS1_11comp_targetILNS1_3genE0ELNS1_11target_archE4294967295ELNS1_3gpuE0ELNS1_3repE0EEENS1_30default_config_static_selectorELNS0_4arch9wavefront6targetE0EEEvS10_.kd
    .uniform_work_group_size: 1
    .uses_dynamic_stack: false
    .vgpr_count:     0
    .vgpr_spill_count: 0
    .wavefront_size: 32
    .workgroup_processor_mode: 1
  - .args:
      - .offset:         0
        .size:           64
        .value_kind:     by_value
    .group_segment_fixed_size: 0
    .kernarg_segment_align: 8
    .kernarg_segment_size: 64
    .language:       OpenCL C
    .language_version:
      - 2
      - 0
    .max_flat_workgroup_size: 256
    .name:           _ZN7rocprim17ROCPRIM_400000_NS6detail17trampoline_kernelINS0_14default_configENS1_21merge_config_selectorINS0_5tupleIJddEEENS0_10empty_typeEEEZNS1_10merge_implIS3_NS0_12zip_iteratorINS5_IJN6thrust23THRUST_200600_302600_NS6detail15normal_iteratorINSC_10device_ptrIKdEEEESI_EEEEESK_NSA_INS5_IJNSE_INSF_IdEEEESM_EEEEEPS7_SP_SP_NSC_11hip_rocprim7__merge17predicate_wrapperIddNSC_4lessIdEEEEEE10hipError_tPvRmT0_T1_T2_T3_T4_T5_mmT6_P12ihipStream_tbEUlT_E_NS1_11comp_targetILNS1_3genE5ELNS1_11target_archE942ELNS1_3gpuE9ELNS1_3repE0EEENS1_30default_config_static_selectorELNS0_4arch9wavefront6targetE0EEEvS10_
    .private_segment_fixed_size: 0
    .sgpr_count:     0
    .sgpr_spill_count: 0
    .symbol:         _ZN7rocprim17ROCPRIM_400000_NS6detail17trampoline_kernelINS0_14default_configENS1_21merge_config_selectorINS0_5tupleIJddEEENS0_10empty_typeEEEZNS1_10merge_implIS3_NS0_12zip_iteratorINS5_IJN6thrust23THRUST_200600_302600_NS6detail15normal_iteratorINSC_10device_ptrIKdEEEESI_EEEEESK_NSA_INS5_IJNSE_INSF_IdEEEESM_EEEEEPS7_SP_SP_NSC_11hip_rocprim7__merge17predicate_wrapperIddNSC_4lessIdEEEEEE10hipError_tPvRmT0_T1_T2_T3_T4_T5_mmT6_P12ihipStream_tbEUlT_E_NS1_11comp_targetILNS1_3genE5ELNS1_11target_archE942ELNS1_3gpuE9ELNS1_3repE0EEENS1_30default_config_static_selectorELNS0_4arch9wavefront6targetE0EEEvS10_.kd
    .uniform_work_group_size: 1
    .uses_dynamic_stack: false
    .vgpr_count:     0
    .vgpr_spill_count: 0
    .wavefront_size: 32
    .workgroup_processor_mode: 1
  - .args:
      - .offset:         0
        .size:           64
        .value_kind:     by_value
    .group_segment_fixed_size: 0
    .kernarg_segment_align: 8
    .kernarg_segment_size: 64
    .language:       OpenCL C
    .language_version:
      - 2
      - 0
    .max_flat_workgroup_size: 512
    .name:           _ZN7rocprim17ROCPRIM_400000_NS6detail17trampoline_kernelINS0_14default_configENS1_21merge_config_selectorINS0_5tupleIJddEEENS0_10empty_typeEEEZNS1_10merge_implIS3_NS0_12zip_iteratorINS5_IJN6thrust23THRUST_200600_302600_NS6detail15normal_iteratorINSC_10device_ptrIKdEEEESI_EEEEESK_NSA_INS5_IJNSE_INSF_IdEEEESM_EEEEEPS7_SP_SP_NSC_11hip_rocprim7__merge17predicate_wrapperIddNSC_4lessIdEEEEEE10hipError_tPvRmT0_T1_T2_T3_T4_T5_mmT6_P12ihipStream_tbEUlT_E_NS1_11comp_targetILNS1_3genE4ELNS1_11target_archE910ELNS1_3gpuE8ELNS1_3repE0EEENS1_30default_config_static_selectorELNS0_4arch9wavefront6targetE0EEEvS10_
    .private_segment_fixed_size: 0
    .sgpr_count:     0
    .sgpr_spill_count: 0
    .symbol:         _ZN7rocprim17ROCPRIM_400000_NS6detail17trampoline_kernelINS0_14default_configENS1_21merge_config_selectorINS0_5tupleIJddEEENS0_10empty_typeEEEZNS1_10merge_implIS3_NS0_12zip_iteratorINS5_IJN6thrust23THRUST_200600_302600_NS6detail15normal_iteratorINSC_10device_ptrIKdEEEESI_EEEEESK_NSA_INS5_IJNSE_INSF_IdEEEESM_EEEEEPS7_SP_SP_NSC_11hip_rocprim7__merge17predicate_wrapperIddNSC_4lessIdEEEEEE10hipError_tPvRmT0_T1_T2_T3_T4_T5_mmT6_P12ihipStream_tbEUlT_E_NS1_11comp_targetILNS1_3genE4ELNS1_11target_archE910ELNS1_3gpuE8ELNS1_3repE0EEENS1_30default_config_static_selectorELNS0_4arch9wavefront6targetE0EEEvS10_.kd
    .uniform_work_group_size: 1
    .uses_dynamic_stack: false
    .vgpr_count:     0
    .vgpr_spill_count: 0
    .wavefront_size: 32
    .workgroup_processor_mode: 1
  - .args:
      - .offset:         0
        .size:           64
        .value_kind:     by_value
    .group_segment_fixed_size: 0
    .kernarg_segment_align: 8
    .kernarg_segment_size: 64
    .language:       OpenCL C
    .language_version:
      - 2
      - 0
    .max_flat_workgroup_size: 512
    .name:           _ZN7rocprim17ROCPRIM_400000_NS6detail17trampoline_kernelINS0_14default_configENS1_21merge_config_selectorINS0_5tupleIJddEEENS0_10empty_typeEEEZNS1_10merge_implIS3_NS0_12zip_iteratorINS5_IJN6thrust23THRUST_200600_302600_NS6detail15normal_iteratorINSC_10device_ptrIKdEEEESI_EEEEESK_NSA_INS5_IJNSE_INSF_IdEEEESM_EEEEEPS7_SP_SP_NSC_11hip_rocprim7__merge17predicate_wrapperIddNSC_4lessIdEEEEEE10hipError_tPvRmT0_T1_T2_T3_T4_T5_mmT6_P12ihipStream_tbEUlT_E_NS1_11comp_targetILNS1_3genE3ELNS1_11target_archE908ELNS1_3gpuE7ELNS1_3repE0EEENS1_30default_config_static_selectorELNS0_4arch9wavefront6targetE0EEEvS10_
    .private_segment_fixed_size: 0
    .sgpr_count:     0
    .sgpr_spill_count: 0
    .symbol:         _ZN7rocprim17ROCPRIM_400000_NS6detail17trampoline_kernelINS0_14default_configENS1_21merge_config_selectorINS0_5tupleIJddEEENS0_10empty_typeEEEZNS1_10merge_implIS3_NS0_12zip_iteratorINS5_IJN6thrust23THRUST_200600_302600_NS6detail15normal_iteratorINSC_10device_ptrIKdEEEESI_EEEEESK_NSA_INS5_IJNSE_INSF_IdEEEESM_EEEEEPS7_SP_SP_NSC_11hip_rocprim7__merge17predicate_wrapperIddNSC_4lessIdEEEEEE10hipError_tPvRmT0_T1_T2_T3_T4_T5_mmT6_P12ihipStream_tbEUlT_E_NS1_11comp_targetILNS1_3genE3ELNS1_11target_archE908ELNS1_3gpuE7ELNS1_3repE0EEENS1_30default_config_static_selectorELNS0_4arch9wavefront6targetE0EEEvS10_.kd
    .uniform_work_group_size: 1
    .uses_dynamic_stack: false
    .vgpr_count:     0
    .vgpr_spill_count: 0
    .wavefront_size: 32
    .workgroup_processor_mode: 1
  - .args:
      - .offset:         0
        .size:           64
        .value_kind:     by_value
    .group_segment_fixed_size: 0
    .kernarg_segment_align: 8
    .kernarg_segment_size: 64
    .language:       OpenCL C
    .language_version:
      - 2
      - 0
    .max_flat_workgroup_size: 512
    .name:           _ZN7rocprim17ROCPRIM_400000_NS6detail17trampoline_kernelINS0_14default_configENS1_21merge_config_selectorINS0_5tupleIJddEEENS0_10empty_typeEEEZNS1_10merge_implIS3_NS0_12zip_iteratorINS5_IJN6thrust23THRUST_200600_302600_NS6detail15normal_iteratorINSC_10device_ptrIKdEEEESI_EEEEESK_NSA_INS5_IJNSE_INSF_IdEEEESM_EEEEEPS7_SP_SP_NSC_11hip_rocprim7__merge17predicate_wrapperIddNSC_4lessIdEEEEEE10hipError_tPvRmT0_T1_T2_T3_T4_T5_mmT6_P12ihipStream_tbEUlT_E_NS1_11comp_targetILNS1_3genE2ELNS1_11target_archE906ELNS1_3gpuE6ELNS1_3repE0EEENS1_30default_config_static_selectorELNS0_4arch9wavefront6targetE0EEEvS10_
    .private_segment_fixed_size: 0
    .sgpr_count:     0
    .sgpr_spill_count: 0
    .symbol:         _ZN7rocprim17ROCPRIM_400000_NS6detail17trampoline_kernelINS0_14default_configENS1_21merge_config_selectorINS0_5tupleIJddEEENS0_10empty_typeEEEZNS1_10merge_implIS3_NS0_12zip_iteratorINS5_IJN6thrust23THRUST_200600_302600_NS6detail15normal_iteratorINSC_10device_ptrIKdEEEESI_EEEEESK_NSA_INS5_IJNSE_INSF_IdEEEESM_EEEEEPS7_SP_SP_NSC_11hip_rocprim7__merge17predicate_wrapperIddNSC_4lessIdEEEEEE10hipError_tPvRmT0_T1_T2_T3_T4_T5_mmT6_P12ihipStream_tbEUlT_E_NS1_11comp_targetILNS1_3genE2ELNS1_11target_archE906ELNS1_3gpuE6ELNS1_3repE0EEENS1_30default_config_static_selectorELNS0_4arch9wavefront6targetE0EEEvS10_.kd
    .uniform_work_group_size: 1
    .uses_dynamic_stack: false
    .vgpr_count:     0
    .vgpr_spill_count: 0
    .wavefront_size: 32
    .workgroup_processor_mode: 1
  - .args:
      - .offset:         0
        .size:           64
        .value_kind:     by_value
    .group_segment_fixed_size: 0
    .kernarg_segment_align: 8
    .kernarg_segment_size: 64
    .language:       OpenCL C
    .language_version:
      - 2
      - 0
    .max_flat_workgroup_size: 512
    .name:           _ZN7rocprim17ROCPRIM_400000_NS6detail17trampoline_kernelINS0_14default_configENS1_21merge_config_selectorINS0_5tupleIJddEEENS0_10empty_typeEEEZNS1_10merge_implIS3_NS0_12zip_iteratorINS5_IJN6thrust23THRUST_200600_302600_NS6detail15normal_iteratorINSC_10device_ptrIKdEEEESI_EEEEESK_NSA_INS5_IJNSE_INSF_IdEEEESM_EEEEEPS7_SP_SP_NSC_11hip_rocprim7__merge17predicate_wrapperIddNSC_4lessIdEEEEEE10hipError_tPvRmT0_T1_T2_T3_T4_T5_mmT6_P12ihipStream_tbEUlT_E_NS1_11comp_targetILNS1_3genE10ELNS1_11target_archE1201ELNS1_3gpuE5ELNS1_3repE0EEENS1_30default_config_static_selectorELNS0_4arch9wavefront6targetE0EEEvS10_
    .private_segment_fixed_size: 0
    .sgpr_count:     0
    .sgpr_spill_count: 0
    .symbol:         _ZN7rocprim17ROCPRIM_400000_NS6detail17trampoline_kernelINS0_14default_configENS1_21merge_config_selectorINS0_5tupleIJddEEENS0_10empty_typeEEEZNS1_10merge_implIS3_NS0_12zip_iteratorINS5_IJN6thrust23THRUST_200600_302600_NS6detail15normal_iteratorINSC_10device_ptrIKdEEEESI_EEEEESK_NSA_INS5_IJNSE_INSF_IdEEEESM_EEEEEPS7_SP_SP_NSC_11hip_rocprim7__merge17predicate_wrapperIddNSC_4lessIdEEEEEE10hipError_tPvRmT0_T1_T2_T3_T4_T5_mmT6_P12ihipStream_tbEUlT_E_NS1_11comp_targetILNS1_3genE10ELNS1_11target_archE1201ELNS1_3gpuE5ELNS1_3repE0EEENS1_30default_config_static_selectorELNS0_4arch9wavefront6targetE0EEEvS10_.kd
    .uniform_work_group_size: 1
    .uses_dynamic_stack: false
    .vgpr_count:     0
    .vgpr_spill_count: 0
    .wavefront_size: 32
    .workgroup_processor_mode: 1
  - .args:
      - .offset:         0
        .size:           64
        .value_kind:     by_value
    .group_segment_fixed_size: 0
    .kernarg_segment_align: 8
    .kernarg_segment_size: 64
    .language:       OpenCL C
    .language_version:
      - 2
      - 0
    .max_flat_workgroup_size: 256
    .name:           _ZN7rocprim17ROCPRIM_400000_NS6detail17trampoline_kernelINS0_14default_configENS1_21merge_config_selectorINS0_5tupleIJddEEENS0_10empty_typeEEEZNS1_10merge_implIS3_NS0_12zip_iteratorINS5_IJN6thrust23THRUST_200600_302600_NS6detail15normal_iteratorINSC_10device_ptrIKdEEEESI_EEEEESK_NSA_INS5_IJNSE_INSF_IdEEEESM_EEEEEPS7_SP_SP_NSC_11hip_rocprim7__merge17predicate_wrapperIddNSC_4lessIdEEEEEE10hipError_tPvRmT0_T1_T2_T3_T4_T5_mmT6_P12ihipStream_tbEUlT_E_NS1_11comp_targetILNS1_3genE10ELNS1_11target_archE1200ELNS1_3gpuE4ELNS1_3repE0EEENS1_30default_config_static_selectorELNS0_4arch9wavefront6targetE0EEEvS10_
    .private_segment_fixed_size: 0
    .sgpr_count:     0
    .sgpr_spill_count: 0
    .symbol:         _ZN7rocprim17ROCPRIM_400000_NS6detail17trampoline_kernelINS0_14default_configENS1_21merge_config_selectorINS0_5tupleIJddEEENS0_10empty_typeEEEZNS1_10merge_implIS3_NS0_12zip_iteratorINS5_IJN6thrust23THRUST_200600_302600_NS6detail15normal_iteratorINSC_10device_ptrIKdEEEESI_EEEEESK_NSA_INS5_IJNSE_INSF_IdEEEESM_EEEEEPS7_SP_SP_NSC_11hip_rocprim7__merge17predicate_wrapperIddNSC_4lessIdEEEEEE10hipError_tPvRmT0_T1_T2_T3_T4_T5_mmT6_P12ihipStream_tbEUlT_E_NS1_11comp_targetILNS1_3genE10ELNS1_11target_archE1200ELNS1_3gpuE4ELNS1_3repE0EEENS1_30default_config_static_selectorELNS0_4arch9wavefront6targetE0EEEvS10_.kd
    .uniform_work_group_size: 1
    .uses_dynamic_stack: false
    .vgpr_count:     0
    .vgpr_spill_count: 0
    .wavefront_size: 32
    .workgroup_processor_mode: 1
  - .args:
      - .offset:         0
        .size:           64
        .value_kind:     by_value
    .group_segment_fixed_size: 0
    .kernarg_segment_align: 8
    .kernarg_segment_size: 64
    .language:       OpenCL C
    .language_version:
      - 2
      - 0
    .max_flat_workgroup_size: 1024
    .name:           _ZN7rocprim17ROCPRIM_400000_NS6detail17trampoline_kernelINS0_14default_configENS1_21merge_config_selectorINS0_5tupleIJddEEENS0_10empty_typeEEEZNS1_10merge_implIS3_NS0_12zip_iteratorINS5_IJN6thrust23THRUST_200600_302600_NS6detail15normal_iteratorINSC_10device_ptrIKdEEEESI_EEEEESK_NSA_INS5_IJNSE_INSF_IdEEEESM_EEEEEPS7_SP_SP_NSC_11hip_rocprim7__merge17predicate_wrapperIddNSC_4lessIdEEEEEE10hipError_tPvRmT0_T1_T2_T3_T4_T5_mmT6_P12ihipStream_tbEUlT_E_NS1_11comp_targetILNS1_3genE9ELNS1_11target_archE1100ELNS1_3gpuE3ELNS1_3repE0EEENS1_30default_config_static_selectorELNS0_4arch9wavefront6targetE0EEEvS10_
    .private_segment_fixed_size: 0
    .sgpr_count:     0
    .sgpr_spill_count: 0
    .symbol:         _ZN7rocprim17ROCPRIM_400000_NS6detail17trampoline_kernelINS0_14default_configENS1_21merge_config_selectorINS0_5tupleIJddEEENS0_10empty_typeEEEZNS1_10merge_implIS3_NS0_12zip_iteratorINS5_IJN6thrust23THRUST_200600_302600_NS6detail15normal_iteratorINSC_10device_ptrIKdEEEESI_EEEEESK_NSA_INS5_IJNSE_INSF_IdEEEESM_EEEEEPS7_SP_SP_NSC_11hip_rocprim7__merge17predicate_wrapperIddNSC_4lessIdEEEEEE10hipError_tPvRmT0_T1_T2_T3_T4_T5_mmT6_P12ihipStream_tbEUlT_E_NS1_11comp_targetILNS1_3genE9ELNS1_11target_archE1100ELNS1_3gpuE3ELNS1_3repE0EEENS1_30default_config_static_selectorELNS0_4arch9wavefront6targetE0EEEvS10_.kd
    .uniform_work_group_size: 1
    .uses_dynamic_stack: false
    .vgpr_count:     0
    .vgpr_spill_count: 0
    .wavefront_size: 32
    .workgroup_processor_mode: 1
  - .args:
      - .offset:         0
        .size:           64
        .value_kind:     by_value
      - .offset:         64
        .size:           4
        .value_kind:     hidden_block_count_x
      - .offset:         68
        .size:           4
        .value_kind:     hidden_block_count_y
      - .offset:         72
        .size:           4
        .value_kind:     hidden_block_count_z
      - .offset:         76
        .size:           2
        .value_kind:     hidden_group_size_x
      - .offset:         78
        .size:           2
        .value_kind:     hidden_group_size_y
      - .offset:         80
        .size:           2
        .value_kind:     hidden_group_size_z
      - .offset:         82
        .size:           2
        .value_kind:     hidden_remainder_x
      - .offset:         84
        .size:           2
        .value_kind:     hidden_remainder_y
      - .offset:         86
        .size:           2
        .value_kind:     hidden_remainder_z
      - .offset:         104
        .size:           8
        .value_kind:     hidden_global_offset_x
      - .offset:         112
        .size:           8
        .value_kind:     hidden_global_offset_y
      - .offset:         120
        .size:           8
        .value_kind:     hidden_global_offset_z
      - .offset:         128
        .size:           2
        .value_kind:     hidden_grid_dims
    .group_segment_fixed_size: 0
    .kernarg_segment_align: 8
    .kernarg_segment_size: 320
    .language:       OpenCL C
    .language_version:
      - 2
      - 0
    .max_flat_workgroup_size: 256
    .name:           _ZN7rocprim17ROCPRIM_400000_NS6detail17trampoline_kernelINS0_14default_configENS1_21merge_config_selectorINS0_5tupleIJddEEENS0_10empty_typeEEEZNS1_10merge_implIS3_NS0_12zip_iteratorINS5_IJN6thrust23THRUST_200600_302600_NS6detail15normal_iteratorINSC_10device_ptrIKdEEEESI_EEEEESK_NSA_INS5_IJNSE_INSF_IdEEEESM_EEEEEPS7_SP_SP_NSC_11hip_rocprim7__merge17predicate_wrapperIddNSC_4lessIdEEEEEE10hipError_tPvRmT0_T1_T2_T3_T4_T5_mmT6_P12ihipStream_tbEUlT_E_NS1_11comp_targetILNS1_3genE8ELNS1_11target_archE1030ELNS1_3gpuE2ELNS1_3repE0EEENS1_30default_config_static_selectorELNS0_4arch9wavefront6targetE0EEEvS10_
    .private_segment_fixed_size: 0
    .sgpr_count:     18
    .sgpr_spill_count: 0
    .symbol:         _ZN7rocprim17ROCPRIM_400000_NS6detail17trampoline_kernelINS0_14default_configENS1_21merge_config_selectorINS0_5tupleIJddEEENS0_10empty_typeEEEZNS1_10merge_implIS3_NS0_12zip_iteratorINS5_IJN6thrust23THRUST_200600_302600_NS6detail15normal_iteratorINSC_10device_ptrIKdEEEESI_EEEEESK_NSA_INS5_IJNSE_INSF_IdEEEESM_EEEEEPS7_SP_SP_NSC_11hip_rocprim7__merge17predicate_wrapperIddNSC_4lessIdEEEEEE10hipError_tPvRmT0_T1_T2_T3_T4_T5_mmT6_P12ihipStream_tbEUlT_E_NS1_11comp_targetILNS1_3genE8ELNS1_11target_archE1030ELNS1_3gpuE2ELNS1_3repE0EEENS1_30default_config_static_selectorELNS0_4arch9wavefront6targetE0EEEvS10_.kd
    .uniform_work_group_size: 1
    .uses_dynamic_stack: false
    .vgpr_count:     13
    .vgpr_spill_count: 0
    .wavefront_size: 32
    .workgroup_processor_mode: 1
  - .args:
      - .offset:         0
        .size:           112
        .value_kind:     by_value
    .group_segment_fixed_size: 0
    .kernarg_segment_align: 8
    .kernarg_segment_size: 112
    .language:       OpenCL C
    .language_version:
      - 2
      - 0
    .max_flat_workgroup_size: 512
    .name:           _ZN7rocprim17ROCPRIM_400000_NS6detail17trampoline_kernelINS0_14default_configENS1_21merge_config_selectorINS0_5tupleIJddEEENS0_10empty_typeEEEZNS1_10merge_implIS3_NS0_12zip_iteratorINS5_IJN6thrust23THRUST_200600_302600_NS6detail15normal_iteratorINSC_10device_ptrIKdEEEESI_EEEEESK_NSA_INS5_IJNSE_INSF_IdEEEESM_EEEEEPS7_SP_SP_NSC_11hip_rocprim7__merge17predicate_wrapperIddNSC_4lessIdEEEEEE10hipError_tPvRmT0_T1_T2_T3_T4_T5_mmT6_P12ihipStream_tbEUlT_E0_NS1_11comp_targetILNS1_3genE0ELNS1_11target_archE4294967295ELNS1_3gpuE0ELNS1_3repE0EEENS1_30default_config_static_selectorELNS0_4arch9wavefront6targetE0EEEvS10_
    .private_segment_fixed_size: 0
    .sgpr_count:     0
    .sgpr_spill_count: 0
    .symbol:         _ZN7rocprim17ROCPRIM_400000_NS6detail17trampoline_kernelINS0_14default_configENS1_21merge_config_selectorINS0_5tupleIJddEEENS0_10empty_typeEEEZNS1_10merge_implIS3_NS0_12zip_iteratorINS5_IJN6thrust23THRUST_200600_302600_NS6detail15normal_iteratorINSC_10device_ptrIKdEEEESI_EEEEESK_NSA_INS5_IJNSE_INSF_IdEEEESM_EEEEEPS7_SP_SP_NSC_11hip_rocprim7__merge17predicate_wrapperIddNSC_4lessIdEEEEEE10hipError_tPvRmT0_T1_T2_T3_T4_T5_mmT6_P12ihipStream_tbEUlT_E0_NS1_11comp_targetILNS1_3genE0ELNS1_11target_archE4294967295ELNS1_3gpuE0ELNS1_3repE0EEENS1_30default_config_static_selectorELNS0_4arch9wavefront6targetE0EEEvS10_.kd
    .uniform_work_group_size: 1
    .uses_dynamic_stack: false
    .vgpr_count:     0
    .vgpr_spill_count: 0
    .wavefront_size: 32
    .workgroup_processor_mode: 1
  - .args:
      - .offset:         0
        .size:           112
        .value_kind:     by_value
    .group_segment_fixed_size: 0
    .kernarg_segment_align: 8
    .kernarg_segment_size: 112
    .language:       OpenCL C
    .language_version:
      - 2
      - 0
    .max_flat_workgroup_size: 256
    .name:           _ZN7rocprim17ROCPRIM_400000_NS6detail17trampoline_kernelINS0_14default_configENS1_21merge_config_selectorINS0_5tupleIJddEEENS0_10empty_typeEEEZNS1_10merge_implIS3_NS0_12zip_iteratorINS5_IJN6thrust23THRUST_200600_302600_NS6detail15normal_iteratorINSC_10device_ptrIKdEEEESI_EEEEESK_NSA_INS5_IJNSE_INSF_IdEEEESM_EEEEEPS7_SP_SP_NSC_11hip_rocprim7__merge17predicate_wrapperIddNSC_4lessIdEEEEEE10hipError_tPvRmT0_T1_T2_T3_T4_T5_mmT6_P12ihipStream_tbEUlT_E0_NS1_11comp_targetILNS1_3genE5ELNS1_11target_archE942ELNS1_3gpuE9ELNS1_3repE0EEENS1_30default_config_static_selectorELNS0_4arch9wavefront6targetE0EEEvS10_
    .private_segment_fixed_size: 0
    .sgpr_count:     0
    .sgpr_spill_count: 0
    .symbol:         _ZN7rocprim17ROCPRIM_400000_NS6detail17trampoline_kernelINS0_14default_configENS1_21merge_config_selectorINS0_5tupleIJddEEENS0_10empty_typeEEEZNS1_10merge_implIS3_NS0_12zip_iteratorINS5_IJN6thrust23THRUST_200600_302600_NS6detail15normal_iteratorINSC_10device_ptrIKdEEEESI_EEEEESK_NSA_INS5_IJNSE_INSF_IdEEEESM_EEEEEPS7_SP_SP_NSC_11hip_rocprim7__merge17predicate_wrapperIddNSC_4lessIdEEEEEE10hipError_tPvRmT0_T1_T2_T3_T4_T5_mmT6_P12ihipStream_tbEUlT_E0_NS1_11comp_targetILNS1_3genE5ELNS1_11target_archE942ELNS1_3gpuE9ELNS1_3repE0EEENS1_30default_config_static_selectorELNS0_4arch9wavefront6targetE0EEEvS10_.kd
    .uniform_work_group_size: 1
    .uses_dynamic_stack: false
    .vgpr_count:     0
    .vgpr_spill_count: 0
    .wavefront_size: 32
    .workgroup_processor_mode: 1
  - .args:
      - .offset:         0
        .size:           112
        .value_kind:     by_value
    .group_segment_fixed_size: 0
    .kernarg_segment_align: 8
    .kernarg_segment_size: 112
    .language:       OpenCL C
    .language_version:
      - 2
      - 0
    .max_flat_workgroup_size: 512
    .name:           _ZN7rocprim17ROCPRIM_400000_NS6detail17trampoline_kernelINS0_14default_configENS1_21merge_config_selectorINS0_5tupleIJddEEENS0_10empty_typeEEEZNS1_10merge_implIS3_NS0_12zip_iteratorINS5_IJN6thrust23THRUST_200600_302600_NS6detail15normal_iteratorINSC_10device_ptrIKdEEEESI_EEEEESK_NSA_INS5_IJNSE_INSF_IdEEEESM_EEEEEPS7_SP_SP_NSC_11hip_rocprim7__merge17predicate_wrapperIddNSC_4lessIdEEEEEE10hipError_tPvRmT0_T1_T2_T3_T4_T5_mmT6_P12ihipStream_tbEUlT_E0_NS1_11comp_targetILNS1_3genE4ELNS1_11target_archE910ELNS1_3gpuE8ELNS1_3repE0EEENS1_30default_config_static_selectorELNS0_4arch9wavefront6targetE0EEEvS10_
    .private_segment_fixed_size: 0
    .sgpr_count:     0
    .sgpr_spill_count: 0
    .symbol:         _ZN7rocprim17ROCPRIM_400000_NS6detail17trampoline_kernelINS0_14default_configENS1_21merge_config_selectorINS0_5tupleIJddEEENS0_10empty_typeEEEZNS1_10merge_implIS3_NS0_12zip_iteratorINS5_IJN6thrust23THRUST_200600_302600_NS6detail15normal_iteratorINSC_10device_ptrIKdEEEESI_EEEEESK_NSA_INS5_IJNSE_INSF_IdEEEESM_EEEEEPS7_SP_SP_NSC_11hip_rocprim7__merge17predicate_wrapperIddNSC_4lessIdEEEEEE10hipError_tPvRmT0_T1_T2_T3_T4_T5_mmT6_P12ihipStream_tbEUlT_E0_NS1_11comp_targetILNS1_3genE4ELNS1_11target_archE910ELNS1_3gpuE8ELNS1_3repE0EEENS1_30default_config_static_selectorELNS0_4arch9wavefront6targetE0EEEvS10_.kd
    .uniform_work_group_size: 1
    .uses_dynamic_stack: false
    .vgpr_count:     0
    .vgpr_spill_count: 0
    .wavefront_size: 32
    .workgroup_processor_mode: 1
  - .args:
      - .offset:         0
        .size:           112
        .value_kind:     by_value
    .group_segment_fixed_size: 0
    .kernarg_segment_align: 8
    .kernarg_segment_size: 112
    .language:       OpenCL C
    .language_version:
      - 2
      - 0
    .max_flat_workgroup_size: 512
    .name:           _ZN7rocprim17ROCPRIM_400000_NS6detail17trampoline_kernelINS0_14default_configENS1_21merge_config_selectorINS0_5tupleIJddEEENS0_10empty_typeEEEZNS1_10merge_implIS3_NS0_12zip_iteratorINS5_IJN6thrust23THRUST_200600_302600_NS6detail15normal_iteratorINSC_10device_ptrIKdEEEESI_EEEEESK_NSA_INS5_IJNSE_INSF_IdEEEESM_EEEEEPS7_SP_SP_NSC_11hip_rocprim7__merge17predicate_wrapperIddNSC_4lessIdEEEEEE10hipError_tPvRmT0_T1_T2_T3_T4_T5_mmT6_P12ihipStream_tbEUlT_E0_NS1_11comp_targetILNS1_3genE3ELNS1_11target_archE908ELNS1_3gpuE7ELNS1_3repE0EEENS1_30default_config_static_selectorELNS0_4arch9wavefront6targetE0EEEvS10_
    .private_segment_fixed_size: 0
    .sgpr_count:     0
    .sgpr_spill_count: 0
    .symbol:         _ZN7rocprim17ROCPRIM_400000_NS6detail17trampoline_kernelINS0_14default_configENS1_21merge_config_selectorINS0_5tupleIJddEEENS0_10empty_typeEEEZNS1_10merge_implIS3_NS0_12zip_iteratorINS5_IJN6thrust23THRUST_200600_302600_NS6detail15normal_iteratorINSC_10device_ptrIKdEEEESI_EEEEESK_NSA_INS5_IJNSE_INSF_IdEEEESM_EEEEEPS7_SP_SP_NSC_11hip_rocprim7__merge17predicate_wrapperIddNSC_4lessIdEEEEEE10hipError_tPvRmT0_T1_T2_T3_T4_T5_mmT6_P12ihipStream_tbEUlT_E0_NS1_11comp_targetILNS1_3genE3ELNS1_11target_archE908ELNS1_3gpuE7ELNS1_3repE0EEENS1_30default_config_static_selectorELNS0_4arch9wavefront6targetE0EEEvS10_.kd
    .uniform_work_group_size: 1
    .uses_dynamic_stack: false
    .vgpr_count:     0
    .vgpr_spill_count: 0
    .wavefront_size: 32
    .workgroup_processor_mode: 1
  - .args:
      - .offset:         0
        .size:           112
        .value_kind:     by_value
    .group_segment_fixed_size: 0
    .kernarg_segment_align: 8
    .kernarg_segment_size: 112
    .language:       OpenCL C
    .language_version:
      - 2
      - 0
    .max_flat_workgroup_size: 512
    .name:           _ZN7rocprim17ROCPRIM_400000_NS6detail17trampoline_kernelINS0_14default_configENS1_21merge_config_selectorINS0_5tupleIJddEEENS0_10empty_typeEEEZNS1_10merge_implIS3_NS0_12zip_iteratorINS5_IJN6thrust23THRUST_200600_302600_NS6detail15normal_iteratorINSC_10device_ptrIKdEEEESI_EEEEESK_NSA_INS5_IJNSE_INSF_IdEEEESM_EEEEEPS7_SP_SP_NSC_11hip_rocprim7__merge17predicate_wrapperIddNSC_4lessIdEEEEEE10hipError_tPvRmT0_T1_T2_T3_T4_T5_mmT6_P12ihipStream_tbEUlT_E0_NS1_11comp_targetILNS1_3genE2ELNS1_11target_archE906ELNS1_3gpuE6ELNS1_3repE0EEENS1_30default_config_static_selectorELNS0_4arch9wavefront6targetE0EEEvS10_
    .private_segment_fixed_size: 0
    .sgpr_count:     0
    .sgpr_spill_count: 0
    .symbol:         _ZN7rocprim17ROCPRIM_400000_NS6detail17trampoline_kernelINS0_14default_configENS1_21merge_config_selectorINS0_5tupleIJddEEENS0_10empty_typeEEEZNS1_10merge_implIS3_NS0_12zip_iteratorINS5_IJN6thrust23THRUST_200600_302600_NS6detail15normal_iteratorINSC_10device_ptrIKdEEEESI_EEEEESK_NSA_INS5_IJNSE_INSF_IdEEEESM_EEEEEPS7_SP_SP_NSC_11hip_rocprim7__merge17predicate_wrapperIddNSC_4lessIdEEEEEE10hipError_tPvRmT0_T1_T2_T3_T4_T5_mmT6_P12ihipStream_tbEUlT_E0_NS1_11comp_targetILNS1_3genE2ELNS1_11target_archE906ELNS1_3gpuE6ELNS1_3repE0EEENS1_30default_config_static_selectorELNS0_4arch9wavefront6targetE0EEEvS10_.kd
    .uniform_work_group_size: 1
    .uses_dynamic_stack: false
    .vgpr_count:     0
    .vgpr_spill_count: 0
    .wavefront_size: 32
    .workgroup_processor_mode: 1
  - .args:
      - .offset:         0
        .size:           112
        .value_kind:     by_value
    .group_segment_fixed_size: 0
    .kernarg_segment_align: 8
    .kernarg_segment_size: 112
    .language:       OpenCL C
    .language_version:
      - 2
      - 0
    .max_flat_workgroup_size: 512
    .name:           _ZN7rocprim17ROCPRIM_400000_NS6detail17trampoline_kernelINS0_14default_configENS1_21merge_config_selectorINS0_5tupleIJddEEENS0_10empty_typeEEEZNS1_10merge_implIS3_NS0_12zip_iteratorINS5_IJN6thrust23THRUST_200600_302600_NS6detail15normal_iteratorINSC_10device_ptrIKdEEEESI_EEEEESK_NSA_INS5_IJNSE_INSF_IdEEEESM_EEEEEPS7_SP_SP_NSC_11hip_rocprim7__merge17predicate_wrapperIddNSC_4lessIdEEEEEE10hipError_tPvRmT0_T1_T2_T3_T4_T5_mmT6_P12ihipStream_tbEUlT_E0_NS1_11comp_targetILNS1_3genE10ELNS1_11target_archE1201ELNS1_3gpuE5ELNS1_3repE0EEENS1_30default_config_static_selectorELNS0_4arch9wavefront6targetE0EEEvS10_
    .private_segment_fixed_size: 0
    .sgpr_count:     0
    .sgpr_spill_count: 0
    .symbol:         _ZN7rocprim17ROCPRIM_400000_NS6detail17trampoline_kernelINS0_14default_configENS1_21merge_config_selectorINS0_5tupleIJddEEENS0_10empty_typeEEEZNS1_10merge_implIS3_NS0_12zip_iteratorINS5_IJN6thrust23THRUST_200600_302600_NS6detail15normal_iteratorINSC_10device_ptrIKdEEEESI_EEEEESK_NSA_INS5_IJNSE_INSF_IdEEEESM_EEEEEPS7_SP_SP_NSC_11hip_rocprim7__merge17predicate_wrapperIddNSC_4lessIdEEEEEE10hipError_tPvRmT0_T1_T2_T3_T4_T5_mmT6_P12ihipStream_tbEUlT_E0_NS1_11comp_targetILNS1_3genE10ELNS1_11target_archE1201ELNS1_3gpuE5ELNS1_3repE0EEENS1_30default_config_static_selectorELNS0_4arch9wavefront6targetE0EEEvS10_.kd
    .uniform_work_group_size: 1
    .uses_dynamic_stack: false
    .vgpr_count:     0
    .vgpr_spill_count: 0
    .wavefront_size: 32
    .workgroup_processor_mode: 1
  - .args:
      - .offset:         0
        .size:           112
        .value_kind:     by_value
    .group_segment_fixed_size: 0
    .kernarg_segment_align: 8
    .kernarg_segment_size: 112
    .language:       OpenCL C
    .language_version:
      - 2
      - 0
    .max_flat_workgroup_size: 256
    .name:           _ZN7rocprim17ROCPRIM_400000_NS6detail17trampoline_kernelINS0_14default_configENS1_21merge_config_selectorINS0_5tupleIJddEEENS0_10empty_typeEEEZNS1_10merge_implIS3_NS0_12zip_iteratorINS5_IJN6thrust23THRUST_200600_302600_NS6detail15normal_iteratorINSC_10device_ptrIKdEEEESI_EEEEESK_NSA_INS5_IJNSE_INSF_IdEEEESM_EEEEEPS7_SP_SP_NSC_11hip_rocprim7__merge17predicate_wrapperIddNSC_4lessIdEEEEEE10hipError_tPvRmT0_T1_T2_T3_T4_T5_mmT6_P12ihipStream_tbEUlT_E0_NS1_11comp_targetILNS1_3genE10ELNS1_11target_archE1200ELNS1_3gpuE4ELNS1_3repE0EEENS1_30default_config_static_selectorELNS0_4arch9wavefront6targetE0EEEvS10_
    .private_segment_fixed_size: 0
    .sgpr_count:     0
    .sgpr_spill_count: 0
    .symbol:         _ZN7rocprim17ROCPRIM_400000_NS6detail17trampoline_kernelINS0_14default_configENS1_21merge_config_selectorINS0_5tupleIJddEEENS0_10empty_typeEEEZNS1_10merge_implIS3_NS0_12zip_iteratorINS5_IJN6thrust23THRUST_200600_302600_NS6detail15normal_iteratorINSC_10device_ptrIKdEEEESI_EEEEESK_NSA_INS5_IJNSE_INSF_IdEEEESM_EEEEEPS7_SP_SP_NSC_11hip_rocprim7__merge17predicate_wrapperIddNSC_4lessIdEEEEEE10hipError_tPvRmT0_T1_T2_T3_T4_T5_mmT6_P12ihipStream_tbEUlT_E0_NS1_11comp_targetILNS1_3genE10ELNS1_11target_archE1200ELNS1_3gpuE4ELNS1_3repE0EEENS1_30default_config_static_selectorELNS0_4arch9wavefront6targetE0EEEvS10_.kd
    .uniform_work_group_size: 1
    .uses_dynamic_stack: false
    .vgpr_count:     0
    .vgpr_spill_count: 0
    .wavefront_size: 32
    .workgroup_processor_mode: 1
  - .args:
      - .offset:         0
        .size:           112
        .value_kind:     by_value
    .group_segment_fixed_size: 0
    .kernarg_segment_align: 8
    .kernarg_segment_size: 112
    .language:       OpenCL C
    .language_version:
      - 2
      - 0
    .max_flat_workgroup_size: 1024
    .name:           _ZN7rocprim17ROCPRIM_400000_NS6detail17trampoline_kernelINS0_14default_configENS1_21merge_config_selectorINS0_5tupleIJddEEENS0_10empty_typeEEEZNS1_10merge_implIS3_NS0_12zip_iteratorINS5_IJN6thrust23THRUST_200600_302600_NS6detail15normal_iteratorINSC_10device_ptrIKdEEEESI_EEEEESK_NSA_INS5_IJNSE_INSF_IdEEEESM_EEEEEPS7_SP_SP_NSC_11hip_rocprim7__merge17predicate_wrapperIddNSC_4lessIdEEEEEE10hipError_tPvRmT0_T1_T2_T3_T4_T5_mmT6_P12ihipStream_tbEUlT_E0_NS1_11comp_targetILNS1_3genE9ELNS1_11target_archE1100ELNS1_3gpuE3ELNS1_3repE0EEENS1_30default_config_static_selectorELNS0_4arch9wavefront6targetE0EEEvS10_
    .private_segment_fixed_size: 0
    .sgpr_count:     0
    .sgpr_spill_count: 0
    .symbol:         _ZN7rocprim17ROCPRIM_400000_NS6detail17trampoline_kernelINS0_14default_configENS1_21merge_config_selectorINS0_5tupleIJddEEENS0_10empty_typeEEEZNS1_10merge_implIS3_NS0_12zip_iteratorINS5_IJN6thrust23THRUST_200600_302600_NS6detail15normal_iteratorINSC_10device_ptrIKdEEEESI_EEEEESK_NSA_INS5_IJNSE_INSF_IdEEEESM_EEEEEPS7_SP_SP_NSC_11hip_rocprim7__merge17predicate_wrapperIddNSC_4lessIdEEEEEE10hipError_tPvRmT0_T1_T2_T3_T4_T5_mmT6_P12ihipStream_tbEUlT_E0_NS1_11comp_targetILNS1_3genE9ELNS1_11target_archE1100ELNS1_3gpuE3ELNS1_3repE0EEENS1_30default_config_static_selectorELNS0_4arch9wavefront6targetE0EEEvS10_.kd
    .uniform_work_group_size: 1
    .uses_dynamic_stack: false
    .vgpr_count:     0
    .vgpr_spill_count: 0
    .wavefront_size: 32
    .workgroup_processor_mode: 1
  - .args:
      - .offset:         0
        .size:           112
        .value_kind:     by_value
    .group_segment_fixed_size: 33792
    .kernarg_segment_align: 8
    .kernarg_segment_size: 112
    .language:       OpenCL C
    .language_version:
      - 2
      - 0
    .max_flat_workgroup_size: 256
    .name:           _ZN7rocprim17ROCPRIM_400000_NS6detail17trampoline_kernelINS0_14default_configENS1_21merge_config_selectorINS0_5tupleIJddEEENS0_10empty_typeEEEZNS1_10merge_implIS3_NS0_12zip_iteratorINS5_IJN6thrust23THRUST_200600_302600_NS6detail15normal_iteratorINSC_10device_ptrIKdEEEESI_EEEEESK_NSA_INS5_IJNSE_INSF_IdEEEESM_EEEEEPS7_SP_SP_NSC_11hip_rocprim7__merge17predicate_wrapperIddNSC_4lessIdEEEEEE10hipError_tPvRmT0_T1_T2_T3_T4_T5_mmT6_P12ihipStream_tbEUlT_E0_NS1_11comp_targetILNS1_3genE8ELNS1_11target_archE1030ELNS1_3gpuE2ELNS1_3repE0EEENS1_30default_config_static_selectorELNS0_4arch9wavefront6targetE0EEEvS10_
    .private_segment_fixed_size: 0
    .sgpr_count:     28
    .sgpr_spill_count: 0
    .symbol:         _ZN7rocprim17ROCPRIM_400000_NS6detail17trampoline_kernelINS0_14default_configENS1_21merge_config_selectorINS0_5tupleIJddEEENS0_10empty_typeEEEZNS1_10merge_implIS3_NS0_12zip_iteratorINS5_IJN6thrust23THRUST_200600_302600_NS6detail15normal_iteratorINSC_10device_ptrIKdEEEESI_EEEEESK_NSA_INS5_IJNSE_INSF_IdEEEESM_EEEEEPS7_SP_SP_NSC_11hip_rocprim7__merge17predicate_wrapperIddNSC_4lessIdEEEEEE10hipError_tPvRmT0_T1_T2_T3_T4_T5_mmT6_P12ihipStream_tbEUlT_E0_NS1_11comp_targetILNS1_3genE8ELNS1_11target_archE1030ELNS1_3gpuE2ELNS1_3repE0EEENS1_30default_config_static_selectorELNS0_4arch9wavefront6targetE0EEEvS10_.kd
    .uniform_work_group_size: 1
    .uses_dynamic_stack: false
    .vgpr_count:     63
    .vgpr_spill_count: 0
    .wavefront_size: 32
    .workgroup_processor_mode: 1
  - .args:
      - .offset:         0
        .size:           72
        .value_kind:     by_value
    .group_segment_fixed_size: 0
    .kernarg_segment_align: 8
    .kernarg_segment_size: 72
    .language:       OpenCL C
    .language_version:
      - 2
      - 0
    .max_flat_workgroup_size: 128
    .name:           _ZN7rocprim17ROCPRIM_400000_NS6detail17trampoline_kernelINS0_14default_configENS1_22reduce_config_selectorIN6thrust23THRUST_200600_302600_NS5tupleIblNS6_9null_typeES8_S8_S8_S8_S8_S8_S8_EEEEZNS1_11reduce_implILb1ES3_PS9_SC_S9_NS6_11hip_rocprim9__find_if7functorIS9_EEEE10hipError_tPvRmT1_T2_T3_mT4_P12ihipStream_tbEUlT_E0_NS1_11comp_targetILNS1_3genE0ELNS1_11target_archE4294967295ELNS1_3gpuE0ELNS1_3repE0EEENS1_30default_config_static_selectorELNS0_4arch9wavefront6targetE0EEEvSK_
    .private_segment_fixed_size: 0
    .sgpr_count:     0
    .sgpr_spill_count: 0
    .symbol:         _ZN7rocprim17ROCPRIM_400000_NS6detail17trampoline_kernelINS0_14default_configENS1_22reduce_config_selectorIN6thrust23THRUST_200600_302600_NS5tupleIblNS6_9null_typeES8_S8_S8_S8_S8_S8_S8_EEEEZNS1_11reduce_implILb1ES3_PS9_SC_S9_NS6_11hip_rocprim9__find_if7functorIS9_EEEE10hipError_tPvRmT1_T2_T3_mT4_P12ihipStream_tbEUlT_E0_NS1_11comp_targetILNS1_3genE0ELNS1_11target_archE4294967295ELNS1_3gpuE0ELNS1_3repE0EEENS1_30default_config_static_selectorELNS0_4arch9wavefront6targetE0EEEvSK_.kd
    .uniform_work_group_size: 1
    .uses_dynamic_stack: false
    .vgpr_count:     0
    .vgpr_spill_count: 0
    .wavefront_size: 32
    .workgroup_processor_mode: 1
  - .args:
      - .offset:         0
        .size:           72
        .value_kind:     by_value
    .group_segment_fixed_size: 0
    .kernarg_segment_align: 8
    .kernarg_segment_size: 72
    .language:       OpenCL C
    .language_version:
      - 2
      - 0
    .max_flat_workgroup_size: 256
    .name:           _ZN7rocprim17ROCPRIM_400000_NS6detail17trampoline_kernelINS0_14default_configENS1_22reduce_config_selectorIN6thrust23THRUST_200600_302600_NS5tupleIblNS6_9null_typeES8_S8_S8_S8_S8_S8_S8_EEEEZNS1_11reduce_implILb1ES3_PS9_SC_S9_NS6_11hip_rocprim9__find_if7functorIS9_EEEE10hipError_tPvRmT1_T2_T3_mT4_P12ihipStream_tbEUlT_E0_NS1_11comp_targetILNS1_3genE5ELNS1_11target_archE942ELNS1_3gpuE9ELNS1_3repE0EEENS1_30default_config_static_selectorELNS0_4arch9wavefront6targetE0EEEvSK_
    .private_segment_fixed_size: 0
    .sgpr_count:     0
    .sgpr_spill_count: 0
    .symbol:         _ZN7rocprim17ROCPRIM_400000_NS6detail17trampoline_kernelINS0_14default_configENS1_22reduce_config_selectorIN6thrust23THRUST_200600_302600_NS5tupleIblNS6_9null_typeES8_S8_S8_S8_S8_S8_S8_EEEEZNS1_11reduce_implILb1ES3_PS9_SC_S9_NS6_11hip_rocprim9__find_if7functorIS9_EEEE10hipError_tPvRmT1_T2_T3_mT4_P12ihipStream_tbEUlT_E0_NS1_11comp_targetILNS1_3genE5ELNS1_11target_archE942ELNS1_3gpuE9ELNS1_3repE0EEENS1_30default_config_static_selectorELNS0_4arch9wavefront6targetE0EEEvSK_.kd
    .uniform_work_group_size: 1
    .uses_dynamic_stack: false
    .vgpr_count:     0
    .vgpr_spill_count: 0
    .wavefront_size: 32
    .workgroup_processor_mode: 1
  - .args:
      - .offset:         0
        .size:           72
        .value_kind:     by_value
    .group_segment_fixed_size: 0
    .kernarg_segment_align: 8
    .kernarg_segment_size: 72
    .language:       OpenCL C
    .language_version:
      - 2
      - 0
    .max_flat_workgroup_size: 256
    .name:           _ZN7rocprim17ROCPRIM_400000_NS6detail17trampoline_kernelINS0_14default_configENS1_22reduce_config_selectorIN6thrust23THRUST_200600_302600_NS5tupleIblNS6_9null_typeES8_S8_S8_S8_S8_S8_S8_EEEEZNS1_11reduce_implILb1ES3_PS9_SC_S9_NS6_11hip_rocprim9__find_if7functorIS9_EEEE10hipError_tPvRmT1_T2_T3_mT4_P12ihipStream_tbEUlT_E0_NS1_11comp_targetILNS1_3genE4ELNS1_11target_archE910ELNS1_3gpuE8ELNS1_3repE0EEENS1_30default_config_static_selectorELNS0_4arch9wavefront6targetE0EEEvSK_
    .private_segment_fixed_size: 0
    .sgpr_count:     0
    .sgpr_spill_count: 0
    .symbol:         _ZN7rocprim17ROCPRIM_400000_NS6detail17trampoline_kernelINS0_14default_configENS1_22reduce_config_selectorIN6thrust23THRUST_200600_302600_NS5tupleIblNS6_9null_typeES8_S8_S8_S8_S8_S8_S8_EEEEZNS1_11reduce_implILb1ES3_PS9_SC_S9_NS6_11hip_rocprim9__find_if7functorIS9_EEEE10hipError_tPvRmT1_T2_T3_mT4_P12ihipStream_tbEUlT_E0_NS1_11comp_targetILNS1_3genE4ELNS1_11target_archE910ELNS1_3gpuE8ELNS1_3repE0EEENS1_30default_config_static_selectorELNS0_4arch9wavefront6targetE0EEEvSK_.kd
    .uniform_work_group_size: 1
    .uses_dynamic_stack: false
    .vgpr_count:     0
    .vgpr_spill_count: 0
    .wavefront_size: 32
    .workgroup_processor_mode: 1
  - .args:
      - .offset:         0
        .size:           72
        .value_kind:     by_value
    .group_segment_fixed_size: 0
    .kernarg_segment_align: 8
    .kernarg_segment_size: 72
    .language:       OpenCL C
    .language_version:
      - 2
      - 0
    .max_flat_workgroup_size: 128
    .name:           _ZN7rocprim17ROCPRIM_400000_NS6detail17trampoline_kernelINS0_14default_configENS1_22reduce_config_selectorIN6thrust23THRUST_200600_302600_NS5tupleIblNS6_9null_typeES8_S8_S8_S8_S8_S8_S8_EEEEZNS1_11reduce_implILb1ES3_PS9_SC_S9_NS6_11hip_rocprim9__find_if7functorIS9_EEEE10hipError_tPvRmT1_T2_T3_mT4_P12ihipStream_tbEUlT_E0_NS1_11comp_targetILNS1_3genE3ELNS1_11target_archE908ELNS1_3gpuE7ELNS1_3repE0EEENS1_30default_config_static_selectorELNS0_4arch9wavefront6targetE0EEEvSK_
    .private_segment_fixed_size: 0
    .sgpr_count:     0
    .sgpr_spill_count: 0
    .symbol:         _ZN7rocprim17ROCPRIM_400000_NS6detail17trampoline_kernelINS0_14default_configENS1_22reduce_config_selectorIN6thrust23THRUST_200600_302600_NS5tupleIblNS6_9null_typeES8_S8_S8_S8_S8_S8_S8_EEEEZNS1_11reduce_implILb1ES3_PS9_SC_S9_NS6_11hip_rocprim9__find_if7functorIS9_EEEE10hipError_tPvRmT1_T2_T3_mT4_P12ihipStream_tbEUlT_E0_NS1_11comp_targetILNS1_3genE3ELNS1_11target_archE908ELNS1_3gpuE7ELNS1_3repE0EEENS1_30default_config_static_selectorELNS0_4arch9wavefront6targetE0EEEvSK_.kd
    .uniform_work_group_size: 1
    .uses_dynamic_stack: false
    .vgpr_count:     0
    .vgpr_spill_count: 0
    .wavefront_size: 32
    .workgroup_processor_mode: 1
  - .args:
      - .offset:         0
        .size:           72
        .value_kind:     by_value
    .group_segment_fixed_size: 0
    .kernarg_segment_align: 8
    .kernarg_segment_size: 72
    .language:       OpenCL C
    .language_version:
      - 2
      - 0
    .max_flat_workgroup_size: 128
    .name:           _ZN7rocprim17ROCPRIM_400000_NS6detail17trampoline_kernelINS0_14default_configENS1_22reduce_config_selectorIN6thrust23THRUST_200600_302600_NS5tupleIblNS6_9null_typeES8_S8_S8_S8_S8_S8_S8_EEEEZNS1_11reduce_implILb1ES3_PS9_SC_S9_NS6_11hip_rocprim9__find_if7functorIS9_EEEE10hipError_tPvRmT1_T2_T3_mT4_P12ihipStream_tbEUlT_E0_NS1_11comp_targetILNS1_3genE2ELNS1_11target_archE906ELNS1_3gpuE6ELNS1_3repE0EEENS1_30default_config_static_selectorELNS0_4arch9wavefront6targetE0EEEvSK_
    .private_segment_fixed_size: 0
    .sgpr_count:     0
    .sgpr_spill_count: 0
    .symbol:         _ZN7rocprim17ROCPRIM_400000_NS6detail17trampoline_kernelINS0_14default_configENS1_22reduce_config_selectorIN6thrust23THRUST_200600_302600_NS5tupleIblNS6_9null_typeES8_S8_S8_S8_S8_S8_S8_EEEEZNS1_11reduce_implILb1ES3_PS9_SC_S9_NS6_11hip_rocprim9__find_if7functorIS9_EEEE10hipError_tPvRmT1_T2_T3_mT4_P12ihipStream_tbEUlT_E0_NS1_11comp_targetILNS1_3genE2ELNS1_11target_archE906ELNS1_3gpuE6ELNS1_3repE0EEENS1_30default_config_static_selectorELNS0_4arch9wavefront6targetE0EEEvSK_.kd
    .uniform_work_group_size: 1
    .uses_dynamic_stack: false
    .vgpr_count:     0
    .vgpr_spill_count: 0
    .wavefront_size: 32
    .workgroup_processor_mode: 1
  - .args:
      - .offset:         0
        .size:           72
        .value_kind:     by_value
    .group_segment_fixed_size: 0
    .kernarg_segment_align: 8
    .kernarg_segment_size: 72
    .language:       OpenCL C
    .language_version:
      - 2
      - 0
    .max_flat_workgroup_size: 256
    .name:           _ZN7rocprim17ROCPRIM_400000_NS6detail17trampoline_kernelINS0_14default_configENS1_22reduce_config_selectorIN6thrust23THRUST_200600_302600_NS5tupleIblNS6_9null_typeES8_S8_S8_S8_S8_S8_S8_EEEEZNS1_11reduce_implILb1ES3_PS9_SC_S9_NS6_11hip_rocprim9__find_if7functorIS9_EEEE10hipError_tPvRmT1_T2_T3_mT4_P12ihipStream_tbEUlT_E0_NS1_11comp_targetILNS1_3genE10ELNS1_11target_archE1201ELNS1_3gpuE5ELNS1_3repE0EEENS1_30default_config_static_selectorELNS0_4arch9wavefront6targetE0EEEvSK_
    .private_segment_fixed_size: 0
    .sgpr_count:     0
    .sgpr_spill_count: 0
    .symbol:         _ZN7rocprim17ROCPRIM_400000_NS6detail17trampoline_kernelINS0_14default_configENS1_22reduce_config_selectorIN6thrust23THRUST_200600_302600_NS5tupleIblNS6_9null_typeES8_S8_S8_S8_S8_S8_S8_EEEEZNS1_11reduce_implILb1ES3_PS9_SC_S9_NS6_11hip_rocprim9__find_if7functorIS9_EEEE10hipError_tPvRmT1_T2_T3_mT4_P12ihipStream_tbEUlT_E0_NS1_11comp_targetILNS1_3genE10ELNS1_11target_archE1201ELNS1_3gpuE5ELNS1_3repE0EEENS1_30default_config_static_selectorELNS0_4arch9wavefront6targetE0EEEvSK_.kd
    .uniform_work_group_size: 1
    .uses_dynamic_stack: false
    .vgpr_count:     0
    .vgpr_spill_count: 0
    .wavefront_size: 32
    .workgroup_processor_mode: 1
  - .args:
      - .offset:         0
        .size:           72
        .value_kind:     by_value
    .group_segment_fixed_size: 0
    .kernarg_segment_align: 8
    .kernarg_segment_size: 72
    .language:       OpenCL C
    .language_version:
      - 2
      - 0
    .max_flat_workgroup_size: 256
    .name:           _ZN7rocprim17ROCPRIM_400000_NS6detail17trampoline_kernelINS0_14default_configENS1_22reduce_config_selectorIN6thrust23THRUST_200600_302600_NS5tupleIblNS6_9null_typeES8_S8_S8_S8_S8_S8_S8_EEEEZNS1_11reduce_implILb1ES3_PS9_SC_S9_NS6_11hip_rocprim9__find_if7functorIS9_EEEE10hipError_tPvRmT1_T2_T3_mT4_P12ihipStream_tbEUlT_E0_NS1_11comp_targetILNS1_3genE10ELNS1_11target_archE1200ELNS1_3gpuE4ELNS1_3repE0EEENS1_30default_config_static_selectorELNS0_4arch9wavefront6targetE0EEEvSK_
    .private_segment_fixed_size: 0
    .sgpr_count:     0
    .sgpr_spill_count: 0
    .symbol:         _ZN7rocprim17ROCPRIM_400000_NS6detail17trampoline_kernelINS0_14default_configENS1_22reduce_config_selectorIN6thrust23THRUST_200600_302600_NS5tupleIblNS6_9null_typeES8_S8_S8_S8_S8_S8_S8_EEEEZNS1_11reduce_implILb1ES3_PS9_SC_S9_NS6_11hip_rocprim9__find_if7functorIS9_EEEE10hipError_tPvRmT1_T2_T3_mT4_P12ihipStream_tbEUlT_E0_NS1_11comp_targetILNS1_3genE10ELNS1_11target_archE1200ELNS1_3gpuE4ELNS1_3repE0EEENS1_30default_config_static_selectorELNS0_4arch9wavefront6targetE0EEEvSK_.kd
    .uniform_work_group_size: 1
    .uses_dynamic_stack: false
    .vgpr_count:     0
    .vgpr_spill_count: 0
    .wavefront_size: 32
    .workgroup_processor_mode: 1
  - .args:
      - .offset:         0
        .size:           72
        .value_kind:     by_value
    .group_segment_fixed_size: 0
    .kernarg_segment_align: 8
    .kernarg_segment_size: 72
    .language:       OpenCL C
    .language_version:
      - 2
      - 0
    .max_flat_workgroup_size: 256
    .name:           _ZN7rocprim17ROCPRIM_400000_NS6detail17trampoline_kernelINS0_14default_configENS1_22reduce_config_selectorIN6thrust23THRUST_200600_302600_NS5tupleIblNS6_9null_typeES8_S8_S8_S8_S8_S8_S8_EEEEZNS1_11reduce_implILb1ES3_PS9_SC_S9_NS6_11hip_rocprim9__find_if7functorIS9_EEEE10hipError_tPvRmT1_T2_T3_mT4_P12ihipStream_tbEUlT_E0_NS1_11comp_targetILNS1_3genE9ELNS1_11target_archE1100ELNS1_3gpuE3ELNS1_3repE0EEENS1_30default_config_static_selectorELNS0_4arch9wavefront6targetE0EEEvSK_
    .private_segment_fixed_size: 0
    .sgpr_count:     0
    .sgpr_spill_count: 0
    .symbol:         _ZN7rocprim17ROCPRIM_400000_NS6detail17trampoline_kernelINS0_14default_configENS1_22reduce_config_selectorIN6thrust23THRUST_200600_302600_NS5tupleIblNS6_9null_typeES8_S8_S8_S8_S8_S8_S8_EEEEZNS1_11reduce_implILb1ES3_PS9_SC_S9_NS6_11hip_rocprim9__find_if7functorIS9_EEEE10hipError_tPvRmT1_T2_T3_mT4_P12ihipStream_tbEUlT_E0_NS1_11comp_targetILNS1_3genE9ELNS1_11target_archE1100ELNS1_3gpuE3ELNS1_3repE0EEENS1_30default_config_static_selectorELNS0_4arch9wavefront6targetE0EEEvSK_.kd
    .uniform_work_group_size: 1
    .uses_dynamic_stack: false
    .vgpr_count:     0
    .vgpr_spill_count: 0
    .wavefront_size: 32
    .workgroup_processor_mode: 1
  - .args:
      - .offset:         0
        .size:           72
        .value_kind:     by_value
    .group_segment_fixed_size: 256
    .kernarg_segment_align: 8
    .kernarg_segment_size: 72
    .language:       OpenCL C
    .language_version:
      - 2
      - 0
    .max_flat_workgroup_size: 256
    .name:           _ZN7rocprim17ROCPRIM_400000_NS6detail17trampoline_kernelINS0_14default_configENS1_22reduce_config_selectorIN6thrust23THRUST_200600_302600_NS5tupleIblNS6_9null_typeES8_S8_S8_S8_S8_S8_S8_EEEEZNS1_11reduce_implILb1ES3_PS9_SC_S9_NS6_11hip_rocprim9__find_if7functorIS9_EEEE10hipError_tPvRmT1_T2_T3_mT4_P12ihipStream_tbEUlT_E0_NS1_11comp_targetILNS1_3genE8ELNS1_11target_archE1030ELNS1_3gpuE2ELNS1_3repE0EEENS1_30default_config_static_selectorELNS0_4arch9wavefront6targetE0EEEvSK_
    .private_segment_fixed_size: 0
    .sgpr_count:     22
    .sgpr_spill_count: 0
    .symbol:         _ZN7rocprim17ROCPRIM_400000_NS6detail17trampoline_kernelINS0_14default_configENS1_22reduce_config_selectorIN6thrust23THRUST_200600_302600_NS5tupleIblNS6_9null_typeES8_S8_S8_S8_S8_S8_S8_EEEEZNS1_11reduce_implILb1ES3_PS9_SC_S9_NS6_11hip_rocprim9__find_if7functorIS9_EEEE10hipError_tPvRmT1_T2_T3_mT4_P12ihipStream_tbEUlT_E0_NS1_11comp_targetILNS1_3genE8ELNS1_11target_archE1030ELNS1_3gpuE2ELNS1_3repE0EEENS1_30default_config_static_selectorELNS0_4arch9wavefront6targetE0EEEvSK_.kd
    .uniform_work_group_size: 1
    .uses_dynamic_stack: false
    .vgpr_count:     12
    .vgpr_spill_count: 0
    .wavefront_size: 32
    .workgroup_processor_mode: 1
  - .args:
      - .offset:         0
        .size:           56
        .value_kind:     by_value
    .group_segment_fixed_size: 0
    .kernarg_segment_align: 8
    .kernarg_segment_size: 56
    .language:       OpenCL C
    .language_version:
      - 2
      - 0
    .max_flat_workgroup_size: 128
    .name:           _ZN7rocprim17ROCPRIM_400000_NS6detail17trampoline_kernelINS0_14default_configENS1_22reduce_config_selectorIN6thrust23THRUST_200600_302600_NS5tupleIblNS6_9null_typeES8_S8_S8_S8_S8_S8_S8_EEEEZNS1_11reduce_implILb1ES3_PS9_SC_S9_NS6_11hip_rocprim9__find_if7functorIS9_EEEE10hipError_tPvRmT1_T2_T3_mT4_P12ihipStream_tbEUlT_E1_NS1_11comp_targetILNS1_3genE0ELNS1_11target_archE4294967295ELNS1_3gpuE0ELNS1_3repE0EEENS1_30default_config_static_selectorELNS0_4arch9wavefront6targetE0EEEvSK_
    .private_segment_fixed_size: 0
    .sgpr_count:     0
    .sgpr_spill_count: 0
    .symbol:         _ZN7rocprim17ROCPRIM_400000_NS6detail17trampoline_kernelINS0_14default_configENS1_22reduce_config_selectorIN6thrust23THRUST_200600_302600_NS5tupleIblNS6_9null_typeES8_S8_S8_S8_S8_S8_S8_EEEEZNS1_11reduce_implILb1ES3_PS9_SC_S9_NS6_11hip_rocprim9__find_if7functorIS9_EEEE10hipError_tPvRmT1_T2_T3_mT4_P12ihipStream_tbEUlT_E1_NS1_11comp_targetILNS1_3genE0ELNS1_11target_archE4294967295ELNS1_3gpuE0ELNS1_3repE0EEENS1_30default_config_static_selectorELNS0_4arch9wavefront6targetE0EEEvSK_.kd
    .uniform_work_group_size: 1
    .uses_dynamic_stack: false
    .vgpr_count:     0
    .vgpr_spill_count: 0
    .wavefront_size: 32
    .workgroup_processor_mode: 1
  - .args:
      - .offset:         0
        .size:           56
        .value_kind:     by_value
    .group_segment_fixed_size: 0
    .kernarg_segment_align: 8
    .kernarg_segment_size: 56
    .language:       OpenCL C
    .language_version:
      - 2
      - 0
    .max_flat_workgroup_size: 256
    .name:           _ZN7rocprim17ROCPRIM_400000_NS6detail17trampoline_kernelINS0_14default_configENS1_22reduce_config_selectorIN6thrust23THRUST_200600_302600_NS5tupleIblNS6_9null_typeES8_S8_S8_S8_S8_S8_S8_EEEEZNS1_11reduce_implILb1ES3_PS9_SC_S9_NS6_11hip_rocprim9__find_if7functorIS9_EEEE10hipError_tPvRmT1_T2_T3_mT4_P12ihipStream_tbEUlT_E1_NS1_11comp_targetILNS1_3genE5ELNS1_11target_archE942ELNS1_3gpuE9ELNS1_3repE0EEENS1_30default_config_static_selectorELNS0_4arch9wavefront6targetE0EEEvSK_
    .private_segment_fixed_size: 0
    .sgpr_count:     0
    .sgpr_spill_count: 0
    .symbol:         _ZN7rocprim17ROCPRIM_400000_NS6detail17trampoline_kernelINS0_14default_configENS1_22reduce_config_selectorIN6thrust23THRUST_200600_302600_NS5tupleIblNS6_9null_typeES8_S8_S8_S8_S8_S8_S8_EEEEZNS1_11reduce_implILb1ES3_PS9_SC_S9_NS6_11hip_rocprim9__find_if7functorIS9_EEEE10hipError_tPvRmT1_T2_T3_mT4_P12ihipStream_tbEUlT_E1_NS1_11comp_targetILNS1_3genE5ELNS1_11target_archE942ELNS1_3gpuE9ELNS1_3repE0EEENS1_30default_config_static_selectorELNS0_4arch9wavefront6targetE0EEEvSK_.kd
    .uniform_work_group_size: 1
    .uses_dynamic_stack: false
    .vgpr_count:     0
    .vgpr_spill_count: 0
    .wavefront_size: 32
    .workgroup_processor_mode: 1
  - .args:
      - .offset:         0
        .size:           56
        .value_kind:     by_value
    .group_segment_fixed_size: 0
    .kernarg_segment_align: 8
    .kernarg_segment_size: 56
    .language:       OpenCL C
    .language_version:
      - 2
      - 0
    .max_flat_workgroup_size: 256
    .name:           _ZN7rocprim17ROCPRIM_400000_NS6detail17trampoline_kernelINS0_14default_configENS1_22reduce_config_selectorIN6thrust23THRUST_200600_302600_NS5tupleIblNS6_9null_typeES8_S8_S8_S8_S8_S8_S8_EEEEZNS1_11reduce_implILb1ES3_PS9_SC_S9_NS6_11hip_rocprim9__find_if7functorIS9_EEEE10hipError_tPvRmT1_T2_T3_mT4_P12ihipStream_tbEUlT_E1_NS1_11comp_targetILNS1_3genE4ELNS1_11target_archE910ELNS1_3gpuE8ELNS1_3repE0EEENS1_30default_config_static_selectorELNS0_4arch9wavefront6targetE0EEEvSK_
    .private_segment_fixed_size: 0
    .sgpr_count:     0
    .sgpr_spill_count: 0
    .symbol:         _ZN7rocprim17ROCPRIM_400000_NS6detail17trampoline_kernelINS0_14default_configENS1_22reduce_config_selectorIN6thrust23THRUST_200600_302600_NS5tupleIblNS6_9null_typeES8_S8_S8_S8_S8_S8_S8_EEEEZNS1_11reduce_implILb1ES3_PS9_SC_S9_NS6_11hip_rocprim9__find_if7functorIS9_EEEE10hipError_tPvRmT1_T2_T3_mT4_P12ihipStream_tbEUlT_E1_NS1_11comp_targetILNS1_3genE4ELNS1_11target_archE910ELNS1_3gpuE8ELNS1_3repE0EEENS1_30default_config_static_selectorELNS0_4arch9wavefront6targetE0EEEvSK_.kd
    .uniform_work_group_size: 1
    .uses_dynamic_stack: false
    .vgpr_count:     0
    .vgpr_spill_count: 0
    .wavefront_size: 32
    .workgroup_processor_mode: 1
  - .args:
      - .offset:         0
        .size:           56
        .value_kind:     by_value
    .group_segment_fixed_size: 0
    .kernarg_segment_align: 8
    .kernarg_segment_size: 56
    .language:       OpenCL C
    .language_version:
      - 2
      - 0
    .max_flat_workgroup_size: 128
    .name:           _ZN7rocprim17ROCPRIM_400000_NS6detail17trampoline_kernelINS0_14default_configENS1_22reduce_config_selectorIN6thrust23THRUST_200600_302600_NS5tupleIblNS6_9null_typeES8_S8_S8_S8_S8_S8_S8_EEEEZNS1_11reduce_implILb1ES3_PS9_SC_S9_NS6_11hip_rocprim9__find_if7functorIS9_EEEE10hipError_tPvRmT1_T2_T3_mT4_P12ihipStream_tbEUlT_E1_NS1_11comp_targetILNS1_3genE3ELNS1_11target_archE908ELNS1_3gpuE7ELNS1_3repE0EEENS1_30default_config_static_selectorELNS0_4arch9wavefront6targetE0EEEvSK_
    .private_segment_fixed_size: 0
    .sgpr_count:     0
    .sgpr_spill_count: 0
    .symbol:         _ZN7rocprim17ROCPRIM_400000_NS6detail17trampoline_kernelINS0_14default_configENS1_22reduce_config_selectorIN6thrust23THRUST_200600_302600_NS5tupleIblNS6_9null_typeES8_S8_S8_S8_S8_S8_S8_EEEEZNS1_11reduce_implILb1ES3_PS9_SC_S9_NS6_11hip_rocprim9__find_if7functorIS9_EEEE10hipError_tPvRmT1_T2_T3_mT4_P12ihipStream_tbEUlT_E1_NS1_11comp_targetILNS1_3genE3ELNS1_11target_archE908ELNS1_3gpuE7ELNS1_3repE0EEENS1_30default_config_static_selectorELNS0_4arch9wavefront6targetE0EEEvSK_.kd
    .uniform_work_group_size: 1
    .uses_dynamic_stack: false
    .vgpr_count:     0
    .vgpr_spill_count: 0
    .wavefront_size: 32
    .workgroup_processor_mode: 1
  - .args:
      - .offset:         0
        .size:           56
        .value_kind:     by_value
    .group_segment_fixed_size: 0
    .kernarg_segment_align: 8
    .kernarg_segment_size: 56
    .language:       OpenCL C
    .language_version:
      - 2
      - 0
    .max_flat_workgroup_size: 128
    .name:           _ZN7rocprim17ROCPRIM_400000_NS6detail17trampoline_kernelINS0_14default_configENS1_22reduce_config_selectorIN6thrust23THRUST_200600_302600_NS5tupleIblNS6_9null_typeES8_S8_S8_S8_S8_S8_S8_EEEEZNS1_11reduce_implILb1ES3_PS9_SC_S9_NS6_11hip_rocprim9__find_if7functorIS9_EEEE10hipError_tPvRmT1_T2_T3_mT4_P12ihipStream_tbEUlT_E1_NS1_11comp_targetILNS1_3genE2ELNS1_11target_archE906ELNS1_3gpuE6ELNS1_3repE0EEENS1_30default_config_static_selectorELNS0_4arch9wavefront6targetE0EEEvSK_
    .private_segment_fixed_size: 0
    .sgpr_count:     0
    .sgpr_spill_count: 0
    .symbol:         _ZN7rocprim17ROCPRIM_400000_NS6detail17trampoline_kernelINS0_14default_configENS1_22reduce_config_selectorIN6thrust23THRUST_200600_302600_NS5tupleIblNS6_9null_typeES8_S8_S8_S8_S8_S8_S8_EEEEZNS1_11reduce_implILb1ES3_PS9_SC_S9_NS6_11hip_rocprim9__find_if7functorIS9_EEEE10hipError_tPvRmT1_T2_T3_mT4_P12ihipStream_tbEUlT_E1_NS1_11comp_targetILNS1_3genE2ELNS1_11target_archE906ELNS1_3gpuE6ELNS1_3repE0EEENS1_30default_config_static_selectorELNS0_4arch9wavefront6targetE0EEEvSK_.kd
    .uniform_work_group_size: 1
    .uses_dynamic_stack: false
    .vgpr_count:     0
    .vgpr_spill_count: 0
    .wavefront_size: 32
    .workgroup_processor_mode: 1
  - .args:
      - .offset:         0
        .size:           56
        .value_kind:     by_value
    .group_segment_fixed_size: 0
    .kernarg_segment_align: 8
    .kernarg_segment_size: 56
    .language:       OpenCL C
    .language_version:
      - 2
      - 0
    .max_flat_workgroup_size: 256
    .name:           _ZN7rocprim17ROCPRIM_400000_NS6detail17trampoline_kernelINS0_14default_configENS1_22reduce_config_selectorIN6thrust23THRUST_200600_302600_NS5tupleIblNS6_9null_typeES8_S8_S8_S8_S8_S8_S8_EEEEZNS1_11reduce_implILb1ES3_PS9_SC_S9_NS6_11hip_rocprim9__find_if7functorIS9_EEEE10hipError_tPvRmT1_T2_T3_mT4_P12ihipStream_tbEUlT_E1_NS1_11comp_targetILNS1_3genE10ELNS1_11target_archE1201ELNS1_3gpuE5ELNS1_3repE0EEENS1_30default_config_static_selectorELNS0_4arch9wavefront6targetE0EEEvSK_
    .private_segment_fixed_size: 0
    .sgpr_count:     0
    .sgpr_spill_count: 0
    .symbol:         _ZN7rocprim17ROCPRIM_400000_NS6detail17trampoline_kernelINS0_14default_configENS1_22reduce_config_selectorIN6thrust23THRUST_200600_302600_NS5tupleIblNS6_9null_typeES8_S8_S8_S8_S8_S8_S8_EEEEZNS1_11reduce_implILb1ES3_PS9_SC_S9_NS6_11hip_rocprim9__find_if7functorIS9_EEEE10hipError_tPvRmT1_T2_T3_mT4_P12ihipStream_tbEUlT_E1_NS1_11comp_targetILNS1_3genE10ELNS1_11target_archE1201ELNS1_3gpuE5ELNS1_3repE0EEENS1_30default_config_static_selectorELNS0_4arch9wavefront6targetE0EEEvSK_.kd
    .uniform_work_group_size: 1
    .uses_dynamic_stack: false
    .vgpr_count:     0
    .vgpr_spill_count: 0
    .wavefront_size: 32
    .workgroup_processor_mode: 1
  - .args:
      - .offset:         0
        .size:           56
        .value_kind:     by_value
    .group_segment_fixed_size: 0
    .kernarg_segment_align: 8
    .kernarg_segment_size: 56
    .language:       OpenCL C
    .language_version:
      - 2
      - 0
    .max_flat_workgroup_size: 256
    .name:           _ZN7rocprim17ROCPRIM_400000_NS6detail17trampoline_kernelINS0_14default_configENS1_22reduce_config_selectorIN6thrust23THRUST_200600_302600_NS5tupleIblNS6_9null_typeES8_S8_S8_S8_S8_S8_S8_EEEEZNS1_11reduce_implILb1ES3_PS9_SC_S9_NS6_11hip_rocprim9__find_if7functorIS9_EEEE10hipError_tPvRmT1_T2_T3_mT4_P12ihipStream_tbEUlT_E1_NS1_11comp_targetILNS1_3genE10ELNS1_11target_archE1200ELNS1_3gpuE4ELNS1_3repE0EEENS1_30default_config_static_selectorELNS0_4arch9wavefront6targetE0EEEvSK_
    .private_segment_fixed_size: 0
    .sgpr_count:     0
    .sgpr_spill_count: 0
    .symbol:         _ZN7rocprim17ROCPRIM_400000_NS6detail17trampoline_kernelINS0_14default_configENS1_22reduce_config_selectorIN6thrust23THRUST_200600_302600_NS5tupleIblNS6_9null_typeES8_S8_S8_S8_S8_S8_S8_EEEEZNS1_11reduce_implILb1ES3_PS9_SC_S9_NS6_11hip_rocprim9__find_if7functorIS9_EEEE10hipError_tPvRmT1_T2_T3_mT4_P12ihipStream_tbEUlT_E1_NS1_11comp_targetILNS1_3genE10ELNS1_11target_archE1200ELNS1_3gpuE4ELNS1_3repE0EEENS1_30default_config_static_selectorELNS0_4arch9wavefront6targetE0EEEvSK_.kd
    .uniform_work_group_size: 1
    .uses_dynamic_stack: false
    .vgpr_count:     0
    .vgpr_spill_count: 0
    .wavefront_size: 32
    .workgroup_processor_mode: 1
  - .args:
      - .offset:         0
        .size:           56
        .value_kind:     by_value
    .group_segment_fixed_size: 0
    .kernarg_segment_align: 8
    .kernarg_segment_size: 56
    .language:       OpenCL C
    .language_version:
      - 2
      - 0
    .max_flat_workgroup_size: 256
    .name:           _ZN7rocprim17ROCPRIM_400000_NS6detail17trampoline_kernelINS0_14default_configENS1_22reduce_config_selectorIN6thrust23THRUST_200600_302600_NS5tupleIblNS6_9null_typeES8_S8_S8_S8_S8_S8_S8_EEEEZNS1_11reduce_implILb1ES3_PS9_SC_S9_NS6_11hip_rocprim9__find_if7functorIS9_EEEE10hipError_tPvRmT1_T2_T3_mT4_P12ihipStream_tbEUlT_E1_NS1_11comp_targetILNS1_3genE9ELNS1_11target_archE1100ELNS1_3gpuE3ELNS1_3repE0EEENS1_30default_config_static_selectorELNS0_4arch9wavefront6targetE0EEEvSK_
    .private_segment_fixed_size: 0
    .sgpr_count:     0
    .sgpr_spill_count: 0
    .symbol:         _ZN7rocprim17ROCPRIM_400000_NS6detail17trampoline_kernelINS0_14default_configENS1_22reduce_config_selectorIN6thrust23THRUST_200600_302600_NS5tupleIblNS6_9null_typeES8_S8_S8_S8_S8_S8_S8_EEEEZNS1_11reduce_implILb1ES3_PS9_SC_S9_NS6_11hip_rocprim9__find_if7functorIS9_EEEE10hipError_tPvRmT1_T2_T3_mT4_P12ihipStream_tbEUlT_E1_NS1_11comp_targetILNS1_3genE9ELNS1_11target_archE1100ELNS1_3gpuE3ELNS1_3repE0EEENS1_30default_config_static_selectorELNS0_4arch9wavefront6targetE0EEEvSK_.kd
    .uniform_work_group_size: 1
    .uses_dynamic_stack: false
    .vgpr_count:     0
    .vgpr_spill_count: 0
    .wavefront_size: 32
    .workgroup_processor_mode: 1
  - .args:
      - .offset:         0
        .size:           56
        .value_kind:     by_value
    .group_segment_fixed_size: 640
    .kernarg_segment_align: 8
    .kernarg_segment_size: 56
    .language:       OpenCL C
    .language_version:
      - 2
      - 0
    .max_flat_workgroup_size: 256
    .name:           _ZN7rocprim17ROCPRIM_400000_NS6detail17trampoline_kernelINS0_14default_configENS1_22reduce_config_selectorIN6thrust23THRUST_200600_302600_NS5tupleIblNS6_9null_typeES8_S8_S8_S8_S8_S8_S8_EEEEZNS1_11reduce_implILb1ES3_PS9_SC_S9_NS6_11hip_rocprim9__find_if7functorIS9_EEEE10hipError_tPvRmT1_T2_T3_mT4_P12ihipStream_tbEUlT_E1_NS1_11comp_targetILNS1_3genE8ELNS1_11target_archE1030ELNS1_3gpuE2ELNS1_3repE0EEENS1_30default_config_static_selectorELNS0_4arch9wavefront6targetE0EEEvSK_
    .private_segment_fixed_size: 0
    .sgpr_count:     25
    .sgpr_spill_count: 0
    .symbol:         _ZN7rocprim17ROCPRIM_400000_NS6detail17trampoline_kernelINS0_14default_configENS1_22reduce_config_selectorIN6thrust23THRUST_200600_302600_NS5tupleIblNS6_9null_typeES8_S8_S8_S8_S8_S8_S8_EEEEZNS1_11reduce_implILb1ES3_PS9_SC_S9_NS6_11hip_rocprim9__find_if7functorIS9_EEEE10hipError_tPvRmT1_T2_T3_mT4_P12ihipStream_tbEUlT_E1_NS1_11comp_targetILNS1_3genE8ELNS1_11target_archE1030ELNS1_3gpuE2ELNS1_3repE0EEENS1_30default_config_static_selectorELNS0_4arch9wavefront6targetE0EEEvSK_.kd
    .uniform_work_group_size: 1
    .uses_dynamic_stack: false
    .vgpr_count:     29
    .vgpr_spill_count: 0
    .wavefront_size: 32
    .workgroup_processor_mode: 1
  - .args:
      - .offset:         0
        .size:           104
        .value_kind:     by_value
    .group_segment_fixed_size: 0
    .kernarg_segment_align: 8
    .kernarg_segment_size: 104
    .language:       OpenCL C
    .language_version:
      - 2
      - 0
    .max_flat_workgroup_size: 128
    .name:           _ZN7rocprim17ROCPRIM_400000_NS6detail17trampoline_kernelINS0_14default_configENS1_22reduce_config_selectorIN6thrust23THRUST_200600_302600_NS5tupleIblNS6_9null_typeES8_S8_S8_S8_S8_S8_S8_EEEEZNS1_11reduce_implILb1ES3_NS6_12zip_iteratorINS7_INS6_11hip_rocprim26transform_input_iterator_tIbNSD_35transform_pair_of_input_iterators_tIbNS6_6detail15normal_iteratorINS6_10device_ptrIKdEEEESL_NS6_8equal_toIdEEEENSG_9not_fun_tINSD_8identityEEEEENSD_19counting_iterator_tIlEES8_S8_S8_S8_S8_S8_S8_S8_EEEEPS9_S9_NSD_9__find_if7functorIS9_EEEE10hipError_tPvRmT1_T2_T3_mT4_P12ihipStream_tbEUlT_E0_NS1_11comp_targetILNS1_3genE0ELNS1_11target_archE4294967295ELNS1_3gpuE0ELNS1_3repE0EEENS1_30default_config_static_selectorELNS0_4arch9wavefront6targetE0EEEvS14_
    .private_segment_fixed_size: 0
    .sgpr_count:     0
    .sgpr_spill_count: 0
    .symbol:         _ZN7rocprim17ROCPRIM_400000_NS6detail17trampoline_kernelINS0_14default_configENS1_22reduce_config_selectorIN6thrust23THRUST_200600_302600_NS5tupleIblNS6_9null_typeES8_S8_S8_S8_S8_S8_S8_EEEEZNS1_11reduce_implILb1ES3_NS6_12zip_iteratorINS7_INS6_11hip_rocprim26transform_input_iterator_tIbNSD_35transform_pair_of_input_iterators_tIbNS6_6detail15normal_iteratorINS6_10device_ptrIKdEEEESL_NS6_8equal_toIdEEEENSG_9not_fun_tINSD_8identityEEEEENSD_19counting_iterator_tIlEES8_S8_S8_S8_S8_S8_S8_S8_EEEEPS9_S9_NSD_9__find_if7functorIS9_EEEE10hipError_tPvRmT1_T2_T3_mT4_P12ihipStream_tbEUlT_E0_NS1_11comp_targetILNS1_3genE0ELNS1_11target_archE4294967295ELNS1_3gpuE0ELNS1_3repE0EEENS1_30default_config_static_selectorELNS0_4arch9wavefront6targetE0EEEvS14_.kd
    .uniform_work_group_size: 1
    .uses_dynamic_stack: false
    .vgpr_count:     0
    .vgpr_spill_count: 0
    .wavefront_size: 32
    .workgroup_processor_mode: 1
  - .args:
      - .offset:         0
        .size:           104
        .value_kind:     by_value
    .group_segment_fixed_size: 0
    .kernarg_segment_align: 8
    .kernarg_segment_size: 104
    .language:       OpenCL C
    .language_version:
      - 2
      - 0
    .max_flat_workgroup_size: 256
    .name:           _ZN7rocprim17ROCPRIM_400000_NS6detail17trampoline_kernelINS0_14default_configENS1_22reduce_config_selectorIN6thrust23THRUST_200600_302600_NS5tupleIblNS6_9null_typeES8_S8_S8_S8_S8_S8_S8_EEEEZNS1_11reduce_implILb1ES3_NS6_12zip_iteratorINS7_INS6_11hip_rocprim26transform_input_iterator_tIbNSD_35transform_pair_of_input_iterators_tIbNS6_6detail15normal_iteratorINS6_10device_ptrIKdEEEESL_NS6_8equal_toIdEEEENSG_9not_fun_tINSD_8identityEEEEENSD_19counting_iterator_tIlEES8_S8_S8_S8_S8_S8_S8_S8_EEEEPS9_S9_NSD_9__find_if7functorIS9_EEEE10hipError_tPvRmT1_T2_T3_mT4_P12ihipStream_tbEUlT_E0_NS1_11comp_targetILNS1_3genE5ELNS1_11target_archE942ELNS1_3gpuE9ELNS1_3repE0EEENS1_30default_config_static_selectorELNS0_4arch9wavefront6targetE0EEEvS14_
    .private_segment_fixed_size: 0
    .sgpr_count:     0
    .sgpr_spill_count: 0
    .symbol:         _ZN7rocprim17ROCPRIM_400000_NS6detail17trampoline_kernelINS0_14default_configENS1_22reduce_config_selectorIN6thrust23THRUST_200600_302600_NS5tupleIblNS6_9null_typeES8_S8_S8_S8_S8_S8_S8_EEEEZNS1_11reduce_implILb1ES3_NS6_12zip_iteratorINS7_INS6_11hip_rocprim26transform_input_iterator_tIbNSD_35transform_pair_of_input_iterators_tIbNS6_6detail15normal_iteratorINS6_10device_ptrIKdEEEESL_NS6_8equal_toIdEEEENSG_9not_fun_tINSD_8identityEEEEENSD_19counting_iterator_tIlEES8_S8_S8_S8_S8_S8_S8_S8_EEEEPS9_S9_NSD_9__find_if7functorIS9_EEEE10hipError_tPvRmT1_T2_T3_mT4_P12ihipStream_tbEUlT_E0_NS1_11comp_targetILNS1_3genE5ELNS1_11target_archE942ELNS1_3gpuE9ELNS1_3repE0EEENS1_30default_config_static_selectorELNS0_4arch9wavefront6targetE0EEEvS14_.kd
    .uniform_work_group_size: 1
    .uses_dynamic_stack: false
    .vgpr_count:     0
    .vgpr_spill_count: 0
    .wavefront_size: 32
    .workgroup_processor_mode: 1
  - .args:
      - .offset:         0
        .size:           104
        .value_kind:     by_value
    .group_segment_fixed_size: 0
    .kernarg_segment_align: 8
    .kernarg_segment_size: 104
    .language:       OpenCL C
    .language_version:
      - 2
      - 0
    .max_flat_workgroup_size: 256
    .name:           _ZN7rocprim17ROCPRIM_400000_NS6detail17trampoline_kernelINS0_14default_configENS1_22reduce_config_selectorIN6thrust23THRUST_200600_302600_NS5tupleIblNS6_9null_typeES8_S8_S8_S8_S8_S8_S8_EEEEZNS1_11reduce_implILb1ES3_NS6_12zip_iteratorINS7_INS6_11hip_rocprim26transform_input_iterator_tIbNSD_35transform_pair_of_input_iterators_tIbNS6_6detail15normal_iteratorINS6_10device_ptrIKdEEEESL_NS6_8equal_toIdEEEENSG_9not_fun_tINSD_8identityEEEEENSD_19counting_iterator_tIlEES8_S8_S8_S8_S8_S8_S8_S8_EEEEPS9_S9_NSD_9__find_if7functorIS9_EEEE10hipError_tPvRmT1_T2_T3_mT4_P12ihipStream_tbEUlT_E0_NS1_11comp_targetILNS1_3genE4ELNS1_11target_archE910ELNS1_3gpuE8ELNS1_3repE0EEENS1_30default_config_static_selectorELNS0_4arch9wavefront6targetE0EEEvS14_
    .private_segment_fixed_size: 0
    .sgpr_count:     0
    .sgpr_spill_count: 0
    .symbol:         _ZN7rocprim17ROCPRIM_400000_NS6detail17trampoline_kernelINS0_14default_configENS1_22reduce_config_selectorIN6thrust23THRUST_200600_302600_NS5tupleIblNS6_9null_typeES8_S8_S8_S8_S8_S8_S8_EEEEZNS1_11reduce_implILb1ES3_NS6_12zip_iteratorINS7_INS6_11hip_rocprim26transform_input_iterator_tIbNSD_35transform_pair_of_input_iterators_tIbNS6_6detail15normal_iteratorINS6_10device_ptrIKdEEEESL_NS6_8equal_toIdEEEENSG_9not_fun_tINSD_8identityEEEEENSD_19counting_iterator_tIlEES8_S8_S8_S8_S8_S8_S8_S8_EEEEPS9_S9_NSD_9__find_if7functorIS9_EEEE10hipError_tPvRmT1_T2_T3_mT4_P12ihipStream_tbEUlT_E0_NS1_11comp_targetILNS1_3genE4ELNS1_11target_archE910ELNS1_3gpuE8ELNS1_3repE0EEENS1_30default_config_static_selectorELNS0_4arch9wavefront6targetE0EEEvS14_.kd
    .uniform_work_group_size: 1
    .uses_dynamic_stack: false
    .vgpr_count:     0
    .vgpr_spill_count: 0
    .wavefront_size: 32
    .workgroup_processor_mode: 1
  - .args:
      - .offset:         0
        .size:           104
        .value_kind:     by_value
    .group_segment_fixed_size: 0
    .kernarg_segment_align: 8
    .kernarg_segment_size: 104
    .language:       OpenCL C
    .language_version:
      - 2
      - 0
    .max_flat_workgroup_size: 128
    .name:           _ZN7rocprim17ROCPRIM_400000_NS6detail17trampoline_kernelINS0_14default_configENS1_22reduce_config_selectorIN6thrust23THRUST_200600_302600_NS5tupleIblNS6_9null_typeES8_S8_S8_S8_S8_S8_S8_EEEEZNS1_11reduce_implILb1ES3_NS6_12zip_iteratorINS7_INS6_11hip_rocprim26transform_input_iterator_tIbNSD_35transform_pair_of_input_iterators_tIbNS6_6detail15normal_iteratorINS6_10device_ptrIKdEEEESL_NS6_8equal_toIdEEEENSG_9not_fun_tINSD_8identityEEEEENSD_19counting_iterator_tIlEES8_S8_S8_S8_S8_S8_S8_S8_EEEEPS9_S9_NSD_9__find_if7functorIS9_EEEE10hipError_tPvRmT1_T2_T3_mT4_P12ihipStream_tbEUlT_E0_NS1_11comp_targetILNS1_3genE3ELNS1_11target_archE908ELNS1_3gpuE7ELNS1_3repE0EEENS1_30default_config_static_selectorELNS0_4arch9wavefront6targetE0EEEvS14_
    .private_segment_fixed_size: 0
    .sgpr_count:     0
    .sgpr_spill_count: 0
    .symbol:         _ZN7rocprim17ROCPRIM_400000_NS6detail17trampoline_kernelINS0_14default_configENS1_22reduce_config_selectorIN6thrust23THRUST_200600_302600_NS5tupleIblNS6_9null_typeES8_S8_S8_S8_S8_S8_S8_EEEEZNS1_11reduce_implILb1ES3_NS6_12zip_iteratorINS7_INS6_11hip_rocprim26transform_input_iterator_tIbNSD_35transform_pair_of_input_iterators_tIbNS6_6detail15normal_iteratorINS6_10device_ptrIKdEEEESL_NS6_8equal_toIdEEEENSG_9not_fun_tINSD_8identityEEEEENSD_19counting_iterator_tIlEES8_S8_S8_S8_S8_S8_S8_S8_EEEEPS9_S9_NSD_9__find_if7functorIS9_EEEE10hipError_tPvRmT1_T2_T3_mT4_P12ihipStream_tbEUlT_E0_NS1_11comp_targetILNS1_3genE3ELNS1_11target_archE908ELNS1_3gpuE7ELNS1_3repE0EEENS1_30default_config_static_selectorELNS0_4arch9wavefront6targetE0EEEvS14_.kd
    .uniform_work_group_size: 1
    .uses_dynamic_stack: false
    .vgpr_count:     0
    .vgpr_spill_count: 0
    .wavefront_size: 32
    .workgroup_processor_mode: 1
  - .args:
      - .offset:         0
        .size:           104
        .value_kind:     by_value
    .group_segment_fixed_size: 0
    .kernarg_segment_align: 8
    .kernarg_segment_size: 104
    .language:       OpenCL C
    .language_version:
      - 2
      - 0
    .max_flat_workgroup_size: 128
    .name:           _ZN7rocprim17ROCPRIM_400000_NS6detail17trampoline_kernelINS0_14default_configENS1_22reduce_config_selectorIN6thrust23THRUST_200600_302600_NS5tupleIblNS6_9null_typeES8_S8_S8_S8_S8_S8_S8_EEEEZNS1_11reduce_implILb1ES3_NS6_12zip_iteratorINS7_INS6_11hip_rocprim26transform_input_iterator_tIbNSD_35transform_pair_of_input_iterators_tIbNS6_6detail15normal_iteratorINS6_10device_ptrIKdEEEESL_NS6_8equal_toIdEEEENSG_9not_fun_tINSD_8identityEEEEENSD_19counting_iterator_tIlEES8_S8_S8_S8_S8_S8_S8_S8_EEEEPS9_S9_NSD_9__find_if7functorIS9_EEEE10hipError_tPvRmT1_T2_T3_mT4_P12ihipStream_tbEUlT_E0_NS1_11comp_targetILNS1_3genE2ELNS1_11target_archE906ELNS1_3gpuE6ELNS1_3repE0EEENS1_30default_config_static_selectorELNS0_4arch9wavefront6targetE0EEEvS14_
    .private_segment_fixed_size: 0
    .sgpr_count:     0
    .sgpr_spill_count: 0
    .symbol:         _ZN7rocprim17ROCPRIM_400000_NS6detail17trampoline_kernelINS0_14default_configENS1_22reduce_config_selectorIN6thrust23THRUST_200600_302600_NS5tupleIblNS6_9null_typeES8_S8_S8_S8_S8_S8_S8_EEEEZNS1_11reduce_implILb1ES3_NS6_12zip_iteratorINS7_INS6_11hip_rocprim26transform_input_iterator_tIbNSD_35transform_pair_of_input_iterators_tIbNS6_6detail15normal_iteratorINS6_10device_ptrIKdEEEESL_NS6_8equal_toIdEEEENSG_9not_fun_tINSD_8identityEEEEENSD_19counting_iterator_tIlEES8_S8_S8_S8_S8_S8_S8_S8_EEEEPS9_S9_NSD_9__find_if7functorIS9_EEEE10hipError_tPvRmT1_T2_T3_mT4_P12ihipStream_tbEUlT_E0_NS1_11comp_targetILNS1_3genE2ELNS1_11target_archE906ELNS1_3gpuE6ELNS1_3repE0EEENS1_30default_config_static_selectorELNS0_4arch9wavefront6targetE0EEEvS14_.kd
    .uniform_work_group_size: 1
    .uses_dynamic_stack: false
    .vgpr_count:     0
    .vgpr_spill_count: 0
    .wavefront_size: 32
    .workgroup_processor_mode: 1
  - .args:
      - .offset:         0
        .size:           104
        .value_kind:     by_value
    .group_segment_fixed_size: 0
    .kernarg_segment_align: 8
    .kernarg_segment_size: 104
    .language:       OpenCL C
    .language_version:
      - 2
      - 0
    .max_flat_workgroup_size: 256
    .name:           _ZN7rocprim17ROCPRIM_400000_NS6detail17trampoline_kernelINS0_14default_configENS1_22reduce_config_selectorIN6thrust23THRUST_200600_302600_NS5tupleIblNS6_9null_typeES8_S8_S8_S8_S8_S8_S8_EEEEZNS1_11reduce_implILb1ES3_NS6_12zip_iteratorINS7_INS6_11hip_rocprim26transform_input_iterator_tIbNSD_35transform_pair_of_input_iterators_tIbNS6_6detail15normal_iteratorINS6_10device_ptrIKdEEEESL_NS6_8equal_toIdEEEENSG_9not_fun_tINSD_8identityEEEEENSD_19counting_iterator_tIlEES8_S8_S8_S8_S8_S8_S8_S8_EEEEPS9_S9_NSD_9__find_if7functorIS9_EEEE10hipError_tPvRmT1_T2_T3_mT4_P12ihipStream_tbEUlT_E0_NS1_11comp_targetILNS1_3genE10ELNS1_11target_archE1201ELNS1_3gpuE5ELNS1_3repE0EEENS1_30default_config_static_selectorELNS0_4arch9wavefront6targetE0EEEvS14_
    .private_segment_fixed_size: 0
    .sgpr_count:     0
    .sgpr_spill_count: 0
    .symbol:         _ZN7rocprim17ROCPRIM_400000_NS6detail17trampoline_kernelINS0_14default_configENS1_22reduce_config_selectorIN6thrust23THRUST_200600_302600_NS5tupleIblNS6_9null_typeES8_S8_S8_S8_S8_S8_S8_EEEEZNS1_11reduce_implILb1ES3_NS6_12zip_iteratorINS7_INS6_11hip_rocprim26transform_input_iterator_tIbNSD_35transform_pair_of_input_iterators_tIbNS6_6detail15normal_iteratorINS6_10device_ptrIKdEEEESL_NS6_8equal_toIdEEEENSG_9not_fun_tINSD_8identityEEEEENSD_19counting_iterator_tIlEES8_S8_S8_S8_S8_S8_S8_S8_EEEEPS9_S9_NSD_9__find_if7functorIS9_EEEE10hipError_tPvRmT1_T2_T3_mT4_P12ihipStream_tbEUlT_E0_NS1_11comp_targetILNS1_3genE10ELNS1_11target_archE1201ELNS1_3gpuE5ELNS1_3repE0EEENS1_30default_config_static_selectorELNS0_4arch9wavefront6targetE0EEEvS14_.kd
    .uniform_work_group_size: 1
    .uses_dynamic_stack: false
    .vgpr_count:     0
    .vgpr_spill_count: 0
    .wavefront_size: 32
    .workgroup_processor_mode: 1
  - .args:
      - .offset:         0
        .size:           104
        .value_kind:     by_value
    .group_segment_fixed_size: 0
    .kernarg_segment_align: 8
    .kernarg_segment_size: 104
    .language:       OpenCL C
    .language_version:
      - 2
      - 0
    .max_flat_workgroup_size: 256
    .name:           _ZN7rocprim17ROCPRIM_400000_NS6detail17trampoline_kernelINS0_14default_configENS1_22reduce_config_selectorIN6thrust23THRUST_200600_302600_NS5tupleIblNS6_9null_typeES8_S8_S8_S8_S8_S8_S8_EEEEZNS1_11reduce_implILb1ES3_NS6_12zip_iteratorINS7_INS6_11hip_rocprim26transform_input_iterator_tIbNSD_35transform_pair_of_input_iterators_tIbNS6_6detail15normal_iteratorINS6_10device_ptrIKdEEEESL_NS6_8equal_toIdEEEENSG_9not_fun_tINSD_8identityEEEEENSD_19counting_iterator_tIlEES8_S8_S8_S8_S8_S8_S8_S8_EEEEPS9_S9_NSD_9__find_if7functorIS9_EEEE10hipError_tPvRmT1_T2_T3_mT4_P12ihipStream_tbEUlT_E0_NS1_11comp_targetILNS1_3genE10ELNS1_11target_archE1200ELNS1_3gpuE4ELNS1_3repE0EEENS1_30default_config_static_selectorELNS0_4arch9wavefront6targetE0EEEvS14_
    .private_segment_fixed_size: 0
    .sgpr_count:     0
    .sgpr_spill_count: 0
    .symbol:         _ZN7rocprim17ROCPRIM_400000_NS6detail17trampoline_kernelINS0_14default_configENS1_22reduce_config_selectorIN6thrust23THRUST_200600_302600_NS5tupleIblNS6_9null_typeES8_S8_S8_S8_S8_S8_S8_EEEEZNS1_11reduce_implILb1ES3_NS6_12zip_iteratorINS7_INS6_11hip_rocprim26transform_input_iterator_tIbNSD_35transform_pair_of_input_iterators_tIbNS6_6detail15normal_iteratorINS6_10device_ptrIKdEEEESL_NS6_8equal_toIdEEEENSG_9not_fun_tINSD_8identityEEEEENSD_19counting_iterator_tIlEES8_S8_S8_S8_S8_S8_S8_S8_EEEEPS9_S9_NSD_9__find_if7functorIS9_EEEE10hipError_tPvRmT1_T2_T3_mT4_P12ihipStream_tbEUlT_E0_NS1_11comp_targetILNS1_3genE10ELNS1_11target_archE1200ELNS1_3gpuE4ELNS1_3repE0EEENS1_30default_config_static_selectorELNS0_4arch9wavefront6targetE0EEEvS14_.kd
    .uniform_work_group_size: 1
    .uses_dynamic_stack: false
    .vgpr_count:     0
    .vgpr_spill_count: 0
    .wavefront_size: 32
    .workgroup_processor_mode: 1
  - .args:
      - .offset:         0
        .size:           104
        .value_kind:     by_value
    .group_segment_fixed_size: 0
    .kernarg_segment_align: 8
    .kernarg_segment_size: 104
    .language:       OpenCL C
    .language_version:
      - 2
      - 0
    .max_flat_workgroup_size: 256
    .name:           _ZN7rocprim17ROCPRIM_400000_NS6detail17trampoline_kernelINS0_14default_configENS1_22reduce_config_selectorIN6thrust23THRUST_200600_302600_NS5tupleIblNS6_9null_typeES8_S8_S8_S8_S8_S8_S8_EEEEZNS1_11reduce_implILb1ES3_NS6_12zip_iteratorINS7_INS6_11hip_rocprim26transform_input_iterator_tIbNSD_35transform_pair_of_input_iterators_tIbNS6_6detail15normal_iteratorINS6_10device_ptrIKdEEEESL_NS6_8equal_toIdEEEENSG_9not_fun_tINSD_8identityEEEEENSD_19counting_iterator_tIlEES8_S8_S8_S8_S8_S8_S8_S8_EEEEPS9_S9_NSD_9__find_if7functorIS9_EEEE10hipError_tPvRmT1_T2_T3_mT4_P12ihipStream_tbEUlT_E0_NS1_11comp_targetILNS1_3genE9ELNS1_11target_archE1100ELNS1_3gpuE3ELNS1_3repE0EEENS1_30default_config_static_selectorELNS0_4arch9wavefront6targetE0EEEvS14_
    .private_segment_fixed_size: 0
    .sgpr_count:     0
    .sgpr_spill_count: 0
    .symbol:         _ZN7rocprim17ROCPRIM_400000_NS6detail17trampoline_kernelINS0_14default_configENS1_22reduce_config_selectorIN6thrust23THRUST_200600_302600_NS5tupleIblNS6_9null_typeES8_S8_S8_S8_S8_S8_S8_EEEEZNS1_11reduce_implILb1ES3_NS6_12zip_iteratorINS7_INS6_11hip_rocprim26transform_input_iterator_tIbNSD_35transform_pair_of_input_iterators_tIbNS6_6detail15normal_iteratorINS6_10device_ptrIKdEEEESL_NS6_8equal_toIdEEEENSG_9not_fun_tINSD_8identityEEEEENSD_19counting_iterator_tIlEES8_S8_S8_S8_S8_S8_S8_S8_EEEEPS9_S9_NSD_9__find_if7functorIS9_EEEE10hipError_tPvRmT1_T2_T3_mT4_P12ihipStream_tbEUlT_E0_NS1_11comp_targetILNS1_3genE9ELNS1_11target_archE1100ELNS1_3gpuE3ELNS1_3repE0EEENS1_30default_config_static_selectorELNS0_4arch9wavefront6targetE0EEEvS14_.kd
    .uniform_work_group_size: 1
    .uses_dynamic_stack: false
    .vgpr_count:     0
    .vgpr_spill_count: 0
    .wavefront_size: 32
    .workgroup_processor_mode: 1
  - .args:
      - .offset:         0
        .size:           104
        .value_kind:     by_value
    .group_segment_fixed_size: 256
    .kernarg_segment_align: 8
    .kernarg_segment_size: 104
    .language:       OpenCL C
    .language_version:
      - 2
      - 0
    .max_flat_workgroup_size: 256
    .name:           _ZN7rocprim17ROCPRIM_400000_NS6detail17trampoline_kernelINS0_14default_configENS1_22reduce_config_selectorIN6thrust23THRUST_200600_302600_NS5tupleIblNS6_9null_typeES8_S8_S8_S8_S8_S8_S8_EEEEZNS1_11reduce_implILb1ES3_NS6_12zip_iteratorINS7_INS6_11hip_rocprim26transform_input_iterator_tIbNSD_35transform_pair_of_input_iterators_tIbNS6_6detail15normal_iteratorINS6_10device_ptrIKdEEEESL_NS6_8equal_toIdEEEENSG_9not_fun_tINSD_8identityEEEEENSD_19counting_iterator_tIlEES8_S8_S8_S8_S8_S8_S8_S8_EEEEPS9_S9_NSD_9__find_if7functorIS9_EEEE10hipError_tPvRmT1_T2_T3_mT4_P12ihipStream_tbEUlT_E0_NS1_11comp_targetILNS1_3genE8ELNS1_11target_archE1030ELNS1_3gpuE2ELNS1_3repE0EEENS1_30default_config_static_selectorELNS0_4arch9wavefront6targetE0EEEvS14_
    .private_segment_fixed_size: 0
    .sgpr_count:     30
    .sgpr_spill_count: 0
    .symbol:         _ZN7rocprim17ROCPRIM_400000_NS6detail17trampoline_kernelINS0_14default_configENS1_22reduce_config_selectorIN6thrust23THRUST_200600_302600_NS5tupleIblNS6_9null_typeES8_S8_S8_S8_S8_S8_S8_EEEEZNS1_11reduce_implILb1ES3_NS6_12zip_iteratorINS7_INS6_11hip_rocprim26transform_input_iterator_tIbNSD_35transform_pair_of_input_iterators_tIbNS6_6detail15normal_iteratorINS6_10device_ptrIKdEEEESL_NS6_8equal_toIdEEEENSG_9not_fun_tINSD_8identityEEEEENSD_19counting_iterator_tIlEES8_S8_S8_S8_S8_S8_S8_S8_EEEEPS9_S9_NSD_9__find_if7functorIS9_EEEE10hipError_tPvRmT1_T2_T3_mT4_P12ihipStream_tbEUlT_E0_NS1_11comp_targetILNS1_3genE8ELNS1_11target_archE1030ELNS1_3gpuE2ELNS1_3repE0EEENS1_30default_config_static_selectorELNS0_4arch9wavefront6targetE0EEEvS14_.kd
    .uniform_work_group_size: 1
    .uses_dynamic_stack: false
    .vgpr_count:     14
    .vgpr_spill_count: 0
    .wavefront_size: 32
    .workgroup_processor_mode: 1
  - .args:
      - .offset:         0
        .size:           88
        .value_kind:     by_value
    .group_segment_fixed_size: 0
    .kernarg_segment_align: 8
    .kernarg_segment_size: 88
    .language:       OpenCL C
    .language_version:
      - 2
      - 0
    .max_flat_workgroup_size: 128
    .name:           _ZN7rocprim17ROCPRIM_400000_NS6detail17trampoline_kernelINS0_14default_configENS1_22reduce_config_selectorIN6thrust23THRUST_200600_302600_NS5tupleIblNS6_9null_typeES8_S8_S8_S8_S8_S8_S8_EEEEZNS1_11reduce_implILb1ES3_NS6_12zip_iteratorINS7_INS6_11hip_rocprim26transform_input_iterator_tIbNSD_35transform_pair_of_input_iterators_tIbNS6_6detail15normal_iteratorINS6_10device_ptrIKdEEEESL_NS6_8equal_toIdEEEENSG_9not_fun_tINSD_8identityEEEEENSD_19counting_iterator_tIlEES8_S8_S8_S8_S8_S8_S8_S8_EEEEPS9_S9_NSD_9__find_if7functorIS9_EEEE10hipError_tPvRmT1_T2_T3_mT4_P12ihipStream_tbEUlT_E1_NS1_11comp_targetILNS1_3genE0ELNS1_11target_archE4294967295ELNS1_3gpuE0ELNS1_3repE0EEENS1_30default_config_static_selectorELNS0_4arch9wavefront6targetE0EEEvS14_
    .private_segment_fixed_size: 0
    .sgpr_count:     0
    .sgpr_spill_count: 0
    .symbol:         _ZN7rocprim17ROCPRIM_400000_NS6detail17trampoline_kernelINS0_14default_configENS1_22reduce_config_selectorIN6thrust23THRUST_200600_302600_NS5tupleIblNS6_9null_typeES8_S8_S8_S8_S8_S8_S8_EEEEZNS1_11reduce_implILb1ES3_NS6_12zip_iteratorINS7_INS6_11hip_rocprim26transform_input_iterator_tIbNSD_35transform_pair_of_input_iterators_tIbNS6_6detail15normal_iteratorINS6_10device_ptrIKdEEEESL_NS6_8equal_toIdEEEENSG_9not_fun_tINSD_8identityEEEEENSD_19counting_iterator_tIlEES8_S8_S8_S8_S8_S8_S8_S8_EEEEPS9_S9_NSD_9__find_if7functorIS9_EEEE10hipError_tPvRmT1_T2_T3_mT4_P12ihipStream_tbEUlT_E1_NS1_11comp_targetILNS1_3genE0ELNS1_11target_archE4294967295ELNS1_3gpuE0ELNS1_3repE0EEENS1_30default_config_static_selectorELNS0_4arch9wavefront6targetE0EEEvS14_.kd
    .uniform_work_group_size: 1
    .uses_dynamic_stack: false
    .vgpr_count:     0
    .vgpr_spill_count: 0
    .wavefront_size: 32
    .workgroup_processor_mode: 1
  - .args:
      - .offset:         0
        .size:           88
        .value_kind:     by_value
    .group_segment_fixed_size: 0
    .kernarg_segment_align: 8
    .kernarg_segment_size: 88
    .language:       OpenCL C
    .language_version:
      - 2
      - 0
    .max_flat_workgroup_size: 256
    .name:           _ZN7rocprim17ROCPRIM_400000_NS6detail17trampoline_kernelINS0_14default_configENS1_22reduce_config_selectorIN6thrust23THRUST_200600_302600_NS5tupleIblNS6_9null_typeES8_S8_S8_S8_S8_S8_S8_EEEEZNS1_11reduce_implILb1ES3_NS6_12zip_iteratorINS7_INS6_11hip_rocprim26transform_input_iterator_tIbNSD_35transform_pair_of_input_iterators_tIbNS6_6detail15normal_iteratorINS6_10device_ptrIKdEEEESL_NS6_8equal_toIdEEEENSG_9not_fun_tINSD_8identityEEEEENSD_19counting_iterator_tIlEES8_S8_S8_S8_S8_S8_S8_S8_EEEEPS9_S9_NSD_9__find_if7functorIS9_EEEE10hipError_tPvRmT1_T2_T3_mT4_P12ihipStream_tbEUlT_E1_NS1_11comp_targetILNS1_3genE5ELNS1_11target_archE942ELNS1_3gpuE9ELNS1_3repE0EEENS1_30default_config_static_selectorELNS0_4arch9wavefront6targetE0EEEvS14_
    .private_segment_fixed_size: 0
    .sgpr_count:     0
    .sgpr_spill_count: 0
    .symbol:         _ZN7rocprim17ROCPRIM_400000_NS6detail17trampoline_kernelINS0_14default_configENS1_22reduce_config_selectorIN6thrust23THRUST_200600_302600_NS5tupleIblNS6_9null_typeES8_S8_S8_S8_S8_S8_S8_EEEEZNS1_11reduce_implILb1ES3_NS6_12zip_iteratorINS7_INS6_11hip_rocprim26transform_input_iterator_tIbNSD_35transform_pair_of_input_iterators_tIbNS6_6detail15normal_iteratorINS6_10device_ptrIKdEEEESL_NS6_8equal_toIdEEEENSG_9not_fun_tINSD_8identityEEEEENSD_19counting_iterator_tIlEES8_S8_S8_S8_S8_S8_S8_S8_EEEEPS9_S9_NSD_9__find_if7functorIS9_EEEE10hipError_tPvRmT1_T2_T3_mT4_P12ihipStream_tbEUlT_E1_NS1_11comp_targetILNS1_3genE5ELNS1_11target_archE942ELNS1_3gpuE9ELNS1_3repE0EEENS1_30default_config_static_selectorELNS0_4arch9wavefront6targetE0EEEvS14_.kd
    .uniform_work_group_size: 1
    .uses_dynamic_stack: false
    .vgpr_count:     0
    .vgpr_spill_count: 0
    .wavefront_size: 32
    .workgroup_processor_mode: 1
  - .args:
      - .offset:         0
        .size:           88
        .value_kind:     by_value
    .group_segment_fixed_size: 0
    .kernarg_segment_align: 8
    .kernarg_segment_size: 88
    .language:       OpenCL C
    .language_version:
      - 2
      - 0
    .max_flat_workgroup_size: 256
    .name:           _ZN7rocprim17ROCPRIM_400000_NS6detail17trampoline_kernelINS0_14default_configENS1_22reduce_config_selectorIN6thrust23THRUST_200600_302600_NS5tupleIblNS6_9null_typeES8_S8_S8_S8_S8_S8_S8_EEEEZNS1_11reduce_implILb1ES3_NS6_12zip_iteratorINS7_INS6_11hip_rocprim26transform_input_iterator_tIbNSD_35transform_pair_of_input_iterators_tIbNS6_6detail15normal_iteratorINS6_10device_ptrIKdEEEESL_NS6_8equal_toIdEEEENSG_9not_fun_tINSD_8identityEEEEENSD_19counting_iterator_tIlEES8_S8_S8_S8_S8_S8_S8_S8_EEEEPS9_S9_NSD_9__find_if7functorIS9_EEEE10hipError_tPvRmT1_T2_T3_mT4_P12ihipStream_tbEUlT_E1_NS1_11comp_targetILNS1_3genE4ELNS1_11target_archE910ELNS1_3gpuE8ELNS1_3repE0EEENS1_30default_config_static_selectorELNS0_4arch9wavefront6targetE0EEEvS14_
    .private_segment_fixed_size: 0
    .sgpr_count:     0
    .sgpr_spill_count: 0
    .symbol:         _ZN7rocprim17ROCPRIM_400000_NS6detail17trampoline_kernelINS0_14default_configENS1_22reduce_config_selectorIN6thrust23THRUST_200600_302600_NS5tupleIblNS6_9null_typeES8_S8_S8_S8_S8_S8_S8_EEEEZNS1_11reduce_implILb1ES3_NS6_12zip_iteratorINS7_INS6_11hip_rocprim26transform_input_iterator_tIbNSD_35transform_pair_of_input_iterators_tIbNS6_6detail15normal_iteratorINS6_10device_ptrIKdEEEESL_NS6_8equal_toIdEEEENSG_9not_fun_tINSD_8identityEEEEENSD_19counting_iterator_tIlEES8_S8_S8_S8_S8_S8_S8_S8_EEEEPS9_S9_NSD_9__find_if7functorIS9_EEEE10hipError_tPvRmT1_T2_T3_mT4_P12ihipStream_tbEUlT_E1_NS1_11comp_targetILNS1_3genE4ELNS1_11target_archE910ELNS1_3gpuE8ELNS1_3repE0EEENS1_30default_config_static_selectorELNS0_4arch9wavefront6targetE0EEEvS14_.kd
    .uniform_work_group_size: 1
    .uses_dynamic_stack: false
    .vgpr_count:     0
    .vgpr_spill_count: 0
    .wavefront_size: 32
    .workgroup_processor_mode: 1
  - .args:
      - .offset:         0
        .size:           88
        .value_kind:     by_value
    .group_segment_fixed_size: 0
    .kernarg_segment_align: 8
    .kernarg_segment_size: 88
    .language:       OpenCL C
    .language_version:
      - 2
      - 0
    .max_flat_workgroup_size: 128
    .name:           _ZN7rocprim17ROCPRIM_400000_NS6detail17trampoline_kernelINS0_14default_configENS1_22reduce_config_selectorIN6thrust23THRUST_200600_302600_NS5tupleIblNS6_9null_typeES8_S8_S8_S8_S8_S8_S8_EEEEZNS1_11reduce_implILb1ES3_NS6_12zip_iteratorINS7_INS6_11hip_rocprim26transform_input_iterator_tIbNSD_35transform_pair_of_input_iterators_tIbNS6_6detail15normal_iteratorINS6_10device_ptrIKdEEEESL_NS6_8equal_toIdEEEENSG_9not_fun_tINSD_8identityEEEEENSD_19counting_iterator_tIlEES8_S8_S8_S8_S8_S8_S8_S8_EEEEPS9_S9_NSD_9__find_if7functorIS9_EEEE10hipError_tPvRmT1_T2_T3_mT4_P12ihipStream_tbEUlT_E1_NS1_11comp_targetILNS1_3genE3ELNS1_11target_archE908ELNS1_3gpuE7ELNS1_3repE0EEENS1_30default_config_static_selectorELNS0_4arch9wavefront6targetE0EEEvS14_
    .private_segment_fixed_size: 0
    .sgpr_count:     0
    .sgpr_spill_count: 0
    .symbol:         _ZN7rocprim17ROCPRIM_400000_NS6detail17trampoline_kernelINS0_14default_configENS1_22reduce_config_selectorIN6thrust23THRUST_200600_302600_NS5tupleIblNS6_9null_typeES8_S8_S8_S8_S8_S8_S8_EEEEZNS1_11reduce_implILb1ES3_NS6_12zip_iteratorINS7_INS6_11hip_rocprim26transform_input_iterator_tIbNSD_35transform_pair_of_input_iterators_tIbNS6_6detail15normal_iteratorINS6_10device_ptrIKdEEEESL_NS6_8equal_toIdEEEENSG_9not_fun_tINSD_8identityEEEEENSD_19counting_iterator_tIlEES8_S8_S8_S8_S8_S8_S8_S8_EEEEPS9_S9_NSD_9__find_if7functorIS9_EEEE10hipError_tPvRmT1_T2_T3_mT4_P12ihipStream_tbEUlT_E1_NS1_11comp_targetILNS1_3genE3ELNS1_11target_archE908ELNS1_3gpuE7ELNS1_3repE0EEENS1_30default_config_static_selectorELNS0_4arch9wavefront6targetE0EEEvS14_.kd
    .uniform_work_group_size: 1
    .uses_dynamic_stack: false
    .vgpr_count:     0
    .vgpr_spill_count: 0
    .wavefront_size: 32
    .workgroup_processor_mode: 1
  - .args:
      - .offset:         0
        .size:           88
        .value_kind:     by_value
    .group_segment_fixed_size: 0
    .kernarg_segment_align: 8
    .kernarg_segment_size: 88
    .language:       OpenCL C
    .language_version:
      - 2
      - 0
    .max_flat_workgroup_size: 128
    .name:           _ZN7rocprim17ROCPRIM_400000_NS6detail17trampoline_kernelINS0_14default_configENS1_22reduce_config_selectorIN6thrust23THRUST_200600_302600_NS5tupleIblNS6_9null_typeES8_S8_S8_S8_S8_S8_S8_EEEEZNS1_11reduce_implILb1ES3_NS6_12zip_iteratorINS7_INS6_11hip_rocprim26transform_input_iterator_tIbNSD_35transform_pair_of_input_iterators_tIbNS6_6detail15normal_iteratorINS6_10device_ptrIKdEEEESL_NS6_8equal_toIdEEEENSG_9not_fun_tINSD_8identityEEEEENSD_19counting_iterator_tIlEES8_S8_S8_S8_S8_S8_S8_S8_EEEEPS9_S9_NSD_9__find_if7functorIS9_EEEE10hipError_tPvRmT1_T2_T3_mT4_P12ihipStream_tbEUlT_E1_NS1_11comp_targetILNS1_3genE2ELNS1_11target_archE906ELNS1_3gpuE6ELNS1_3repE0EEENS1_30default_config_static_selectorELNS0_4arch9wavefront6targetE0EEEvS14_
    .private_segment_fixed_size: 0
    .sgpr_count:     0
    .sgpr_spill_count: 0
    .symbol:         _ZN7rocprim17ROCPRIM_400000_NS6detail17trampoline_kernelINS0_14default_configENS1_22reduce_config_selectorIN6thrust23THRUST_200600_302600_NS5tupleIblNS6_9null_typeES8_S8_S8_S8_S8_S8_S8_EEEEZNS1_11reduce_implILb1ES3_NS6_12zip_iteratorINS7_INS6_11hip_rocprim26transform_input_iterator_tIbNSD_35transform_pair_of_input_iterators_tIbNS6_6detail15normal_iteratorINS6_10device_ptrIKdEEEESL_NS6_8equal_toIdEEEENSG_9not_fun_tINSD_8identityEEEEENSD_19counting_iterator_tIlEES8_S8_S8_S8_S8_S8_S8_S8_EEEEPS9_S9_NSD_9__find_if7functorIS9_EEEE10hipError_tPvRmT1_T2_T3_mT4_P12ihipStream_tbEUlT_E1_NS1_11comp_targetILNS1_3genE2ELNS1_11target_archE906ELNS1_3gpuE6ELNS1_3repE0EEENS1_30default_config_static_selectorELNS0_4arch9wavefront6targetE0EEEvS14_.kd
    .uniform_work_group_size: 1
    .uses_dynamic_stack: false
    .vgpr_count:     0
    .vgpr_spill_count: 0
    .wavefront_size: 32
    .workgroup_processor_mode: 1
  - .args:
      - .offset:         0
        .size:           88
        .value_kind:     by_value
    .group_segment_fixed_size: 0
    .kernarg_segment_align: 8
    .kernarg_segment_size: 88
    .language:       OpenCL C
    .language_version:
      - 2
      - 0
    .max_flat_workgroup_size: 256
    .name:           _ZN7rocprim17ROCPRIM_400000_NS6detail17trampoline_kernelINS0_14default_configENS1_22reduce_config_selectorIN6thrust23THRUST_200600_302600_NS5tupleIblNS6_9null_typeES8_S8_S8_S8_S8_S8_S8_EEEEZNS1_11reduce_implILb1ES3_NS6_12zip_iteratorINS7_INS6_11hip_rocprim26transform_input_iterator_tIbNSD_35transform_pair_of_input_iterators_tIbNS6_6detail15normal_iteratorINS6_10device_ptrIKdEEEESL_NS6_8equal_toIdEEEENSG_9not_fun_tINSD_8identityEEEEENSD_19counting_iterator_tIlEES8_S8_S8_S8_S8_S8_S8_S8_EEEEPS9_S9_NSD_9__find_if7functorIS9_EEEE10hipError_tPvRmT1_T2_T3_mT4_P12ihipStream_tbEUlT_E1_NS1_11comp_targetILNS1_3genE10ELNS1_11target_archE1201ELNS1_3gpuE5ELNS1_3repE0EEENS1_30default_config_static_selectorELNS0_4arch9wavefront6targetE0EEEvS14_
    .private_segment_fixed_size: 0
    .sgpr_count:     0
    .sgpr_spill_count: 0
    .symbol:         _ZN7rocprim17ROCPRIM_400000_NS6detail17trampoline_kernelINS0_14default_configENS1_22reduce_config_selectorIN6thrust23THRUST_200600_302600_NS5tupleIblNS6_9null_typeES8_S8_S8_S8_S8_S8_S8_EEEEZNS1_11reduce_implILb1ES3_NS6_12zip_iteratorINS7_INS6_11hip_rocprim26transform_input_iterator_tIbNSD_35transform_pair_of_input_iterators_tIbNS6_6detail15normal_iteratorINS6_10device_ptrIKdEEEESL_NS6_8equal_toIdEEEENSG_9not_fun_tINSD_8identityEEEEENSD_19counting_iterator_tIlEES8_S8_S8_S8_S8_S8_S8_S8_EEEEPS9_S9_NSD_9__find_if7functorIS9_EEEE10hipError_tPvRmT1_T2_T3_mT4_P12ihipStream_tbEUlT_E1_NS1_11comp_targetILNS1_3genE10ELNS1_11target_archE1201ELNS1_3gpuE5ELNS1_3repE0EEENS1_30default_config_static_selectorELNS0_4arch9wavefront6targetE0EEEvS14_.kd
    .uniform_work_group_size: 1
    .uses_dynamic_stack: false
    .vgpr_count:     0
    .vgpr_spill_count: 0
    .wavefront_size: 32
    .workgroup_processor_mode: 1
  - .args:
      - .offset:         0
        .size:           88
        .value_kind:     by_value
    .group_segment_fixed_size: 0
    .kernarg_segment_align: 8
    .kernarg_segment_size: 88
    .language:       OpenCL C
    .language_version:
      - 2
      - 0
    .max_flat_workgroup_size: 256
    .name:           _ZN7rocprim17ROCPRIM_400000_NS6detail17trampoline_kernelINS0_14default_configENS1_22reduce_config_selectorIN6thrust23THRUST_200600_302600_NS5tupleIblNS6_9null_typeES8_S8_S8_S8_S8_S8_S8_EEEEZNS1_11reduce_implILb1ES3_NS6_12zip_iteratorINS7_INS6_11hip_rocprim26transform_input_iterator_tIbNSD_35transform_pair_of_input_iterators_tIbNS6_6detail15normal_iteratorINS6_10device_ptrIKdEEEESL_NS6_8equal_toIdEEEENSG_9not_fun_tINSD_8identityEEEEENSD_19counting_iterator_tIlEES8_S8_S8_S8_S8_S8_S8_S8_EEEEPS9_S9_NSD_9__find_if7functorIS9_EEEE10hipError_tPvRmT1_T2_T3_mT4_P12ihipStream_tbEUlT_E1_NS1_11comp_targetILNS1_3genE10ELNS1_11target_archE1200ELNS1_3gpuE4ELNS1_3repE0EEENS1_30default_config_static_selectorELNS0_4arch9wavefront6targetE0EEEvS14_
    .private_segment_fixed_size: 0
    .sgpr_count:     0
    .sgpr_spill_count: 0
    .symbol:         _ZN7rocprim17ROCPRIM_400000_NS6detail17trampoline_kernelINS0_14default_configENS1_22reduce_config_selectorIN6thrust23THRUST_200600_302600_NS5tupleIblNS6_9null_typeES8_S8_S8_S8_S8_S8_S8_EEEEZNS1_11reduce_implILb1ES3_NS6_12zip_iteratorINS7_INS6_11hip_rocprim26transform_input_iterator_tIbNSD_35transform_pair_of_input_iterators_tIbNS6_6detail15normal_iteratorINS6_10device_ptrIKdEEEESL_NS6_8equal_toIdEEEENSG_9not_fun_tINSD_8identityEEEEENSD_19counting_iterator_tIlEES8_S8_S8_S8_S8_S8_S8_S8_EEEEPS9_S9_NSD_9__find_if7functorIS9_EEEE10hipError_tPvRmT1_T2_T3_mT4_P12ihipStream_tbEUlT_E1_NS1_11comp_targetILNS1_3genE10ELNS1_11target_archE1200ELNS1_3gpuE4ELNS1_3repE0EEENS1_30default_config_static_selectorELNS0_4arch9wavefront6targetE0EEEvS14_.kd
    .uniform_work_group_size: 1
    .uses_dynamic_stack: false
    .vgpr_count:     0
    .vgpr_spill_count: 0
    .wavefront_size: 32
    .workgroup_processor_mode: 1
  - .args:
      - .offset:         0
        .size:           88
        .value_kind:     by_value
    .group_segment_fixed_size: 0
    .kernarg_segment_align: 8
    .kernarg_segment_size: 88
    .language:       OpenCL C
    .language_version:
      - 2
      - 0
    .max_flat_workgroup_size: 256
    .name:           _ZN7rocprim17ROCPRIM_400000_NS6detail17trampoline_kernelINS0_14default_configENS1_22reduce_config_selectorIN6thrust23THRUST_200600_302600_NS5tupleIblNS6_9null_typeES8_S8_S8_S8_S8_S8_S8_EEEEZNS1_11reduce_implILb1ES3_NS6_12zip_iteratorINS7_INS6_11hip_rocprim26transform_input_iterator_tIbNSD_35transform_pair_of_input_iterators_tIbNS6_6detail15normal_iteratorINS6_10device_ptrIKdEEEESL_NS6_8equal_toIdEEEENSG_9not_fun_tINSD_8identityEEEEENSD_19counting_iterator_tIlEES8_S8_S8_S8_S8_S8_S8_S8_EEEEPS9_S9_NSD_9__find_if7functorIS9_EEEE10hipError_tPvRmT1_T2_T3_mT4_P12ihipStream_tbEUlT_E1_NS1_11comp_targetILNS1_3genE9ELNS1_11target_archE1100ELNS1_3gpuE3ELNS1_3repE0EEENS1_30default_config_static_selectorELNS0_4arch9wavefront6targetE0EEEvS14_
    .private_segment_fixed_size: 0
    .sgpr_count:     0
    .sgpr_spill_count: 0
    .symbol:         _ZN7rocprim17ROCPRIM_400000_NS6detail17trampoline_kernelINS0_14default_configENS1_22reduce_config_selectorIN6thrust23THRUST_200600_302600_NS5tupleIblNS6_9null_typeES8_S8_S8_S8_S8_S8_S8_EEEEZNS1_11reduce_implILb1ES3_NS6_12zip_iteratorINS7_INS6_11hip_rocprim26transform_input_iterator_tIbNSD_35transform_pair_of_input_iterators_tIbNS6_6detail15normal_iteratorINS6_10device_ptrIKdEEEESL_NS6_8equal_toIdEEEENSG_9not_fun_tINSD_8identityEEEEENSD_19counting_iterator_tIlEES8_S8_S8_S8_S8_S8_S8_S8_EEEEPS9_S9_NSD_9__find_if7functorIS9_EEEE10hipError_tPvRmT1_T2_T3_mT4_P12ihipStream_tbEUlT_E1_NS1_11comp_targetILNS1_3genE9ELNS1_11target_archE1100ELNS1_3gpuE3ELNS1_3repE0EEENS1_30default_config_static_selectorELNS0_4arch9wavefront6targetE0EEEvS14_.kd
    .uniform_work_group_size: 1
    .uses_dynamic_stack: false
    .vgpr_count:     0
    .vgpr_spill_count: 0
    .wavefront_size: 32
    .workgroup_processor_mode: 1
  - .args:
      - .offset:         0
        .size:           88
        .value_kind:     by_value
    .group_segment_fixed_size: 640
    .kernarg_segment_align: 8
    .kernarg_segment_size: 88
    .language:       OpenCL C
    .language_version:
      - 2
      - 0
    .max_flat_workgroup_size: 256
    .name:           _ZN7rocprim17ROCPRIM_400000_NS6detail17trampoline_kernelINS0_14default_configENS1_22reduce_config_selectorIN6thrust23THRUST_200600_302600_NS5tupleIblNS6_9null_typeES8_S8_S8_S8_S8_S8_S8_EEEEZNS1_11reduce_implILb1ES3_NS6_12zip_iteratorINS7_INS6_11hip_rocprim26transform_input_iterator_tIbNSD_35transform_pair_of_input_iterators_tIbNS6_6detail15normal_iteratorINS6_10device_ptrIKdEEEESL_NS6_8equal_toIdEEEENSG_9not_fun_tINSD_8identityEEEEENSD_19counting_iterator_tIlEES8_S8_S8_S8_S8_S8_S8_S8_EEEEPS9_S9_NSD_9__find_if7functorIS9_EEEE10hipError_tPvRmT1_T2_T3_mT4_P12ihipStream_tbEUlT_E1_NS1_11comp_targetILNS1_3genE8ELNS1_11target_archE1030ELNS1_3gpuE2ELNS1_3repE0EEENS1_30default_config_static_selectorELNS0_4arch9wavefront6targetE0EEEvS14_
    .private_segment_fixed_size: 0
    .sgpr_count:     34
    .sgpr_spill_count: 0
    .symbol:         _ZN7rocprim17ROCPRIM_400000_NS6detail17trampoline_kernelINS0_14default_configENS1_22reduce_config_selectorIN6thrust23THRUST_200600_302600_NS5tupleIblNS6_9null_typeES8_S8_S8_S8_S8_S8_S8_EEEEZNS1_11reduce_implILb1ES3_NS6_12zip_iteratorINS7_INS6_11hip_rocprim26transform_input_iterator_tIbNSD_35transform_pair_of_input_iterators_tIbNS6_6detail15normal_iteratorINS6_10device_ptrIKdEEEESL_NS6_8equal_toIdEEEENSG_9not_fun_tINSD_8identityEEEEENSD_19counting_iterator_tIlEES8_S8_S8_S8_S8_S8_S8_S8_EEEEPS9_S9_NSD_9__find_if7functorIS9_EEEE10hipError_tPvRmT1_T2_T3_mT4_P12ihipStream_tbEUlT_E1_NS1_11comp_targetILNS1_3genE8ELNS1_11target_archE1030ELNS1_3gpuE2ELNS1_3repE0EEENS1_30default_config_static_selectorELNS0_4arch9wavefront6targetE0EEEvS14_.kd
    .uniform_work_group_size: 1
    .uses_dynamic_stack: false
    .vgpr_count:     34
    .vgpr_spill_count: 0
    .wavefront_size: 32
    .workgroup_processor_mode: 1
  - .args:
      - .offset:         0
        .size:           16
        .value_kind:     by_value
      - .offset:         16
        .size:           8
        .value_kind:     by_value
      - .offset:         24
        .size:           8
        .value_kind:     by_value
    .group_segment_fixed_size: 0
    .kernarg_segment_align: 8
    .kernarg_segment_size: 32
    .language:       OpenCL C
    .language_version:
      - 2
      - 0
    .max_flat_workgroup_size: 256
    .name:           _ZN6thrust23THRUST_200600_302600_NS11hip_rocprim14__parallel_for6kernelILj256ENS1_10for_each_fINS0_7pointerINS0_5tupleIblNS0_9null_typeES7_S7_S7_S7_S7_S7_S7_EENS1_3tagENS0_11use_defaultESA_EENS0_6detail16wrapped_functionINSC_23allocator_traits_detail24construct1_via_allocatorINSC_18no_throw_allocatorINSC_19temporary_allocatorIS8_S9_EEEEEEvEEEEmLj1EEEvT0_T1_SO_
    .private_segment_fixed_size: 0
    .sgpr_count:     14
    .sgpr_spill_count: 0
    .symbol:         _ZN6thrust23THRUST_200600_302600_NS11hip_rocprim14__parallel_for6kernelILj256ENS1_10for_each_fINS0_7pointerINS0_5tupleIblNS0_9null_typeES7_S7_S7_S7_S7_S7_S7_EENS1_3tagENS0_11use_defaultESA_EENS0_6detail16wrapped_functionINSC_23allocator_traits_detail24construct1_via_allocatorINSC_18no_throw_allocatorINSC_19temporary_allocatorIS8_S9_EEEEEEvEEEEmLj1EEEvT0_T1_SO_.kd
    .uniform_work_group_size: 1
    .uses_dynamic_stack: false
    .vgpr_count:     5
    .vgpr_spill_count: 0
    .wavefront_size: 32
    .workgroup_processor_mode: 1
  - .args:
      - .offset:         0
        .size:           16
        .value_kind:     by_value
      - .offset:         16
        .size:           8
        .value_kind:     by_value
      - .offset:         24
        .size:           8
        .value_kind:     by_value
    .group_segment_fixed_size: 0
    .kernarg_segment_align: 8
    .kernarg_segment_size: 32
    .language:       OpenCL C
    .language_version:
      - 2
      - 0
    .max_flat_workgroup_size: 256
    .name:           _ZN6thrust23THRUST_200600_302600_NS11hip_rocprim14__parallel_for6kernelILj256ENS1_10for_each_fINS0_7pointerINS0_5tupleIblNS0_9null_typeES7_S7_S7_S7_S7_S7_S7_EENS1_3tagENS0_11use_defaultESA_EENS0_6detail16wrapped_functionINSC_23allocator_traits_detail5gozerEvEEEElLj1EEEvT0_T1_SJ_
    .private_segment_fixed_size: 0
    .sgpr_count:     0
    .sgpr_spill_count: 0
    .symbol:         _ZN6thrust23THRUST_200600_302600_NS11hip_rocprim14__parallel_for6kernelILj256ENS1_10for_each_fINS0_7pointerINS0_5tupleIblNS0_9null_typeES7_S7_S7_S7_S7_S7_S7_EENS1_3tagENS0_11use_defaultESA_EENS0_6detail16wrapped_functionINSC_23allocator_traits_detail5gozerEvEEEElLj1EEEvT0_T1_SJ_.kd
    .uniform_work_group_size: 1
    .uses_dynamic_stack: false
    .vgpr_count:     0
    .vgpr_spill_count: 0
    .wavefront_size: 32
    .workgroup_processor_mode: 1
  - .args:
      - .offset:         0
        .size:           16
        .value_kind:     by_value
      - .offset:         16
        .size:           8
        .value_kind:     by_value
      - .offset:         24
        .size:           8
        .value_kind:     by_value
    .group_segment_fixed_size: 0
    .kernarg_segment_align: 8
    .kernarg_segment_size: 32
    .language:       OpenCL C
    .language_version:
      - 2
      - 0
    .max_flat_workgroup_size: 256
    .name:           _ZN6thrust23THRUST_200600_302600_NS11hip_rocprim14__parallel_for6kernelILj256ENS1_20__uninitialized_copy7functorIPNS0_5tupleIblNS0_9null_typeES7_S7_S7_S7_S7_S7_S7_EENS0_7pointerIS8_NS1_3tagENS0_11use_defaultESC_EEEEmLj1EEEvT0_T1_SG_
    .private_segment_fixed_size: 0
    .sgpr_count:     18
    .sgpr_spill_count: 0
    .symbol:         _ZN6thrust23THRUST_200600_302600_NS11hip_rocprim14__parallel_for6kernelILj256ENS1_20__uninitialized_copy7functorIPNS0_5tupleIblNS0_9null_typeES7_S7_S7_S7_S7_S7_S7_EENS0_7pointerIS8_NS1_3tagENS0_11use_defaultESC_EEEEmLj1EEEvT0_T1_SG_.kd
    .uniform_work_group_size: 1
    .uses_dynamic_stack: false
    .vgpr_count:     6
    .vgpr_spill_count: 0
    .wavefront_size: 32
    .workgroup_processor_mode: 1
  - .args:
      - .offset:         0
        .size:           16
        .value_kind:     by_value
      - .offset:         16
        .size:           8
        .value_kind:     by_value
      - .offset:         24
        .size:           8
        .value_kind:     by_value
    .group_segment_fixed_size: 0
    .kernarg_segment_align: 8
    .kernarg_segment_size: 32
    .language:       OpenCL C
    .language_version:
      - 2
      - 0
    .max_flat_workgroup_size: 256
    .name:           _ZN6thrust23THRUST_200600_302600_NS11hip_rocprim14__parallel_for6kernelILj256ENS1_20__uninitialized_fill7functorINS0_10device_ptrIfEEfEEmLj1EEEvT0_T1_SA_
    .private_segment_fixed_size: 0
    .sgpr_count:     14
    .sgpr_spill_count: 0
    .symbol:         _ZN6thrust23THRUST_200600_302600_NS11hip_rocprim14__parallel_for6kernelILj256ENS1_20__uninitialized_fill7functorINS0_10device_ptrIfEEfEEmLj1EEEvT0_T1_SA_.kd
    .uniform_work_group_size: 1
    .uses_dynamic_stack: false
    .vgpr_count:     4
    .vgpr_spill_count: 0
    .wavefront_size: 32
    .workgroup_processor_mode: 1
  - .args:
      - .offset:         0
        .size:           64
        .value_kind:     by_value
    .group_segment_fixed_size: 0
    .kernarg_segment_align: 8
    .kernarg_segment_size: 64
    .language:       OpenCL C
    .language_version:
      - 2
      - 0
    .max_flat_workgroup_size: 256
    .name:           _ZN7rocprim17ROCPRIM_400000_NS6detail17trampoline_kernelINS0_14default_configENS1_21merge_config_selectorINS0_5tupleIJffEEENS0_10empty_typeEEEZNS1_10merge_implIS3_NS0_12zip_iteratorINS5_IJN6thrust23THRUST_200600_302600_NS6detail15normal_iteratorINSC_10device_ptrIKfEEEESI_EEEEESK_NSA_INS5_IJNSE_INSF_IfEEEESM_EEEEEPS7_SP_SP_NSC_11hip_rocprim7__merge17predicate_wrapperIffNSC_4lessIfEEEEEE10hipError_tPvRmT0_T1_T2_T3_T4_T5_mmT6_P12ihipStream_tbEUlT_E_NS1_11comp_targetILNS1_3genE0ELNS1_11target_archE4294967295ELNS1_3gpuE0ELNS1_3repE0EEENS1_30default_config_static_selectorELNS0_4arch9wavefront6targetE0EEEvS10_
    .private_segment_fixed_size: 0
    .sgpr_count:     0
    .sgpr_spill_count: 0
    .symbol:         _ZN7rocprim17ROCPRIM_400000_NS6detail17trampoline_kernelINS0_14default_configENS1_21merge_config_selectorINS0_5tupleIJffEEENS0_10empty_typeEEEZNS1_10merge_implIS3_NS0_12zip_iteratorINS5_IJN6thrust23THRUST_200600_302600_NS6detail15normal_iteratorINSC_10device_ptrIKfEEEESI_EEEEESK_NSA_INS5_IJNSE_INSF_IfEEEESM_EEEEEPS7_SP_SP_NSC_11hip_rocprim7__merge17predicate_wrapperIffNSC_4lessIfEEEEEE10hipError_tPvRmT0_T1_T2_T3_T4_T5_mmT6_P12ihipStream_tbEUlT_E_NS1_11comp_targetILNS1_3genE0ELNS1_11target_archE4294967295ELNS1_3gpuE0ELNS1_3repE0EEENS1_30default_config_static_selectorELNS0_4arch9wavefront6targetE0EEEvS10_.kd
    .uniform_work_group_size: 1
    .uses_dynamic_stack: false
    .vgpr_count:     0
    .vgpr_spill_count: 0
    .wavefront_size: 32
    .workgroup_processor_mode: 1
  - .args:
      - .offset:         0
        .size:           64
        .value_kind:     by_value
    .group_segment_fixed_size: 0
    .kernarg_segment_align: 8
    .kernarg_segment_size: 64
    .language:       OpenCL C
    .language_version:
      - 2
      - 0
    .max_flat_workgroup_size: 256
    .name:           _ZN7rocprim17ROCPRIM_400000_NS6detail17trampoline_kernelINS0_14default_configENS1_21merge_config_selectorINS0_5tupleIJffEEENS0_10empty_typeEEEZNS1_10merge_implIS3_NS0_12zip_iteratorINS5_IJN6thrust23THRUST_200600_302600_NS6detail15normal_iteratorINSC_10device_ptrIKfEEEESI_EEEEESK_NSA_INS5_IJNSE_INSF_IfEEEESM_EEEEEPS7_SP_SP_NSC_11hip_rocprim7__merge17predicate_wrapperIffNSC_4lessIfEEEEEE10hipError_tPvRmT0_T1_T2_T3_T4_T5_mmT6_P12ihipStream_tbEUlT_E_NS1_11comp_targetILNS1_3genE5ELNS1_11target_archE942ELNS1_3gpuE9ELNS1_3repE0EEENS1_30default_config_static_selectorELNS0_4arch9wavefront6targetE0EEEvS10_
    .private_segment_fixed_size: 0
    .sgpr_count:     0
    .sgpr_spill_count: 0
    .symbol:         _ZN7rocprim17ROCPRIM_400000_NS6detail17trampoline_kernelINS0_14default_configENS1_21merge_config_selectorINS0_5tupleIJffEEENS0_10empty_typeEEEZNS1_10merge_implIS3_NS0_12zip_iteratorINS5_IJN6thrust23THRUST_200600_302600_NS6detail15normal_iteratorINSC_10device_ptrIKfEEEESI_EEEEESK_NSA_INS5_IJNSE_INSF_IfEEEESM_EEEEEPS7_SP_SP_NSC_11hip_rocprim7__merge17predicate_wrapperIffNSC_4lessIfEEEEEE10hipError_tPvRmT0_T1_T2_T3_T4_T5_mmT6_P12ihipStream_tbEUlT_E_NS1_11comp_targetILNS1_3genE5ELNS1_11target_archE942ELNS1_3gpuE9ELNS1_3repE0EEENS1_30default_config_static_selectorELNS0_4arch9wavefront6targetE0EEEvS10_.kd
    .uniform_work_group_size: 1
    .uses_dynamic_stack: false
    .vgpr_count:     0
    .vgpr_spill_count: 0
    .wavefront_size: 32
    .workgroup_processor_mode: 1
  - .args:
      - .offset:         0
        .size:           64
        .value_kind:     by_value
    .group_segment_fixed_size: 0
    .kernarg_segment_align: 8
    .kernarg_segment_size: 64
    .language:       OpenCL C
    .language_version:
      - 2
      - 0
    .max_flat_workgroup_size: 256
    .name:           _ZN7rocprim17ROCPRIM_400000_NS6detail17trampoline_kernelINS0_14default_configENS1_21merge_config_selectorINS0_5tupleIJffEEENS0_10empty_typeEEEZNS1_10merge_implIS3_NS0_12zip_iteratorINS5_IJN6thrust23THRUST_200600_302600_NS6detail15normal_iteratorINSC_10device_ptrIKfEEEESI_EEEEESK_NSA_INS5_IJNSE_INSF_IfEEEESM_EEEEEPS7_SP_SP_NSC_11hip_rocprim7__merge17predicate_wrapperIffNSC_4lessIfEEEEEE10hipError_tPvRmT0_T1_T2_T3_T4_T5_mmT6_P12ihipStream_tbEUlT_E_NS1_11comp_targetILNS1_3genE4ELNS1_11target_archE910ELNS1_3gpuE8ELNS1_3repE0EEENS1_30default_config_static_selectorELNS0_4arch9wavefront6targetE0EEEvS10_
    .private_segment_fixed_size: 0
    .sgpr_count:     0
    .sgpr_spill_count: 0
    .symbol:         _ZN7rocprim17ROCPRIM_400000_NS6detail17trampoline_kernelINS0_14default_configENS1_21merge_config_selectorINS0_5tupleIJffEEENS0_10empty_typeEEEZNS1_10merge_implIS3_NS0_12zip_iteratorINS5_IJN6thrust23THRUST_200600_302600_NS6detail15normal_iteratorINSC_10device_ptrIKfEEEESI_EEEEESK_NSA_INS5_IJNSE_INSF_IfEEEESM_EEEEEPS7_SP_SP_NSC_11hip_rocprim7__merge17predicate_wrapperIffNSC_4lessIfEEEEEE10hipError_tPvRmT0_T1_T2_T3_T4_T5_mmT6_P12ihipStream_tbEUlT_E_NS1_11comp_targetILNS1_3genE4ELNS1_11target_archE910ELNS1_3gpuE8ELNS1_3repE0EEENS1_30default_config_static_selectorELNS0_4arch9wavefront6targetE0EEEvS10_.kd
    .uniform_work_group_size: 1
    .uses_dynamic_stack: false
    .vgpr_count:     0
    .vgpr_spill_count: 0
    .wavefront_size: 32
    .workgroup_processor_mode: 1
  - .args:
      - .offset:         0
        .size:           64
        .value_kind:     by_value
    .group_segment_fixed_size: 0
    .kernarg_segment_align: 8
    .kernarg_segment_size: 64
    .language:       OpenCL C
    .language_version:
      - 2
      - 0
    .max_flat_workgroup_size: 256
    .name:           _ZN7rocprim17ROCPRIM_400000_NS6detail17trampoline_kernelINS0_14default_configENS1_21merge_config_selectorINS0_5tupleIJffEEENS0_10empty_typeEEEZNS1_10merge_implIS3_NS0_12zip_iteratorINS5_IJN6thrust23THRUST_200600_302600_NS6detail15normal_iteratorINSC_10device_ptrIKfEEEESI_EEEEESK_NSA_INS5_IJNSE_INSF_IfEEEESM_EEEEEPS7_SP_SP_NSC_11hip_rocprim7__merge17predicate_wrapperIffNSC_4lessIfEEEEEE10hipError_tPvRmT0_T1_T2_T3_T4_T5_mmT6_P12ihipStream_tbEUlT_E_NS1_11comp_targetILNS1_3genE3ELNS1_11target_archE908ELNS1_3gpuE7ELNS1_3repE0EEENS1_30default_config_static_selectorELNS0_4arch9wavefront6targetE0EEEvS10_
    .private_segment_fixed_size: 0
    .sgpr_count:     0
    .sgpr_spill_count: 0
    .symbol:         _ZN7rocprim17ROCPRIM_400000_NS6detail17trampoline_kernelINS0_14default_configENS1_21merge_config_selectorINS0_5tupleIJffEEENS0_10empty_typeEEEZNS1_10merge_implIS3_NS0_12zip_iteratorINS5_IJN6thrust23THRUST_200600_302600_NS6detail15normal_iteratorINSC_10device_ptrIKfEEEESI_EEEEESK_NSA_INS5_IJNSE_INSF_IfEEEESM_EEEEEPS7_SP_SP_NSC_11hip_rocprim7__merge17predicate_wrapperIffNSC_4lessIfEEEEEE10hipError_tPvRmT0_T1_T2_T3_T4_T5_mmT6_P12ihipStream_tbEUlT_E_NS1_11comp_targetILNS1_3genE3ELNS1_11target_archE908ELNS1_3gpuE7ELNS1_3repE0EEENS1_30default_config_static_selectorELNS0_4arch9wavefront6targetE0EEEvS10_.kd
    .uniform_work_group_size: 1
    .uses_dynamic_stack: false
    .vgpr_count:     0
    .vgpr_spill_count: 0
    .wavefront_size: 32
    .workgroup_processor_mode: 1
  - .args:
      - .offset:         0
        .size:           64
        .value_kind:     by_value
    .group_segment_fixed_size: 0
    .kernarg_segment_align: 8
    .kernarg_segment_size: 64
    .language:       OpenCL C
    .language_version:
      - 2
      - 0
    .max_flat_workgroup_size: 256
    .name:           _ZN7rocprim17ROCPRIM_400000_NS6detail17trampoline_kernelINS0_14default_configENS1_21merge_config_selectorINS0_5tupleIJffEEENS0_10empty_typeEEEZNS1_10merge_implIS3_NS0_12zip_iteratorINS5_IJN6thrust23THRUST_200600_302600_NS6detail15normal_iteratorINSC_10device_ptrIKfEEEESI_EEEEESK_NSA_INS5_IJNSE_INSF_IfEEEESM_EEEEEPS7_SP_SP_NSC_11hip_rocprim7__merge17predicate_wrapperIffNSC_4lessIfEEEEEE10hipError_tPvRmT0_T1_T2_T3_T4_T5_mmT6_P12ihipStream_tbEUlT_E_NS1_11comp_targetILNS1_3genE2ELNS1_11target_archE906ELNS1_3gpuE6ELNS1_3repE0EEENS1_30default_config_static_selectorELNS0_4arch9wavefront6targetE0EEEvS10_
    .private_segment_fixed_size: 0
    .sgpr_count:     0
    .sgpr_spill_count: 0
    .symbol:         _ZN7rocprim17ROCPRIM_400000_NS6detail17trampoline_kernelINS0_14default_configENS1_21merge_config_selectorINS0_5tupleIJffEEENS0_10empty_typeEEEZNS1_10merge_implIS3_NS0_12zip_iteratorINS5_IJN6thrust23THRUST_200600_302600_NS6detail15normal_iteratorINSC_10device_ptrIKfEEEESI_EEEEESK_NSA_INS5_IJNSE_INSF_IfEEEESM_EEEEEPS7_SP_SP_NSC_11hip_rocprim7__merge17predicate_wrapperIffNSC_4lessIfEEEEEE10hipError_tPvRmT0_T1_T2_T3_T4_T5_mmT6_P12ihipStream_tbEUlT_E_NS1_11comp_targetILNS1_3genE2ELNS1_11target_archE906ELNS1_3gpuE6ELNS1_3repE0EEENS1_30default_config_static_selectorELNS0_4arch9wavefront6targetE0EEEvS10_.kd
    .uniform_work_group_size: 1
    .uses_dynamic_stack: false
    .vgpr_count:     0
    .vgpr_spill_count: 0
    .wavefront_size: 32
    .workgroup_processor_mode: 1
  - .args:
      - .offset:         0
        .size:           64
        .value_kind:     by_value
    .group_segment_fixed_size: 0
    .kernarg_segment_align: 8
    .kernarg_segment_size: 64
    .language:       OpenCL C
    .language_version:
      - 2
      - 0
    .max_flat_workgroup_size: 512
    .name:           _ZN7rocprim17ROCPRIM_400000_NS6detail17trampoline_kernelINS0_14default_configENS1_21merge_config_selectorINS0_5tupleIJffEEENS0_10empty_typeEEEZNS1_10merge_implIS3_NS0_12zip_iteratorINS5_IJN6thrust23THRUST_200600_302600_NS6detail15normal_iteratorINSC_10device_ptrIKfEEEESI_EEEEESK_NSA_INS5_IJNSE_INSF_IfEEEESM_EEEEEPS7_SP_SP_NSC_11hip_rocprim7__merge17predicate_wrapperIffNSC_4lessIfEEEEEE10hipError_tPvRmT0_T1_T2_T3_T4_T5_mmT6_P12ihipStream_tbEUlT_E_NS1_11comp_targetILNS1_3genE10ELNS1_11target_archE1201ELNS1_3gpuE5ELNS1_3repE0EEENS1_30default_config_static_selectorELNS0_4arch9wavefront6targetE0EEEvS10_
    .private_segment_fixed_size: 0
    .sgpr_count:     0
    .sgpr_spill_count: 0
    .symbol:         _ZN7rocprim17ROCPRIM_400000_NS6detail17trampoline_kernelINS0_14default_configENS1_21merge_config_selectorINS0_5tupleIJffEEENS0_10empty_typeEEEZNS1_10merge_implIS3_NS0_12zip_iteratorINS5_IJN6thrust23THRUST_200600_302600_NS6detail15normal_iteratorINSC_10device_ptrIKfEEEESI_EEEEESK_NSA_INS5_IJNSE_INSF_IfEEEESM_EEEEEPS7_SP_SP_NSC_11hip_rocprim7__merge17predicate_wrapperIffNSC_4lessIfEEEEEE10hipError_tPvRmT0_T1_T2_T3_T4_T5_mmT6_P12ihipStream_tbEUlT_E_NS1_11comp_targetILNS1_3genE10ELNS1_11target_archE1201ELNS1_3gpuE5ELNS1_3repE0EEENS1_30default_config_static_selectorELNS0_4arch9wavefront6targetE0EEEvS10_.kd
    .uniform_work_group_size: 1
    .uses_dynamic_stack: false
    .vgpr_count:     0
    .vgpr_spill_count: 0
    .wavefront_size: 32
    .workgroup_processor_mode: 1
  - .args:
      - .offset:         0
        .size:           64
        .value_kind:     by_value
    .group_segment_fixed_size: 0
    .kernarg_segment_align: 8
    .kernarg_segment_size: 64
    .language:       OpenCL C
    .language_version:
      - 2
      - 0
    .max_flat_workgroup_size: 1024
    .name:           _ZN7rocprim17ROCPRIM_400000_NS6detail17trampoline_kernelINS0_14default_configENS1_21merge_config_selectorINS0_5tupleIJffEEENS0_10empty_typeEEEZNS1_10merge_implIS3_NS0_12zip_iteratorINS5_IJN6thrust23THRUST_200600_302600_NS6detail15normal_iteratorINSC_10device_ptrIKfEEEESI_EEEEESK_NSA_INS5_IJNSE_INSF_IfEEEESM_EEEEEPS7_SP_SP_NSC_11hip_rocprim7__merge17predicate_wrapperIffNSC_4lessIfEEEEEE10hipError_tPvRmT0_T1_T2_T3_T4_T5_mmT6_P12ihipStream_tbEUlT_E_NS1_11comp_targetILNS1_3genE10ELNS1_11target_archE1200ELNS1_3gpuE4ELNS1_3repE0EEENS1_30default_config_static_selectorELNS0_4arch9wavefront6targetE0EEEvS10_
    .private_segment_fixed_size: 0
    .sgpr_count:     0
    .sgpr_spill_count: 0
    .symbol:         _ZN7rocprim17ROCPRIM_400000_NS6detail17trampoline_kernelINS0_14default_configENS1_21merge_config_selectorINS0_5tupleIJffEEENS0_10empty_typeEEEZNS1_10merge_implIS3_NS0_12zip_iteratorINS5_IJN6thrust23THRUST_200600_302600_NS6detail15normal_iteratorINSC_10device_ptrIKfEEEESI_EEEEESK_NSA_INS5_IJNSE_INSF_IfEEEESM_EEEEEPS7_SP_SP_NSC_11hip_rocprim7__merge17predicate_wrapperIffNSC_4lessIfEEEEEE10hipError_tPvRmT0_T1_T2_T3_T4_T5_mmT6_P12ihipStream_tbEUlT_E_NS1_11comp_targetILNS1_3genE10ELNS1_11target_archE1200ELNS1_3gpuE4ELNS1_3repE0EEENS1_30default_config_static_selectorELNS0_4arch9wavefront6targetE0EEEvS10_.kd
    .uniform_work_group_size: 1
    .uses_dynamic_stack: false
    .vgpr_count:     0
    .vgpr_spill_count: 0
    .wavefront_size: 32
    .workgroup_processor_mode: 1
  - .args:
      - .offset:         0
        .size:           64
        .value_kind:     by_value
    .group_segment_fixed_size: 0
    .kernarg_segment_align: 8
    .kernarg_segment_size: 64
    .language:       OpenCL C
    .language_version:
      - 2
      - 0
    .max_flat_workgroup_size: 1024
    .name:           _ZN7rocprim17ROCPRIM_400000_NS6detail17trampoline_kernelINS0_14default_configENS1_21merge_config_selectorINS0_5tupleIJffEEENS0_10empty_typeEEEZNS1_10merge_implIS3_NS0_12zip_iteratorINS5_IJN6thrust23THRUST_200600_302600_NS6detail15normal_iteratorINSC_10device_ptrIKfEEEESI_EEEEESK_NSA_INS5_IJNSE_INSF_IfEEEESM_EEEEEPS7_SP_SP_NSC_11hip_rocprim7__merge17predicate_wrapperIffNSC_4lessIfEEEEEE10hipError_tPvRmT0_T1_T2_T3_T4_T5_mmT6_P12ihipStream_tbEUlT_E_NS1_11comp_targetILNS1_3genE9ELNS1_11target_archE1100ELNS1_3gpuE3ELNS1_3repE0EEENS1_30default_config_static_selectorELNS0_4arch9wavefront6targetE0EEEvS10_
    .private_segment_fixed_size: 0
    .sgpr_count:     0
    .sgpr_spill_count: 0
    .symbol:         _ZN7rocprim17ROCPRIM_400000_NS6detail17trampoline_kernelINS0_14default_configENS1_21merge_config_selectorINS0_5tupleIJffEEENS0_10empty_typeEEEZNS1_10merge_implIS3_NS0_12zip_iteratorINS5_IJN6thrust23THRUST_200600_302600_NS6detail15normal_iteratorINSC_10device_ptrIKfEEEESI_EEEEESK_NSA_INS5_IJNSE_INSF_IfEEEESM_EEEEEPS7_SP_SP_NSC_11hip_rocprim7__merge17predicate_wrapperIffNSC_4lessIfEEEEEE10hipError_tPvRmT0_T1_T2_T3_T4_T5_mmT6_P12ihipStream_tbEUlT_E_NS1_11comp_targetILNS1_3genE9ELNS1_11target_archE1100ELNS1_3gpuE3ELNS1_3repE0EEENS1_30default_config_static_selectorELNS0_4arch9wavefront6targetE0EEEvS10_.kd
    .uniform_work_group_size: 1
    .uses_dynamic_stack: false
    .vgpr_count:     0
    .vgpr_spill_count: 0
    .wavefront_size: 32
    .workgroup_processor_mode: 1
  - .args:
      - .offset:         0
        .size:           64
        .value_kind:     by_value
      - .offset:         64
        .size:           4
        .value_kind:     hidden_block_count_x
      - .offset:         68
        .size:           4
        .value_kind:     hidden_block_count_y
      - .offset:         72
        .size:           4
        .value_kind:     hidden_block_count_z
      - .offset:         76
        .size:           2
        .value_kind:     hidden_group_size_x
      - .offset:         78
        .size:           2
        .value_kind:     hidden_group_size_y
      - .offset:         80
        .size:           2
        .value_kind:     hidden_group_size_z
      - .offset:         82
        .size:           2
        .value_kind:     hidden_remainder_x
      - .offset:         84
        .size:           2
        .value_kind:     hidden_remainder_y
      - .offset:         86
        .size:           2
        .value_kind:     hidden_remainder_z
      - .offset:         104
        .size:           8
        .value_kind:     hidden_global_offset_x
      - .offset:         112
        .size:           8
        .value_kind:     hidden_global_offset_y
      - .offset:         120
        .size:           8
        .value_kind:     hidden_global_offset_z
      - .offset:         128
        .size:           2
        .value_kind:     hidden_grid_dims
    .group_segment_fixed_size: 0
    .kernarg_segment_align: 8
    .kernarg_segment_size: 320
    .language:       OpenCL C
    .language_version:
      - 2
      - 0
    .max_flat_workgroup_size: 256
    .name:           _ZN7rocprim17ROCPRIM_400000_NS6detail17trampoline_kernelINS0_14default_configENS1_21merge_config_selectorINS0_5tupleIJffEEENS0_10empty_typeEEEZNS1_10merge_implIS3_NS0_12zip_iteratorINS5_IJN6thrust23THRUST_200600_302600_NS6detail15normal_iteratorINSC_10device_ptrIKfEEEESI_EEEEESK_NSA_INS5_IJNSE_INSF_IfEEEESM_EEEEEPS7_SP_SP_NSC_11hip_rocprim7__merge17predicate_wrapperIffNSC_4lessIfEEEEEE10hipError_tPvRmT0_T1_T2_T3_T4_T5_mmT6_P12ihipStream_tbEUlT_E_NS1_11comp_targetILNS1_3genE8ELNS1_11target_archE1030ELNS1_3gpuE2ELNS1_3repE0EEENS1_30default_config_static_selectorELNS0_4arch9wavefront6targetE0EEEvS10_
    .private_segment_fixed_size: 0
    .sgpr_count:     18
    .sgpr_spill_count: 0
    .symbol:         _ZN7rocprim17ROCPRIM_400000_NS6detail17trampoline_kernelINS0_14default_configENS1_21merge_config_selectorINS0_5tupleIJffEEENS0_10empty_typeEEEZNS1_10merge_implIS3_NS0_12zip_iteratorINS5_IJN6thrust23THRUST_200600_302600_NS6detail15normal_iteratorINSC_10device_ptrIKfEEEESI_EEEEESK_NSA_INS5_IJNSE_INSF_IfEEEESM_EEEEEPS7_SP_SP_NSC_11hip_rocprim7__merge17predicate_wrapperIffNSC_4lessIfEEEEEE10hipError_tPvRmT0_T1_T2_T3_T4_T5_mmT6_P12ihipStream_tbEUlT_E_NS1_11comp_targetILNS1_3genE8ELNS1_11target_archE1030ELNS1_3gpuE2ELNS1_3repE0EEENS1_30default_config_static_selectorELNS0_4arch9wavefront6targetE0EEEvS10_.kd
    .uniform_work_group_size: 1
    .uses_dynamic_stack: false
    .vgpr_count:     13
    .vgpr_spill_count: 0
    .wavefront_size: 32
    .workgroup_processor_mode: 1
  - .args:
      - .offset:         0
        .size:           112
        .value_kind:     by_value
    .group_segment_fixed_size: 0
    .kernarg_segment_align: 8
    .kernarg_segment_size: 112
    .language:       OpenCL C
    .language_version:
      - 2
      - 0
    .max_flat_workgroup_size: 256
    .name:           _ZN7rocprim17ROCPRIM_400000_NS6detail17trampoline_kernelINS0_14default_configENS1_21merge_config_selectorINS0_5tupleIJffEEENS0_10empty_typeEEEZNS1_10merge_implIS3_NS0_12zip_iteratorINS5_IJN6thrust23THRUST_200600_302600_NS6detail15normal_iteratorINSC_10device_ptrIKfEEEESI_EEEEESK_NSA_INS5_IJNSE_INSF_IfEEEESM_EEEEEPS7_SP_SP_NSC_11hip_rocprim7__merge17predicate_wrapperIffNSC_4lessIfEEEEEE10hipError_tPvRmT0_T1_T2_T3_T4_T5_mmT6_P12ihipStream_tbEUlT_E0_NS1_11comp_targetILNS1_3genE0ELNS1_11target_archE4294967295ELNS1_3gpuE0ELNS1_3repE0EEENS1_30default_config_static_selectorELNS0_4arch9wavefront6targetE0EEEvS10_
    .private_segment_fixed_size: 0
    .sgpr_count:     0
    .sgpr_spill_count: 0
    .symbol:         _ZN7rocprim17ROCPRIM_400000_NS6detail17trampoline_kernelINS0_14default_configENS1_21merge_config_selectorINS0_5tupleIJffEEENS0_10empty_typeEEEZNS1_10merge_implIS3_NS0_12zip_iteratorINS5_IJN6thrust23THRUST_200600_302600_NS6detail15normal_iteratorINSC_10device_ptrIKfEEEESI_EEEEESK_NSA_INS5_IJNSE_INSF_IfEEEESM_EEEEEPS7_SP_SP_NSC_11hip_rocprim7__merge17predicate_wrapperIffNSC_4lessIfEEEEEE10hipError_tPvRmT0_T1_T2_T3_T4_T5_mmT6_P12ihipStream_tbEUlT_E0_NS1_11comp_targetILNS1_3genE0ELNS1_11target_archE4294967295ELNS1_3gpuE0ELNS1_3repE0EEENS1_30default_config_static_selectorELNS0_4arch9wavefront6targetE0EEEvS10_.kd
    .uniform_work_group_size: 1
    .uses_dynamic_stack: false
    .vgpr_count:     0
    .vgpr_spill_count: 0
    .wavefront_size: 32
    .workgroup_processor_mode: 1
  - .args:
      - .offset:         0
        .size:           112
        .value_kind:     by_value
    .group_segment_fixed_size: 0
    .kernarg_segment_align: 8
    .kernarg_segment_size: 112
    .language:       OpenCL C
    .language_version:
      - 2
      - 0
    .max_flat_workgroup_size: 256
    .name:           _ZN7rocprim17ROCPRIM_400000_NS6detail17trampoline_kernelINS0_14default_configENS1_21merge_config_selectorINS0_5tupleIJffEEENS0_10empty_typeEEEZNS1_10merge_implIS3_NS0_12zip_iteratorINS5_IJN6thrust23THRUST_200600_302600_NS6detail15normal_iteratorINSC_10device_ptrIKfEEEESI_EEEEESK_NSA_INS5_IJNSE_INSF_IfEEEESM_EEEEEPS7_SP_SP_NSC_11hip_rocprim7__merge17predicate_wrapperIffNSC_4lessIfEEEEEE10hipError_tPvRmT0_T1_T2_T3_T4_T5_mmT6_P12ihipStream_tbEUlT_E0_NS1_11comp_targetILNS1_3genE5ELNS1_11target_archE942ELNS1_3gpuE9ELNS1_3repE0EEENS1_30default_config_static_selectorELNS0_4arch9wavefront6targetE0EEEvS10_
    .private_segment_fixed_size: 0
    .sgpr_count:     0
    .sgpr_spill_count: 0
    .symbol:         _ZN7rocprim17ROCPRIM_400000_NS6detail17trampoline_kernelINS0_14default_configENS1_21merge_config_selectorINS0_5tupleIJffEEENS0_10empty_typeEEEZNS1_10merge_implIS3_NS0_12zip_iteratorINS5_IJN6thrust23THRUST_200600_302600_NS6detail15normal_iteratorINSC_10device_ptrIKfEEEESI_EEEEESK_NSA_INS5_IJNSE_INSF_IfEEEESM_EEEEEPS7_SP_SP_NSC_11hip_rocprim7__merge17predicate_wrapperIffNSC_4lessIfEEEEEE10hipError_tPvRmT0_T1_T2_T3_T4_T5_mmT6_P12ihipStream_tbEUlT_E0_NS1_11comp_targetILNS1_3genE5ELNS1_11target_archE942ELNS1_3gpuE9ELNS1_3repE0EEENS1_30default_config_static_selectorELNS0_4arch9wavefront6targetE0EEEvS10_.kd
    .uniform_work_group_size: 1
    .uses_dynamic_stack: false
    .vgpr_count:     0
    .vgpr_spill_count: 0
    .wavefront_size: 32
    .workgroup_processor_mode: 1
  - .args:
      - .offset:         0
        .size:           112
        .value_kind:     by_value
    .group_segment_fixed_size: 0
    .kernarg_segment_align: 8
    .kernarg_segment_size: 112
    .language:       OpenCL C
    .language_version:
      - 2
      - 0
    .max_flat_workgroup_size: 256
    .name:           _ZN7rocprim17ROCPRIM_400000_NS6detail17trampoline_kernelINS0_14default_configENS1_21merge_config_selectorINS0_5tupleIJffEEENS0_10empty_typeEEEZNS1_10merge_implIS3_NS0_12zip_iteratorINS5_IJN6thrust23THRUST_200600_302600_NS6detail15normal_iteratorINSC_10device_ptrIKfEEEESI_EEEEESK_NSA_INS5_IJNSE_INSF_IfEEEESM_EEEEEPS7_SP_SP_NSC_11hip_rocprim7__merge17predicate_wrapperIffNSC_4lessIfEEEEEE10hipError_tPvRmT0_T1_T2_T3_T4_T5_mmT6_P12ihipStream_tbEUlT_E0_NS1_11comp_targetILNS1_3genE4ELNS1_11target_archE910ELNS1_3gpuE8ELNS1_3repE0EEENS1_30default_config_static_selectorELNS0_4arch9wavefront6targetE0EEEvS10_
    .private_segment_fixed_size: 0
    .sgpr_count:     0
    .sgpr_spill_count: 0
    .symbol:         _ZN7rocprim17ROCPRIM_400000_NS6detail17trampoline_kernelINS0_14default_configENS1_21merge_config_selectorINS0_5tupleIJffEEENS0_10empty_typeEEEZNS1_10merge_implIS3_NS0_12zip_iteratorINS5_IJN6thrust23THRUST_200600_302600_NS6detail15normal_iteratorINSC_10device_ptrIKfEEEESI_EEEEESK_NSA_INS5_IJNSE_INSF_IfEEEESM_EEEEEPS7_SP_SP_NSC_11hip_rocprim7__merge17predicate_wrapperIffNSC_4lessIfEEEEEE10hipError_tPvRmT0_T1_T2_T3_T4_T5_mmT6_P12ihipStream_tbEUlT_E0_NS1_11comp_targetILNS1_3genE4ELNS1_11target_archE910ELNS1_3gpuE8ELNS1_3repE0EEENS1_30default_config_static_selectorELNS0_4arch9wavefront6targetE0EEEvS10_.kd
    .uniform_work_group_size: 1
    .uses_dynamic_stack: false
    .vgpr_count:     0
    .vgpr_spill_count: 0
    .wavefront_size: 32
    .workgroup_processor_mode: 1
  - .args:
      - .offset:         0
        .size:           112
        .value_kind:     by_value
    .group_segment_fixed_size: 0
    .kernarg_segment_align: 8
    .kernarg_segment_size: 112
    .language:       OpenCL C
    .language_version:
      - 2
      - 0
    .max_flat_workgroup_size: 256
    .name:           _ZN7rocprim17ROCPRIM_400000_NS6detail17trampoline_kernelINS0_14default_configENS1_21merge_config_selectorINS0_5tupleIJffEEENS0_10empty_typeEEEZNS1_10merge_implIS3_NS0_12zip_iteratorINS5_IJN6thrust23THRUST_200600_302600_NS6detail15normal_iteratorINSC_10device_ptrIKfEEEESI_EEEEESK_NSA_INS5_IJNSE_INSF_IfEEEESM_EEEEEPS7_SP_SP_NSC_11hip_rocprim7__merge17predicate_wrapperIffNSC_4lessIfEEEEEE10hipError_tPvRmT0_T1_T2_T3_T4_T5_mmT6_P12ihipStream_tbEUlT_E0_NS1_11comp_targetILNS1_3genE3ELNS1_11target_archE908ELNS1_3gpuE7ELNS1_3repE0EEENS1_30default_config_static_selectorELNS0_4arch9wavefront6targetE0EEEvS10_
    .private_segment_fixed_size: 0
    .sgpr_count:     0
    .sgpr_spill_count: 0
    .symbol:         _ZN7rocprim17ROCPRIM_400000_NS6detail17trampoline_kernelINS0_14default_configENS1_21merge_config_selectorINS0_5tupleIJffEEENS0_10empty_typeEEEZNS1_10merge_implIS3_NS0_12zip_iteratorINS5_IJN6thrust23THRUST_200600_302600_NS6detail15normal_iteratorINSC_10device_ptrIKfEEEESI_EEEEESK_NSA_INS5_IJNSE_INSF_IfEEEESM_EEEEEPS7_SP_SP_NSC_11hip_rocprim7__merge17predicate_wrapperIffNSC_4lessIfEEEEEE10hipError_tPvRmT0_T1_T2_T3_T4_T5_mmT6_P12ihipStream_tbEUlT_E0_NS1_11comp_targetILNS1_3genE3ELNS1_11target_archE908ELNS1_3gpuE7ELNS1_3repE0EEENS1_30default_config_static_selectorELNS0_4arch9wavefront6targetE0EEEvS10_.kd
    .uniform_work_group_size: 1
    .uses_dynamic_stack: false
    .vgpr_count:     0
    .vgpr_spill_count: 0
    .wavefront_size: 32
    .workgroup_processor_mode: 1
  - .args:
      - .offset:         0
        .size:           112
        .value_kind:     by_value
    .group_segment_fixed_size: 0
    .kernarg_segment_align: 8
    .kernarg_segment_size: 112
    .language:       OpenCL C
    .language_version:
      - 2
      - 0
    .max_flat_workgroup_size: 256
    .name:           _ZN7rocprim17ROCPRIM_400000_NS6detail17trampoline_kernelINS0_14default_configENS1_21merge_config_selectorINS0_5tupleIJffEEENS0_10empty_typeEEEZNS1_10merge_implIS3_NS0_12zip_iteratorINS5_IJN6thrust23THRUST_200600_302600_NS6detail15normal_iteratorINSC_10device_ptrIKfEEEESI_EEEEESK_NSA_INS5_IJNSE_INSF_IfEEEESM_EEEEEPS7_SP_SP_NSC_11hip_rocprim7__merge17predicate_wrapperIffNSC_4lessIfEEEEEE10hipError_tPvRmT0_T1_T2_T3_T4_T5_mmT6_P12ihipStream_tbEUlT_E0_NS1_11comp_targetILNS1_3genE2ELNS1_11target_archE906ELNS1_3gpuE6ELNS1_3repE0EEENS1_30default_config_static_selectorELNS0_4arch9wavefront6targetE0EEEvS10_
    .private_segment_fixed_size: 0
    .sgpr_count:     0
    .sgpr_spill_count: 0
    .symbol:         _ZN7rocprim17ROCPRIM_400000_NS6detail17trampoline_kernelINS0_14default_configENS1_21merge_config_selectorINS0_5tupleIJffEEENS0_10empty_typeEEEZNS1_10merge_implIS3_NS0_12zip_iteratorINS5_IJN6thrust23THRUST_200600_302600_NS6detail15normal_iteratorINSC_10device_ptrIKfEEEESI_EEEEESK_NSA_INS5_IJNSE_INSF_IfEEEESM_EEEEEPS7_SP_SP_NSC_11hip_rocprim7__merge17predicate_wrapperIffNSC_4lessIfEEEEEE10hipError_tPvRmT0_T1_T2_T3_T4_T5_mmT6_P12ihipStream_tbEUlT_E0_NS1_11comp_targetILNS1_3genE2ELNS1_11target_archE906ELNS1_3gpuE6ELNS1_3repE0EEENS1_30default_config_static_selectorELNS0_4arch9wavefront6targetE0EEEvS10_.kd
    .uniform_work_group_size: 1
    .uses_dynamic_stack: false
    .vgpr_count:     0
    .vgpr_spill_count: 0
    .wavefront_size: 32
    .workgroup_processor_mode: 1
  - .args:
      - .offset:         0
        .size:           112
        .value_kind:     by_value
    .group_segment_fixed_size: 0
    .kernarg_segment_align: 8
    .kernarg_segment_size: 112
    .language:       OpenCL C
    .language_version:
      - 2
      - 0
    .max_flat_workgroup_size: 512
    .name:           _ZN7rocprim17ROCPRIM_400000_NS6detail17trampoline_kernelINS0_14default_configENS1_21merge_config_selectorINS0_5tupleIJffEEENS0_10empty_typeEEEZNS1_10merge_implIS3_NS0_12zip_iteratorINS5_IJN6thrust23THRUST_200600_302600_NS6detail15normal_iteratorINSC_10device_ptrIKfEEEESI_EEEEESK_NSA_INS5_IJNSE_INSF_IfEEEESM_EEEEEPS7_SP_SP_NSC_11hip_rocprim7__merge17predicate_wrapperIffNSC_4lessIfEEEEEE10hipError_tPvRmT0_T1_T2_T3_T4_T5_mmT6_P12ihipStream_tbEUlT_E0_NS1_11comp_targetILNS1_3genE10ELNS1_11target_archE1201ELNS1_3gpuE5ELNS1_3repE0EEENS1_30default_config_static_selectorELNS0_4arch9wavefront6targetE0EEEvS10_
    .private_segment_fixed_size: 0
    .sgpr_count:     0
    .sgpr_spill_count: 0
    .symbol:         _ZN7rocprim17ROCPRIM_400000_NS6detail17trampoline_kernelINS0_14default_configENS1_21merge_config_selectorINS0_5tupleIJffEEENS0_10empty_typeEEEZNS1_10merge_implIS3_NS0_12zip_iteratorINS5_IJN6thrust23THRUST_200600_302600_NS6detail15normal_iteratorINSC_10device_ptrIKfEEEESI_EEEEESK_NSA_INS5_IJNSE_INSF_IfEEEESM_EEEEEPS7_SP_SP_NSC_11hip_rocprim7__merge17predicate_wrapperIffNSC_4lessIfEEEEEE10hipError_tPvRmT0_T1_T2_T3_T4_T5_mmT6_P12ihipStream_tbEUlT_E0_NS1_11comp_targetILNS1_3genE10ELNS1_11target_archE1201ELNS1_3gpuE5ELNS1_3repE0EEENS1_30default_config_static_selectorELNS0_4arch9wavefront6targetE0EEEvS10_.kd
    .uniform_work_group_size: 1
    .uses_dynamic_stack: false
    .vgpr_count:     0
    .vgpr_spill_count: 0
    .wavefront_size: 32
    .workgroup_processor_mode: 1
  - .args:
      - .offset:         0
        .size:           112
        .value_kind:     by_value
    .group_segment_fixed_size: 0
    .kernarg_segment_align: 8
    .kernarg_segment_size: 112
    .language:       OpenCL C
    .language_version:
      - 2
      - 0
    .max_flat_workgroup_size: 1024
    .name:           _ZN7rocprim17ROCPRIM_400000_NS6detail17trampoline_kernelINS0_14default_configENS1_21merge_config_selectorINS0_5tupleIJffEEENS0_10empty_typeEEEZNS1_10merge_implIS3_NS0_12zip_iteratorINS5_IJN6thrust23THRUST_200600_302600_NS6detail15normal_iteratorINSC_10device_ptrIKfEEEESI_EEEEESK_NSA_INS5_IJNSE_INSF_IfEEEESM_EEEEEPS7_SP_SP_NSC_11hip_rocprim7__merge17predicate_wrapperIffNSC_4lessIfEEEEEE10hipError_tPvRmT0_T1_T2_T3_T4_T5_mmT6_P12ihipStream_tbEUlT_E0_NS1_11comp_targetILNS1_3genE10ELNS1_11target_archE1200ELNS1_3gpuE4ELNS1_3repE0EEENS1_30default_config_static_selectorELNS0_4arch9wavefront6targetE0EEEvS10_
    .private_segment_fixed_size: 0
    .sgpr_count:     0
    .sgpr_spill_count: 0
    .symbol:         _ZN7rocprim17ROCPRIM_400000_NS6detail17trampoline_kernelINS0_14default_configENS1_21merge_config_selectorINS0_5tupleIJffEEENS0_10empty_typeEEEZNS1_10merge_implIS3_NS0_12zip_iteratorINS5_IJN6thrust23THRUST_200600_302600_NS6detail15normal_iteratorINSC_10device_ptrIKfEEEESI_EEEEESK_NSA_INS5_IJNSE_INSF_IfEEEESM_EEEEEPS7_SP_SP_NSC_11hip_rocprim7__merge17predicate_wrapperIffNSC_4lessIfEEEEEE10hipError_tPvRmT0_T1_T2_T3_T4_T5_mmT6_P12ihipStream_tbEUlT_E0_NS1_11comp_targetILNS1_3genE10ELNS1_11target_archE1200ELNS1_3gpuE4ELNS1_3repE0EEENS1_30default_config_static_selectorELNS0_4arch9wavefront6targetE0EEEvS10_.kd
    .uniform_work_group_size: 1
    .uses_dynamic_stack: false
    .vgpr_count:     0
    .vgpr_spill_count: 0
    .wavefront_size: 32
    .workgroup_processor_mode: 1
  - .args:
      - .offset:         0
        .size:           112
        .value_kind:     by_value
    .group_segment_fixed_size: 0
    .kernarg_segment_align: 8
    .kernarg_segment_size: 112
    .language:       OpenCL C
    .language_version:
      - 2
      - 0
    .max_flat_workgroup_size: 1024
    .name:           _ZN7rocprim17ROCPRIM_400000_NS6detail17trampoline_kernelINS0_14default_configENS1_21merge_config_selectorINS0_5tupleIJffEEENS0_10empty_typeEEEZNS1_10merge_implIS3_NS0_12zip_iteratorINS5_IJN6thrust23THRUST_200600_302600_NS6detail15normal_iteratorINSC_10device_ptrIKfEEEESI_EEEEESK_NSA_INS5_IJNSE_INSF_IfEEEESM_EEEEEPS7_SP_SP_NSC_11hip_rocprim7__merge17predicate_wrapperIffNSC_4lessIfEEEEEE10hipError_tPvRmT0_T1_T2_T3_T4_T5_mmT6_P12ihipStream_tbEUlT_E0_NS1_11comp_targetILNS1_3genE9ELNS1_11target_archE1100ELNS1_3gpuE3ELNS1_3repE0EEENS1_30default_config_static_selectorELNS0_4arch9wavefront6targetE0EEEvS10_
    .private_segment_fixed_size: 0
    .sgpr_count:     0
    .sgpr_spill_count: 0
    .symbol:         _ZN7rocprim17ROCPRIM_400000_NS6detail17trampoline_kernelINS0_14default_configENS1_21merge_config_selectorINS0_5tupleIJffEEENS0_10empty_typeEEEZNS1_10merge_implIS3_NS0_12zip_iteratorINS5_IJN6thrust23THRUST_200600_302600_NS6detail15normal_iteratorINSC_10device_ptrIKfEEEESI_EEEEESK_NSA_INS5_IJNSE_INSF_IfEEEESM_EEEEEPS7_SP_SP_NSC_11hip_rocprim7__merge17predicate_wrapperIffNSC_4lessIfEEEEEE10hipError_tPvRmT0_T1_T2_T3_T4_T5_mmT6_P12ihipStream_tbEUlT_E0_NS1_11comp_targetILNS1_3genE9ELNS1_11target_archE1100ELNS1_3gpuE3ELNS1_3repE0EEENS1_30default_config_static_selectorELNS0_4arch9wavefront6targetE0EEEvS10_.kd
    .uniform_work_group_size: 1
    .uses_dynamic_stack: false
    .vgpr_count:     0
    .vgpr_spill_count: 0
    .wavefront_size: 32
    .workgroup_processor_mode: 1
  - .args:
      - .offset:         0
        .size:           112
        .value_kind:     by_value
    .group_segment_fixed_size: 33792
    .kernarg_segment_align: 8
    .kernarg_segment_size: 112
    .language:       OpenCL C
    .language_version:
      - 2
      - 0
    .max_flat_workgroup_size: 256
    .name:           _ZN7rocprim17ROCPRIM_400000_NS6detail17trampoline_kernelINS0_14default_configENS1_21merge_config_selectorINS0_5tupleIJffEEENS0_10empty_typeEEEZNS1_10merge_implIS3_NS0_12zip_iteratorINS5_IJN6thrust23THRUST_200600_302600_NS6detail15normal_iteratorINSC_10device_ptrIKfEEEESI_EEEEESK_NSA_INS5_IJNSE_INSF_IfEEEESM_EEEEEPS7_SP_SP_NSC_11hip_rocprim7__merge17predicate_wrapperIffNSC_4lessIfEEEEEE10hipError_tPvRmT0_T1_T2_T3_T4_T5_mmT6_P12ihipStream_tbEUlT_E0_NS1_11comp_targetILNS1_3genE8ELNS1_11target_archE1030ELNS1_3gpuE2ELNS1_3repE0EEENS1_30default_config_static_selectorELNS0_4arch9wavefront6targetE0EEEvS10_
    .private_segment_fixed_size: 0
    .sgpr_count:     30
    .sgpr_spill_count: 0
    .symbol:         _ZN7rocprim17ROCPRIM_400000_NS6detail17trampoline_kernelINS0_14default_configENS1_21merge_config_selectorINS0_5tupleIJffEEENS0_10empty_typeEEEZNS1_10merge_implIS3_NS0_12zip_iteratorINS5_IJN6thrust23THRUST_200600_302600_NS6detail15normal_iteratorINSC_10device_ptrIKfEEEESI_EEEEESK_NSA_INS5_IJNSE_INSF_IfEEEESM_EEEEEPS7_SP_SP_NSC_11hip_rocprim7__merge17predicate_wrapperIffNSC_4lessIfEEEEEE10hipError_tPvRmT0_T1_T2_T3_T4_T5_mmT6_P12ihipStream_tbEUlT_E0_NS1_11comp_targetILNS1_3genE8ELNS1_11target_archE1030ELNS1_3gpuE2ELNS1_3repE0EEENS1_30default_config_static_selectorELNS0_4arch9wavefront6targetE0EEEvS10_.kd
    .uniform_work_group_size: 1
    .uses_dynamic_stack: false
    .vgpr_count:     77
    .vgpr_spill_count: 0
    .wavefront_size: 32
    .workgroup_processor_mode: 1
  - .args:
      - .offset:         0
        .size:           104
        .value_kind:     by_value
    .group_segment_fixed_size: 0
    .kernarg_segment_align: 8
    .kernarg_segment_size: 104
    .language:       OpenCL C
    .language_version:
      - 2
      - 0
    .max_flat_workgroup_size: 128
    .name:           _ZN7rocprim17ROCPRIM_400000_NS6detail17trampoline_kernelINS0_14default_configENS1_22reduce_config_selectorIN6thrust23THRUST_200600_302600_NS5tupleIblNS6_9null_typeES8_S8_S8_S8_S8_S8_S8_EEEEZNS1_11reduce_implILb1ES3_NS6_12zip_iteratorINS7_INS6_11hip_rocprim26transform_input_iterator_tIbNSD_35transform_pair_of_input_iterators_tIbNS6_6detail15normal_iteratorINS6_10device_ptrIKfEEEESL_NS6_8equal_toIfEEEENSG_9not_fun_tINSD_8identityEEEEENSD_19counting_iterator_tIlEES8_S8_S8_S8_S8_S8_S8_S8_EEEEPS9_S9_NSD_9__find_if7functorIS9_EEEE10hipError_tPvRmT1_T2_T3_mT4_P12ihipStream_tbEUlT_E0_NS1_11comp_targetILNS1_3genE0ELNS1_11target_archE4294967295ELNS1_3gpuE0ELNS1_3repE0EEENS1_30default_config_static_selectorELNS0_4arch9wavefront6targetE0EEEvS14_
    .private_segment_fixed_size: 0
    .sgpr_count:     0
    .sgpr_spill_count: 0
    .symbol:         _ZN7rocprim17ROCPRIM_400000_NS6detail17trampoline_kernelINS0_14default_configENS1_22reduce_config_selectorIN6thrust23THRUST_200600_302600_NS5tupleIblNS6_9null_typeES8_S8_S8_S8_S8_S8_S8_EEEEZNS1_11reduce_implILb1ES3_NS6_12zip_iteratorINS7_INS6_11hip_rocprim26transform_input_iterator_tIbNSD_35transform_pair_of_input_iterators_tIbNS6_6detail15normal_iteratorINS6_10device_ptrIKfEEEESL_NS6_8equal_toIfEEEENSG_9not_fun_tINSD_8identityEEEEENSD_19counting_iterator_tIlEES8_S8_S8_S8_S8_S8_S8_S8_EEEEPS9_S9_NSD_9__find_if7functorIS9_EEEE10hipError_tPvRmT1_T2_T3_mT4_P12ihipStream_tbEUlT_E0_NS1_11comp_targetILNS1_3genE0ELNS1_11target_archE4294967295ELNS1_3gpuE0ELNS1_3repE0EEENS1_30default_config_static_selectorELNS0_4arch9wavefront6targetE0EEEvS14_.kd
    .uniform_work_group_size: 1
    .uses_dynamic_stack: false
    .vgpr_count:     0
    .vgpr_spill_count: 0
    .wavefront_size: 32
    .workgroup_processor_mode: 1
  - .args:
      - .offset:         0
        .size:           104
        .value_kind:     by_value
    .group_segment_fixed_size: 0
    .kernarg_segment_align: 8
    .kernarg_segment_size: 104
    .language:       OpenCL C
    .language_version:
      - 2
      - 0
    .max_flat_workgroup_size: 256
    .name:           _ZN7rocprim17ROCPRIM_400000_NS6detail17trampoline_kernelINS0_14default_configENS1_22reduce_config_selectorIN6thrust23THRUST_200600_302600_NS5tupleIblNS6_9null_typeES8_S8_S8_S8_S8_S8_S8_EEEEZNS1_11reduce_implILb1ES3_NS6_12zip_iteratorINS7_INS6_11hip_rocprim26transform_input_iterator_tIbNSD_35transform_pair_of_input_iterators_tIbNS6_6detail15normal_iteratorINS6_10device_ptrIKfEEEESL_NS6_8equal_toIfEEEENSG_9not_fun_tINSD_8identityEEEEENSD_19counting_iterator_tIlEES8_S8_S8_S8_S8_S8_S8_S8_EEEEPS9_S9_NSD_9__find_if7functorIS9_EEEE10hipError_tPvRmT1_T2_T3_mT4_P12ihipStream_tbEUlT_E0_NS1_11comp_targetILNS1_3genE5ELNS1_11target_archE942ELNS1_3gpuE9ELNS1_3repE0EEENS1_30default_config_static_selectorELNS0_4arch9wavefront6targetE0EEEvS14_
    .private_segment_fixed_size: 0
    .sgpr_count:     0
    .sgpr_spill_count: 0
    .symbol:         _ZN7rocprim17ROCPRIM_400000_NS6detail17trampoline_kernelINS0_14default_configENS1_22reduce_config_selectorIN6thrust23THRUST_200600_302600_NS5tupleIblNS6_9null_typeES8_S8_S8_S8_S8_S8_S8_EEEEZNS1_11reduce_implILb1ES3_NS6_12zip_iteratorINS7_INS6_11hip_rocprim26transform_input_iterator_tIbNSD_35transform_pair_of_input_iterators_tIbNS6_6detail15normal_iteratorINS6_10device_ptrIKfEEEESL_NS6_8equal_toIfEEEENSG_9not_fun_tINSD_8identityEEEEENSD_19counting_iterator_tIlEES8_S8_S8_S8_S8_S8_S8_S8_EEEEPS9_S9_NSD_9__find_if7functorIS9_EEEE10hipError_tPvRmT1_T2_T3_mT4_P12ihipStream_tbEUlT_E0_NS1_11comp_targetILNS1_3genE5ELNS1_11target_archE942ELNS1_3gpuE9ELNS1_3repE0EEENS1_30default_config_static_selectorELNS0_4arch9wavefront6targetE0EEEvS14_.kd
    .uniform_work_group_size: 1
    .uses_dynamic_stack: false
    .vgpr_count:     0
    .vgpr_spill_count: 0
    .wavefront_size: 32
    .workgroup_processor_mode: 1
  - .args:
      - .offset:         0
        .size:           104
        .value_kind:     by_value
    .group_segment_fixed_size: 0
    .kernarg_segment_align: 8
    .kernarg_segment_size: 104
    .language:       OpenCL C
    .language_version:
      - 2
      - 0
    .max_flat_workgroup_size: 256
    .name:           _ZN7rocprim17ROCPRIM_400000_NS6detail17trampoline_kernelINS0_14default_configENS1_22reduce_config_selectorIN6thrust23THRUST_200600_302600_NS5tupleIblNS6_9null_typeES8_S8_S8_S8_S8_S8_S8_EEEEZNS1_11reduce_implILb1ES3_NS6_12zip_iteratorINS7_INS6_11hip_rocprim26transform_input_iterator_tIbNSD_35transform_pair_of_input_iterators_tIbNS6_6detail15normal_iteratorINS6_10device_ptrIKfEEEESL_NS6_8equal_toIfEEEENSG_9not_fun_tINSD_8identityEEEEENSD_19counting_iterator_tIlEES8_S8_S8_S8_S8_S8_S8_S8_EEEEPS9_S9_NSD_9__find_if7functorIS9_EEEE10hipError_tPvRmT1_T2_T3_mT4_P12ihipStream_tbEUlT_E0_NS1_11comp_targetILNS1_3genE4ELNS1_11target_archE910ELNS1_3gpuE8ELNS1_3repE0EEENS1_30default_config_static_selectorELNS0_4arch9wavefront6targetE0EEEvS14_
    .private_segment_fixed_size: 0
    .sgpr_count:     0
    .sgpr_spill_count: 0
    .symbol:         _ZN7rocprim17ROCPRIM_400000_NS6detail17trampoline_kernelINS0_14default_configENS1_22reduce_config_selectorIN6thrust23THRUST_200600_302600_NS5tupleIblNS6_9null_typeES8_S8_S8_S8_S8_S8_S8_EEEEZNS1_11reduce_implILb1ES3_NS6_12zip_iteratorINS7_INS6_11hip_rocprim26transform_input_iterator_tIbNSD_35transform_pair_of_input_iterators_tIbNS6_6detail15normal_iteratorINS6_10device_ptrIKfEEEESL_NS6_8equal_toIfEEEENSG_9not_fun_tINSD_8identityEEEEENSD_19counting_iterator_tIlEES8_S8_S8_S8_S8_S8_S8_S8_EEEEPS9_S9_NSD_9__find_if7functorIS9_EEEE10hipError_tPvRmT1_T2_T3_mT4_P12ihipStream_tbEUlT_E0_NS1_11comp_targetILNS1_3genE4ELNS1_11target_archE910ELNS1_3gpuE8ELNS1_3repE0EEENS1_30default_config_static_selectorELNS0_4arch9wavefront6targetE0EEEvS14_.kd
    .uniform_work_group_size: 1
    .uses_dynamic_stack: false
    .vgpr_count:     0
    .vgpr_spill_count: 0
    .wavefront_size: 32
    .workgroup_processor_mode: 1
  - .args:
      - .offset:         0
        .size:           104
        .value_kind:     by_value
    .group_segment_fixed_size: 0
    .kernarg_segment_align: 8
    .kernarg_segment_size: 104
    .language:       OpenCL C
    .language_version:
      - 2
      - 0
    .max_flat_workgroup_size: 128
    .name:           _ZN7rocprim17ROCPRIM_400000_NS6detail17trampoline_kernelINS0_14default_configENS1_22reduce_config_selectorIN6thrust23THRUST_200600_302600_NS5tupleIblNS6_9null_typeES8_S8_S8_S8_S8_S8_S8_EEEEZNS1_11reduce_implILb1ES3_NS6_12zip_iteratorINS7_INS6_11hip_rocprim26transform_input_iterator_tIbNSD_35transform_pair_of_input_iterators_tIbNS6_6detail15normal_iteratorINS6_10device_ptrIKfEEEESL_NS6_8equal_toIfEEEENSG_9not_fun_tINSD_8identityEEEEENSD_19counting_iterator_tIlEES8_S8_S8_S8_S8_S8_S8_S8_EEEEPS9_S9_NSD_9__find_if7functorIS9_EEEE10hipError_tPvRmT1_T2_T3_mT4_P12ihipStream_tbEUlT_E0_NS1_11comp_targetILNS1_3genE3ELNS1_11target_archE908ELNS1_3gpuE7ELNS1_3repE0EEENS1_30default_config_static_selectorELNS0_4arch9wavefront6targetE0EEEvS14_
    .private_segment_fixed_size: 0
    .sgpr_count:     0
    .sgpr_spill_count: 0
    .symbol:         _ZN7rocprim17ROCPRIM_400000_NS6detail17trampoline_kernelINS0_14default_configENS1_22reduce_config_selectorIN6thrust23THRUST_200600_302600_NS5tupleIblNS6_9null_typeES8_S8_S8_S8_S8_S8_S8_EEEEZNS1_11reduce_implILb1ES3_NS6_12zip_iteratorINS7_INS6_11hip_rocprim26transform_input_iterator_tIbNSD_35transform_pair_of_input_iterators_tIbNS6_6detail15normal_iteratorINS6_10device_ptrIKfEEEESL_NS6_8equal_toIfEEEENSG_9not_fun_tINSD_8identityEEEEENSD_19counting_iterator_tIlEES8_S8_S8_S8_S8_S8_S8_S8_EEEEPS9_S9_NSD_9__find_if7functorIS9_EEEE10hipError_tPvRmT1_T2_T3_mT4_P12ihipStream_tbEUlT_E0_NS1_11comp_targetILNS1_3genE3ELNS1_11target_archE908ELNS1_3gpuE7ELNS1_3repE0EEENS1_30default_config_static_selectorELNS0_4arch9wavefront6targetE0EEEvS14_.kd
    .uniform_work_group_size: 1
    .uses_dynamic_stack: false
    .vgpr_count:     0
    .vgpr_spill_count: 0
    .wavefront_size: 32
    .workgroup_processor_mode: 1
  - .args:
      - .offset:         0
        .size:           104
        .value_kind:     by_value
    .group_segment_fixed_size: 0
    .kernarg_segment_align: 8
    .kernarg_segment_size: 104
    .language:       OpenCL C
    .language_version:
      - 2
      - 0
    .max_flat_workgroup_size: 128
    .name:           _ZN7rocprim17ROCPRIM_400000_NS6detail17trampoline_kernelINS0_14default_configENS1_22reduce_config_selectorIN6thrust23THRUST_200600_302600_NS5tupleIblNS6_9null_typeES8_S8_S8_S8_S8_S8_S8_EEEEZNS1_11reduce_implILb1ES3_NS6_12zip_iteratorINS7_INS6_11hip_rocprim26transform_input_iterator_tIbNSD_35transform_pair_of_input_iterators_tIbNS6_6detail15normal_iteratorINS6_10device_ptrIKfEEEESL_NS6_8equal_toIfEEEENSG_9not_fun_tINSD_8identityEEEEENSD_19counting_iterator_tIlEES8_S8_S8_S8_S8_S8_S8_S8_EEEEPS9_S9_NSD_9__find_if7functorIS9_EEEE10hipError_tPvRmT1_T2_T3_mT4_P12ihipStream_tbEUlT_E0_NS1_11comp_targetILNS1_3genE2ELNS1_11target_archE906ELNS1_3gpuE6ELNS1_3repE0EEENS1_30default_config_static_selectorELNS0_4arch9wavefront6targetE0EEEvS14_
    .private_segment_fixed_size: 0
    .sgpr_count:     0
    .sgpr_spill_count: 0
    .symbol:         _ZN7rocprim17ROCPRIM_400000_NS6detail17trampoline_kernelINS0_14default_configENS1_22reduce_config_selectorIN6thrust23THRUST_200600_302600_NS5tupleIblNS6_9null_typeES8_S8_S8_S8_S8_S8_S8_EEEEZNS1_11reduce_implILb1ES3_NS6_12zip_iteratorINS7_INS6_11hip_rocprim26transform_input_iterator_tIbNSD_35transform_pair_of_input_iterators_tIbNS6_6detail15normal_iteratorINS6_10device_ptrIKfEEEESL_NS6_8equal_toIfEEEENSG_9not_fun_tINSD_8identityEEEEENSD_19counting_iterator_tIlEES8_S8_S8_S8_S8_S8_S8_S8_EEEEPS9_S9_NSD_9__find_if7functorIS9_EEEE10hipError_tPvRmT1_T2_T3_mT4_P12ihipStream_tbEUlT_E0_NS1_11comp_targetILNS1_3genE2ELNS1_11target_archE906ELNS1_3gpuE6ELNS1_3repE0EEENS1_30default_config_static_selectorELNS0_4arch9wavefront6targetE0EEEvS14_.kd
    .uniform_work_group_size: 1
    .uses_dynamic_stack: false
    .vgpr_count:     0
    .vgpr_spill_count: 0
    .wavefront_size: 32
    .workgroup_processor_mode: 1
  - .args:
      - .offset:         0
        .size:           104
        .value_kind:     by_value
    .group_segment_fixed_size: 0
    .kernarg_segment_align: 8
    .kernarg_segment_size: 104
    .language:       OpenCL C
    .language_version:
      - 2
      - 0
    .max_flat_workgroup_size: 256
    .name:           _ZN7rocprim17ROCPRIM_400000_NS6detail17trampoline_kernelINS0_14default_configENS1_22reduce_config_selectorIN6thrust23THRUST_200600_302600_NS5tupleIblNS6_9null_typeES8_S8_S8_S8_S8_S8_S8_EEEEZNS1_11reduce_implILb1ES3_NS6_12zip_iteratorINS7_INS6_11hip_rocprim26transform_input_iterator_tIbNSD_35transform_pair_of_input_iterators_tIbNS6_6detail15normal_iteratorINS6_10device_ptrIKfEEEESL_NS6_8equal_toIfEEEENSG_9not_fun_tINSD_8identityEEEEENSD_19counting_iterator_tIlEES8_S8_S8_S8_S8_S8_S8_S8_EEEEPS9_S9_NSD_9__find_if7functorIS9_EEEE10hipError_tPvRmT1_T2_T3_mT4_P12ihipStream_tbEUlT_E0_NS1_11comp_targetILNS1_3genE10ELNS1_11target_archE1201ELNS1_3gpuE5ELNS1_3repE0EEENS1_30default_config_static_selectorELNS0_4arch9wavefront6targetE0EEEvS14_
    .private_segment_fixed_size: 0
    .sgpr_count:     0
    .sgpr_spill_count: 0
    .symbol:         _ZN7rocprim17ROCPRIM_400000_NS6detail17trampoline_kernelINS0_14default_configENS1_22reduce_config_selectorIN6thrust23THRUST_200600_302600_NS5tupleIblNS6_9null_typeES8_S8_S8_S8_S8_S8_S8_EEEEZNS1_11reduce_implILb1ES3_NS6_12zip_iteratorINS7_INS6_11hip_rocprim26transform_input_iterator_tIbNSD_35transform_pair_of_input_iterators_tIbNS6_6detail15normal_iteratorINS6_10device_ptrIKfEEEESL_NS6_8equal_toIfEEEENSG_9not_fun_tINSD_8identityEEEEENSD_19counting_iterator_tIlEES8_S8_S8_S8_S8_S8_S8_S8_EEEEPS9_S9_NSD_9__find_if7functorIS9_EEEE10hipError_tPvRmT1_T2_T3_mT4_P12ihipStream_tbEUlT_E0_NS1_11comp_targetILNS1_3genE10ELNS1_11target_archE1201ELNS1_3gpuE5ELNS1_3repE0EEENS1_30default_config_static_selectorELNS0_4arch9wavefront6targetE0EEEvS14_.kd
    .uniform_work_group_size: 1
    .uses_dynamic_stack: false
    .vgpr_count:     0
    .vgpr_spill_count: 0
    .wavefront_size: 32
    .workgroup_processor_mode: 1
  - .args:
      - .offset:         0
        .size:           104
        .value_kind:     by_value
    .group_segment_fixed_size: 0
    .kernarg_segment_align: 8
    .kernarg_segment_size: 104
    .language:       OpenCL C
    .language_version:
      - 2
      - 0
    .max_flat_workgroup_size: 256
    .name:           _ZN7rocprim17ROCPRIM_400000_NS6detail17trampoline_kernelINS0_14default_configENS1_22reduce_config_selectorIN6thrust23THRUST_200600_302600_NS5tupleIblNS6_9null_typeES8_S8_S8_S8_S8_S8_S8_EEEEZNS1_11reduce_implILb1ES3_NS6_12zip_iteratorINS7_INS6_11hip_rocprim26transform_input_iterator_tIbNSD_35transform_pair_of_input_iterators_tIbNS6_6detail15normal_iteratorINS6_10device_ptrIKfEEEESL_NS6_8equal_toIfEEEENSG_9not_fun_tINSD_8identityEEEEENSD_19counting_iterator_tIlEES8_S8_S8_S8_S8_S8_S8_S8_EEEEPS9_S9_NSD_9__find_if7functorIS9_EEEE10hipError_tPvRmT1_T2_T3_mT4_P12ihipStream_tbEUlT_E0_NS1_11comp_targetILNS1_3genE10ELNS1_11target_archE1200ELNS1_3gpuE4ELNS1_3repE0EEENS1_30default_config_static_selectorELNS0_4arch9wavefront6targetE0EEEvS14_
    .private_segment_fixed_size: 0
    .sgpr_count:     0
    .sgpr_spill_count: 0
    .symbol:         _ZN7rocprim17ROCPRIM_400000_NS6detail17trampoline_kernelINS0_14default_configENS1_22reduce_config_selectorIN6thrust23THRUST_200600_302600_NS5tupleIblNS6_9null_typeES8_S8_S8_S8_S8_S8_S8_EEEEZNS1_11reduce_implILb1ES3_NS6_12zip_iteratorINS7_INS6_11hip_rocprim26transform_input_iterator_tIbNSD_35transform_pair_of_input_iterators_tIbNS6_6detail15normal_iteratorINS6_10device_ptrIKfEEEESL_NS6_8equal_toIfEEEENSG_9not_fun_tINSD_8identityEEEEENSD_19counting_iterator_tIlEES8_S8_S8_S8_S8_S8_S8_S8_EEEEPS9_S9_NSD_9__find_if7functorIS9_EEEE10hipError_tPvRmT1_T2_T3_mT4_P12ihipStream_tbEUlT_E0_NS1_11comp_targetILNS1_3genE10ELNS1_11target_archE1200ELNS1_3gpuE4ELNS1_3repE0EEENS1_30default_config_static_selectorELNS0_4arch9wavefront6targetE0EEEvS14_.kd
    .uniform_work_group_size: 1
    .uses_dynamic_stack: false
    .vgpr_count:     0
    .vgpr_spill_count: 0
    .wavefront_size: 32
    .workgroup_processor_mode: 1
  - .args:
      - .offset:         0
        .size:           104
        .value_kind:     by_value
    .group_segment_fixed_size: 0
    .kernarg_segment_align: 8
    .kernarg_segment_size: 104
    .language:       OpenCL C
    .language_version:
      - 2
      - 0
    .max_flat_workgroup_size: 256
    .name:           _ZN7rocprim17ROCPRIM_400000_NS6detail17trampoline_kernelINS0_14default_configENS1_22reduce_config_selectorIN6thrust23THRUST_200600_302600_NS5tupleIblNS6_9null_typeES8_S8_S8_S8_S8_S8_S8_EEEEZNS1_11reduce_implILb1ES3_NS6_12zip_iteratorINS7_INS6_11hip_rocprim26transform_input_iterator_tIbNSD_35transform_pair_of_input_iterators_tIbNS6_6detail15normal_iteratorINS6_10device_ptrIKfEEEESL_NS6_8equal_toIfEEEENSG_9not_fun_tINSD_8identityEEEEENSD_19counting_iterator_tIlEES8_S8_S8_S8_S8_S8_S8_S8_EEEEPS9_S9_NSD_9__find_if7functorIS9_EEEE10hipError_tPvRmT1_T2_T3_mT4_P12ihipStream_tbEUlT_E0_NS1_11comp_targetILNS1_3genE9ELNS1_11target_archE1100ELNS1_3gpuE3ELNS1_3repE0EEENS1_30default_config_static_selectorELNS0_4arch9wavefront6targetE0EEEvS14_
    .private_segment_fixed_size: 0
    .sgpr_count:     0
    .sgpr_spill_count: 0
    .symbol:         _ZN7rocprim17ROCPRIM_400000_NS6detail17trampoline_kernelINS0_14default_configENS1_22reduce_config_selectorIN6thrust23THRUST_200600_302600_NS5tupleIblNS6_9null_typeES8_S8_S8_S8_S8_S8_S8_EEEEZNS1_11reduce_implILb1ES3_NS6_12zip_iteratorINS7_INS6_11hip_rocprim26transform_input_iterator_tIbNSD_35transform_pair_of_input_iterators_tIbNS6_6detail15normal_iteratorINS6_10device_ptrIKfEEEESL_NS6_8equal_toIfEEEENSG_9not_fun_tINSD_8identityEEEEENSD_19counting_iterator_tIlEES8_S8_S8_S8_S8_S8_S8_S8_EEEEPS9_S9_NSD_9__find_if7functorIS9_EEEE10hipError_tPvRmT1_T2_T3_mT4_P12ihipStream_tbEUlT_E0_NS1_11comp_targetILNS1_3genE9ELNS1_11target_archE1100ELNS1_3gpuE3ELNS1_3repE0EEENS1_30default_config_static_selectorELNS0_4arch9wavefront6targetE0EEEvS14_.kd
    .uniform_work_group_size: 1
    .uses_dynamic_stack: false
    .vgpr_count:     0
    .vgpr_spill_count: 0
    .wavefront_size: 32
    .workgroup_processor_mode: 1
  - .args:
      - .offset:         0
        .size:           104
        .value_kind:     by_value
    .group_segment_fixed_size: 256
    .kernarg_segment_align: 8
    .kernarg_segment_size: 104
    .language:       OpenCL C
    .language_version:
      - 2
      - 0
    .max_flat_workgroup_size: 256
    .name:           _ZN7rocprim17ROCPRIM_400000_NS6detail17trampoline_kernelINS0_14default_configENS1_22reduce_config_selectorIN6thrust23THRUST_200600_302600_NS5tupleIblNS6_9null_typeES8_S8_S8_S8_S8_S8_S8_EEEEZNS1_11reduce_implILb1ES3_NS6_12zip_iteratorINS7_INS6_11hip_rocprim26transform_input_iterator_tIbNSD_35transform_pair_of_input_iterators_tIbNS6_6detail15normal_iteratorINS6_10device_ptrIKfEEEESL_NS6_8equal_toIfEEEENSG_9not_fun_tINSD_8identityEEEEENSD_19counting_iterator_tIlEES8_S8_S8_S8_S8_S8_S8_S8_EEEEPS9_S9_NSD_9__find_if7functorIS9_EEEE10hipError_tPvRmT1_T2_T3_mT4_P12ihipStream_tbEUlT_E0_NS1_11comp_targetILNS1_3genE8ELNS1_11target_archE1030ELNS1_3gpuE2ELNS1_3repE0EEENS1_30default_config_static_selectorELNS0_4arch9wavefront6targetE0EEEvS14_
    .private_segment_fixed_size: 0
    .sgpr_count:     30
    .sgpr_spill_count: 0
    .symbol:         _ZN7rocprim17ROCPRIM_400000_NS6detail17trampoline_kernelINS0_14default_configENS1_22reduce_config_selectorIN6thrust23THRUST_200600_302600_NS5tupleIblNS6_9null_typeES8_S8_S8_S8_S8_S8_S8_EEEEZNS1_11reduce_implILb1ES3_NS6_12zip_iteratorINS7_INS6_11hip_rocprim26transform_input_iterator_tIbNSD_35transform_pair_of_input_iterators_tIbNS6_6detail15normal_iteratorINS6_10device_ptrIKfEEEESL_NS6_8equal_toIfEEEENSG_9not_fun_tINSD_8identityEEEEENSD_19counting_iterator_tIlEES8_S8_S8_S8_S8_S8_S8_S8_EEEEPS9_S9_NSD_9__find_if7functorIS9_EEEE10hipError_tPvRmT1_T2_T3_mT4_P12ihipStream_tbEUlT_E0_NS1_11comp_targetILNS1_3genE8ELNS1_11target_archE1030ELNS1_3gpuE2ELNS1_3repE0EEENS1_30default_config_static_selectorELNS0_4arch9wavefront6targetE0EEEvS14_.kd
    .uniform_work_group_size: 1
    .uses_dynamic_stack: false
    .vgpr_count:     13
    .vgpr_spill_count: 0
    .wavefront_size: 32
    .workgroup_processor_mode: 1
  - .args:
      - .offset:         0
        .size:           88
        .value_kind:     by_value
    .group_segment_fixed_size: 0
    .kernarg_segment_align: 8
    .kernarg_segment_size: 88
    .language:       OpenCL C
    .language_version:
      - 2
      - 0
    .max_flat_workgroup_size: 128
    .name:           _ZN7rocprim17ROCPRIM_400000_NS6detail17trampoline_kernelINS0_14default_configENS1_22reduce_config_selectorIN6thrust23THRUST_200600_302600_NS5tupleIblNS6_9null_typeES8_S8_S8_S8_S8_S8_S8_EEEEZNS1_11reduce_implILb1ES3_NS6_12zip_iteratorINS7_INS6_11hip_rocprim26transform_input_iterator_tIbNSD_35transform_pair_of_input_iterators_tIbNS6_6detail15normal_iteratorINS6_10device_ptrIKfEEEESL_NS6_8equal_toIfEEEENSG_9not_fun_tINSD_8identityEEEEENSD_19counting_iterator_tIlEES8_S8_S8_S8_S8_S8_S8_S8_EEEEPS9_S9_NSD_9__find_if7functorIS9_EEEE10hipError_tPvRmT1_T2_T3_mT4_P12ihipStream_tbEUlT_E1_NS1_11comp_targetILNS1_3genE0ELNS1_11target_archE4294967295ELNS1_3gpuE0ELNS1_3repE0EEENS1_30default_config_static_selectorELNS0_4arch9wavefront6targetE0EEEvS14_
    .private_segment_fixed_size: 0
    .sgpr_count:     0
    .sgpr_spill_count: 0
    .symbol:         _ZN7rocprim17ROCPRIM_400000_NS6detail17trampoline_kernelINS0_14default_configENS1_22reduce_config_selectorIN6thrust23THRUST_200600_302600_NS5tupleIblNS6_9null_typeES8_S8_S8_S8_S8_S8_S8_EEEEZNS1_11reduce_implILb1ES3_NS6_12zip_iteratorINS7_INS6_11hip_rocprim26transform_input_iterator_tIbNSD_35transform_pair_of_input_iterators_tIbNS6_6detail15normal_iteratorINS6_10device_ptrIKfEEEESL_NS6_8equal_toIfEEEENSG_9not_fun_tINSD_8identityEEEEENSD_19counting_iterator_tIlEES8_S8_S8_S8_S8_S8_S8_S8_EEEEPS9_S9_NSD_9__find_if7functorIS9_EEEE10hipError_tPvRmT1_T2_T3_mT4_P12ihipStream_tbEUlT_E1_NS1_11comp_targetILNS1_3genE0ELNS1_11target_archE4294967295ELNS1_3gpuE0ELNS1_3repE0EEENS1_30default_config_static_selectorELNS0_4arch9wavefront6targetE0EEEvS14_.kd
    .uniform_work_group_size: 1
    .uses_dynamic_stack: false
    .vgpr_count:     0
    .vgpr_spill_count: 0
    .wavefront_size: 32
    .workgroup_processor_mode: 1
  - .args:
      - .offset:         0
        .size:           88
        .value_kind:     by_value
    .group_segment_fixed_size: 0
    .kernarg_segment_align: 8
    .kernarg_segment_size: 88
    .language:       OpenCL C
    .language_version:
      - 2
      - 0
    .max_flat_workgroup_size: 256
    .name:           _ZN7rocprim17ROCPRIM_400000_NS6detail17trampoline_kernelINS0_14default_configENS1_22reduce_config_selectorIN6thrust23THRUST_200600_302600_NS5tupleIblNS6_9null_typeES8_S8_S8_S8_S8_S8_S8_EEEEZNS1_11reduce_implILb1ES3_NS6_12zip_iteratorINS7_INS6_11hip_rocprim26transform_input_iterator_tIbNSD_35transform_pair_of_input_iterators_tIbNS6_6detail15normal_iteratorINS6_10device_ptrIKfEEEESL_NS6_8equal_toIfEEEENSG_9not_fun_tINSD_8identityEEEEENSD_19counting_iterator_tIlEES8_S8_S8_S8_S8_S8_S8_S8_EEEEPS9_S9_NSD_9__find_if7functorIS9_EEEE10hipError_tPvRmT1_T2_T3_mT4_P12ihipStream_tbEUlT_E1_NS1_11comp_targetILNS1_3genE5ELNS1_11target_archE942ELNS1_3gpuE9ELNS1_3repE0EEENS1_30default_config_static_selectorELNS0_4arch9wavefront6targetE0EEEvS14_
    .private_segment_fixed_size: 0
    .sgpr_count:     0
    .sgpr_spill_count: 0
    .symbol:         _ZN7rocprim17ROCPRIM_400000_NS6detail17trampoline_kernelINS0_14default_configENS1_22reduce_config_selectorIN6thrust23THRUST_200600_302600_NS5tupleIblNS6_9null_typeES8_S8_S8_S8_S8_S8_S8_EEEEZNS1_11reduce_implILb1ES3_NS6_12zip_iteratorINS7_INS6_11hip_rocprim26transform_input_iterator_tIbNSD_35transform_pair_of_input_iterators_tIbNS6_6detail15normal_iteratorINS6_10device_ptrIKfEEEESL_NS6_8equal_toIfEEEENSG_9not_fun_tINSD_8identityEEEEENSD_19counting_iterator_tIlEES8_S8_S8_S8_S8_S8_S8_S8_EEEEPS9_S9_NSD_9__find_if7functorIS9_EEEE10hipError_tPvRmT1_T2_T3_mT4_P12ihipStream_tbEUlT_E1_NS1_11comp_targetILNS1_3genE5ELNS1_11target_archE942ELNS1_3gpuE9ELNS1_3repE0EEENS1_30default_config_static_selectorELNS0_4arch9wavefront6targetE0EEEvS14_.kd
    .uniform_work_group_size: 1
    .uses_dynamic_stack: false
    .vgpr_count:     0
    .vgpr_spill_count: 0
    .wavefront_size: 32
    .workgroup_processor_mode: 1
  - .args:
      - .offset:         0
        .size:           88
        .value_kind:     by_value
    .group_segment_fixed_size: 0
    .kernarg_segment_align: 8
    .kernarg_segment_size: 88
    .language:       OpenCL C
    .language_version:
      - 2
      - 0
    .max_flat_workgroup_size: 256
    .name:           _ZN7rocprim17ROCPRIM_400000_NS6detail17trampoline_kernelINS0_14default_configENS1_22reduce_config_selectorIN6thrust23THRUST_200600_302600_NS5tupleIblNS6_9null_typeES8_S8_S8_S8_S8_S8_S8_EEEEZNS1_11reduce_implILb1ES3_NS6_12zip_iteratorINS7_INS6_11hip_rocprim26transform_input_iterator_tIbNSD_35transform_pair_of_input_iterators_tIbNS6_6detail15normal_iteratorINS6_10device_ptrIKfEEEESL_NS6_8equal_toIfEEEENSG_9not_fun_tINSD_8identityEEEEENSD_19counting_iterator_tIlEES8_S8_S8_S8_S8_S8_S8_S8_EEEEPS9_S9_NSD_9__find_if7functorIS9_EEEE10hipError_tPvRmT1_T2_T3_mT4_P12ihipStream_tbEUlT_E1_NS1_11comp_targetILNS1_3genE4ELNS1_11target_archE910ELNS1_3gpuE8ELNS1_3repE0EEENS1_30default_config_static_selectorELNS0_4arch9wavefront6targetE0EEEvS14_
    .private_segment_fixed_size: 0
    .sgpr_count:     0
    .sgpr_spill_count: 0
    .symbol:         _ZN7rocprim17ROCPRIM_400000_NS6detail17trampoline_kernelINS0_14default_configENS1_22reduce_config_selectorIN6thrust23THRUST_200600_302600_NS5tupleIblNS6_9null_typeES8_S8_S8_S8_S8_S8_S8_EEEEZNS1_11reduce_implILb1ES3_NS6_12zip_iteratorINS7_INS6_11hip_rocprim26transform_input_iterator_tIbNSD_35transform_pair_of_input_iterators_tIbNS6_6detail15normal_iteratorINS6_10device_ptrIKfEEEESL_NS6_8equal_toIfEEEENSG_9not_fun_tINSD_8identityEEEEENSD_19counting_iterator_tIlEES8_S8_S8_S8_S8_S8_S8_S8_EEEEPS9_S9_NSD_9__find_if7functorIS9_EEEE10hipError_tPvRmT1_T2_T3_mT4_P12ihipStream_tbEUlT_E1_NS1_11comp_targetILNS1_3genE4ELNS1_11target_archE910ELNS1_3gpuE8ELNS1_3repE0EEENS1_30default_config_static_selectorELNS0_4arch9wavefront6targetE0EEEvS14_.kd
    .uniform_work_group_size: 1
    .uses_dynamic_stack: false
    .vgpr_count:     0
    .vgpr_spill_count: 0
    .wavefront_size: 32
    .workgroup_processor_mode: 1
  - .args:
      - .offset:         0
        .size:           88
        .value_kind:     by_value
    .group_segment_fixed_size: 0
    .kernarg_segment_align: 8
    .kernarg_segment_size: 88
    .language:       OpenCL C
    .language_version:
      - 2
      - 0
    .max_flat_workgroup_size: 128
    .name:           _ZN7rocprim17ROCPRIM_400000_NS6detail17trampoline_kernelINS0_14default_configENS1_22reduce_config_selectorIN6thrust23THRUST_200600_302600_NS5tupleIblNS6_9null_typeES8_S8_S8_S8_S8_S8_S8_EEEEZNS1_11reduce_implILb1ES3_NS6_12zip_iteratorINS7_INS6_11hip_rocprim26transform_input_iterator_tIbNSD_35transform_pair_of_input_iterators_tIbNS6_6detail15normal_iteratorINS6_10device_ptrIKfEEEESL_NS6_8equal_toIfEEEENSG_9not_fun_tINSD_8identityEEEEENSD_19counting_iterator_tIlEES8_S8_S8_S8_S8_S8_S8_S8_EEEEPS9_S9_NSD_9__find_if7functorIS9_EEEE10hipError_tPvRmT1_T2_T3_mT4_P12ihipStream_tbEUlT_E1_NS1_11comp_targetILNS1_3genE3ELNS1_11target_archE908ELNS1_3gpuE7ELNS1_3repE0EEENS1_30default_config_static_selectorELNS0_4arch9wavefront6targetE0EEEvS14_
    .private_segment_fixed_size: 0
    .sgpr_count:     0
    .sgpr_spill_count: 0
    .symbol:         _ZN7rocprim17ROCPRIM_400000_NS6detail17trampoline_kernelINS0_14default_configENS1_22reduce_config_selectorIN6thrust23THRUST_200600_302600_NS5tupleIblNS6_9null_typeES8_S8_S8_S8_S8_S8_S8_EEEEZNS1_11reduce_implILb1ES3_NS6_12zip_iteratorINS7_INS6_11hip_rocprim26transform_input_iterator_tIbNSD_35transform_pair_of_input_iterators_tIbNS6_6detail15normal_iteratorINS6_10device_ptrIKfEEEESL_NS6_8equal_toIfEEEENSG_9not_fun_tINSD_8identityEEEEENSD_19counting_iterator_tIlEES8_S8_S8_S8_S8_S8_S8_S8_EEEEPS9_S9_NSD_9__find_if7functorIS9_EEEE10hipError_tPvRmT1_T2_T3_mT4_P12ihipStream_tbEUlT_E1_NS1_11comp_targetILNS1_3genE3ELNS1_11target_archE908ELNS1_3gpuE7ELNS1_3repE0EEENS1_30default_config_static_selectorELNS0_4arch9wavefront6targetE0EEEvS14_.kd
    .uniform_work_group_size: 1
    .uses_dynamic_stack: false
    .vgpr_count:     0
    .vgpr_spill_count: 0
    .wavefront_size: 32
    .workgroup_processor_mode: 1
  - .args:
      - .offset:         0
        .size:           88
        .value_kind:     by_value
    .group_segment_fixed_size: 0
    .kernarg_segment_align: 8
    .kernarg_segment_size: 88
    .language:       OpenCL C
    .language_version:
      - 2
      - 0
    .max_flat_workgroup_size: 128
    .name:           _ZN7rocprim17ROCPRIM_400000_NS6detail17trampoline_kernelINS0_14default_configENS1_22reduce_config_selectorIN6thrust23THRUST_200600_302600_NS5tupleIblNS6_9null_typeES8_S8_S8_S8_S8_S8_S8_EEEEZNS1_11reduce_implILb1ES3_NS6_12zip_iteratorINS7_INS6_11hip_rocprim26transform_input_iterator_tIbNSD_35transform_pair_of_input_iterators_tIbNS6_6detail15normal_iteratorINS6_10device_ptrIKfEEEESL_NS6_8equal_toIfEEEENSG_9not_fun_tINSD_8identityEEEEENSD_19counting_iterator_tIlEES8_S8_S8_S8_S8_S8_S8_S8_EEEEPS9_S9_NSD_9__find_if7functorIS9_EEEE10hipError_tPvRmT1_T2_T3_mT4_P12ihipStream_tbEUlT_E1_NS1_11comp_targetILNS1_3genE2ELNS1_11target_archE906ELNS1_3gpuE6ELNS1_3repE0EEENS1_30default_config_static_selectorELNS0_4arch9wavefront6targetE0EEEvS14_
    .private_segment_fixed_size: 0
    .sgpr_count:     0
    .sgpr_spill_count: 0
    .symbol:         _ZN7rocprim17ROCPRIM_400000_NS6detail17trampoline_kernelINS0_14default_configENS1_22reduce_config_selectorIN6thrust23THRUST_200600_302600_NS5tupleIblNS6_9null_typeES8_S8_S8_S8_S8_S8_S8_EEEEZNS1_11reduce_implILb1ES3_NS6_12zip_iteratorINS7_INS6_11hip_rocprim26transform_input_iterator_tIbNSD_35transform_pair_of_input_iterators_tIbNS6_6detail15normal_iteratorINS6_10device_ptrIKfEEEESL_NS6_8equal_toIfEEEENSG_9not_fun_tINSD_8identityEEEEENSD_19counting_iterator_tIlEES8_S8_S8_S8_S8_S8_S8_S8_EEEEPS9_S9_NSD_9__find_if7functorIS9_EEEE10hipError_tPvRmT1_T2_T3_mT4_P12ihipStream_tbEUlT_E1_NS1_11comp_targetILNS1_3genE2ELNS1_11target_archE906ELNS1_3gpuE6ELNS1_3repE0EEENS1_30default_config_static_selectorELNS0_4arch9wavefront6targetE0EEEvS14_.kd
    .uniform_work_group_size: 1
    .uses_dynamic_stack: false
    .vgpr_count:     0
    .vgpr_spill_count: 0
    .wavefront_size: 32
    .workgroup_processor_mode: 1
  - .args:
      - .offset:         0
        .size:           88
        .value_kind:     by_value
    .group_segment_fixed_size: 0
    .kernarg_segment_align: 8
    .kernarg_segment_size: 88
    .language:       OpenCL C
    .language_version:
      - 2
      - 0
    .max_flat_workgroup_size: 256
    .name:           _ZN7rocprim17ROCPRIM_400000_NS6detail17trampoline_kernelINS0_14default_configENS1_22reduce_config_selectorIN6thrust23THRUST_200600_302600_NS5tupleIblNS6_9null_typeES8_S8_S8_S8_S8_S8_S8_EEEEZNS1_11reduce_implILb1ES3_NS6_12zip_iteratorINS7_INS6_11hip_rocprim26transform_input_iterator_tIbNSD_35transform_pair_of_input_iterators_tIbNS6_6detail15normal_iteratorINS6_10device_ptrIKfEEEESL_NS6_8equal_toIfEEEENSG_9not_fun_tINSD_8identityEEEEENSD_19counting_iterator_tIlEES8_S8_S8_S8_S8_S8_S8_S8_EEEEPS9_S9_NSD_9__find_if7functorIS9_EEEE10hipError_tPvRmT1_T2_T3_mT4_P12ihipStream_tbEUlT_E1_NS1_11comp_targetILNS1_3genE10ELNS1_11target_archE1201ELNS1_3gpuE5ELNS1_3repE0EEENS1_30default_config_static_selectorELNS0_4arch9wavefront6targetE0EEEvS14_
    .private_segment_fixed_size: 0
    .sgpr_count:     0
    .sgpr_spill_count: 0
    .symbol:         _ZN7rocprim17ROCPRIM_400000_NS6detail17trampoline_kernelINS0_14default_configENS1_22reduce_config_selectorIN6thrust23THRUST_200600_302600_NS5tupleIblNS6_9null_typeES8_S8_S8_S8_S8_S8_S8_EEEEZNS1_11reduce_implILb1ES3_NS6_12zip_iteratorINS7_INS6_11hip_rocprim26transform_input_iterator_tIbNSD_35transform_pair_of_input_iterators_tIbNS6_6detail15normal_iteratorINS6_10device_ptrIKfEEEESL_NS6_8equal_toIfEEEENSG_9not_fun_tINSD_8identityEEEEENSD_19counting_iterator_tIlEES8_S8_S8_S8_S8_S8_S8_S8_EEEEPS9_S9_NSD_9__find_if7functorIS9_EEEE10hipError_tPvRmT1_T2_T3_mT4_P12ihipStream_tbEUlT_E1_NS1_11comp_targetILNS1_3genE10ELNS1_11target_archE1201ELNS1_3gpuE5ELNS1_3repE0EEENS1_30default_config_static_selectorELNS0_4arch9wavefront6targetE0EEEvS14_.kd
    .uniform_work_group_size: 1
    .uses_dynamic_stack: false
    .vgpr_count:     0
    .vgpr_spill_count: 0
    .wavefront_size: 32
    .workgroup_processor_mode: 1
  - .args:
      - .offset:         0
        .size:           88
        .value_kind:     by_value
    .group_segment_fixed_size: 0
    .kernarg_segment_align: 8
    .kernarg_segment_size: 88
    .language:       OpenCL C
    .language_version:
      - 2
      - 0
    .max_flat_workgroup_size: 256
    .name:           _ZN7rocprim17ROCPRIM_400000_NS6detail17trampoline_kernelINS0_14default_configENS1_22reduce_config_selectorIN6thrust23THRUST_200600_302600_NS5tupleIblNS6_9null_typeES8_S8_S8_S8_S8_S8_S8_EEEEZNS1_11reduce_implILb1ES3_NS6_12zip_iteratorINS7_INS6_11hip_rocprim26transform_input_iterator_tIbNSD_35transform_pair_of_input_iterators_tIbNS6_6detail15normal_iteratorINS6_10device_ptrIKfEEEESL_NS6_8equal_toIfEEEENSG_9not_fun_tINSD_8identityEEEEENSD_19counting_iterator_tIlEES8_S8_S8_S8_S8_S8_S8_S8_EEEEPS9_S9_NSD_9__find_if7functorIS9_EEEE10hipError_tPvRmT1_T2_T3_mT4_P12ihipStream_tbEUlT_E1_NS1_11comp_targetILNS1_3genE10ELNS1_11target_archE1200ELNS1_3gpuE4ELNS1_3repE0EEENS1_30default_config_static_selectorELNS0_4arch9wavefront6targetE0EEEvS14_
    .private_segment_fixed_size: 0
    .sgpr_count:     0
    .sgpr_spill_count: 0
    .symbol:         _ZN7rocprim17ROCPRIM_400000_NS6detail17trampoline_kernelINS0_14default_configENS1_22reduce_config_selectorIN6thrust23THRUST_200600_302600_NS5tupleIblNS6_9null_typeES8_S8_S8_S8_S8_S8_S8_EEEEZNS1_11reduce_implILb1ES3_NS6_12zip_iteratorINS7_INS6_11hip_rocprim26transform_input_iterator_tIbNSD_35transform_pair_of_input_iterators_tIbNS6_6detail15normal_iteratorINS6_10device_ptrIKfEEEESL_NS6_8equal_toIfEEEENSG_9not_fun_tINSD_8identityEEEEENSD_19counting_iterator_tIlEES8_S8_S8_S8_S8_S8_S8_S8_EEEEPS9_S9_NSD_9__find_if7functorIS9_EEEE10hipError_tPvRmT1_T2_T3_mT4_P12ihipStream_tbEUlT_E1_NS1_11comp_targetILNS1_3genE10ELNS1_11target_archE1200ELNS1_3gpuE4ELNS1_3repE0EEENS1_30default_config_static_selectorELNS0_4arch9wavefront6targetE0EEEvS14_.kd
    .uniform_work_group_size: 1
    .uses_dynamic_stack: false
    .vgpr_count:     0
    .vgpr_spill_count: 0
    .wavefront_size: 32
    .workgroup_processor_mode: 1
  - .args:
      - .offset:         0
        .size:           88
        .value_kind:     by_value
    .group_segment_fixed_size: 0
    .kernarg_segment_align: 8
    .kernarg_segment_size: 88
    .language:       OpenCL C
    .language_version:
      - 2
      - 0
    .max_flat_workgroup_size: 256
    .name:           _ZN7rocprim17ROCPRIM_400000_NS6detail17trampoline_kernelINS0_14default_configENS1_22reduce_config_selectorIN6thrust23THRUST_200600_302600_NS5tupleIblNS6_9null_typeES8_S8_S8_S8_S8_S8_S8_EEEEZNS1_11reduce_implILb1ES3_NS6_12zip_iteratorINS7_INS6_11hip_rocprim26transform_input_iterator_tIbNSD_35transform_pair_of_input_iterators_tIbNS6_6detail15normal_iteratorINS6_10device_ptrIKfEEEESL_NS6_8equal_toIfEEEENSG_9not_fun_tINSD_8identityEEEEENSD_19counting_iterator_tIlEES8_S8_S8_S8_S8_S8_S8_S8_EEEEPS9_S9_NSD_9__find_if7functorIS9_EEEE10hipError_tPvRmT1_T2_T3_mT4_P12ihipStream_tbEUlT_E1_NS1_11comp_targetILNS1_3genE9ELNS1_11target_archE1100ELNS1_3gpuE3ELNS1_3repE0EEENS1_30default_config_static_selectorELNS0_4arch9wavefront6targetE0EEEvS14_
    .private_segment_fixed_size: 0
    .sgpr_count:     0
    .sgpr_spill_count: 0
    .symbol:         _ZN7rocprim17ROCPRIM_400000_NS6detail17trampoline_kernelINS0_14default_configENS1_22reduce_config_selectorIN6thrust23THRUST_200600_302600_NS5tupleIblNS6_9null_typeES8_S8_S8_S8_S8_S8_S8_EEEEZNS1_11reduce_implILb1ES3_NS6_12zip_iteratorINS7_INS6_11hip_rocprim26transform_input_iterator_tIbNSD_35transform_pair_of_input_iterators_tIbNS6_6detail15normal_iteratorINS6_10device_ptrIKfEEEESL_NS6_8equal_toIfEEEENSG_9not_fun_tINSD_8identityEEEEENSD_19counting_iterator_tIlEES8_S8_S8_S8_S8_S8_S8_S8_EEEEPS9_S9_NSD_9__find_if7functorIS9_EEEE10hipError_tPvRmT1_T2_T3_mT4_P12ihipStream_tbEUlT_E1_NS1_11comp_targetILNS1_3genE9ELNS1_11target_archE1100ELNS1_3gpuE3ELNS1_3repE0EEENS1_30default_config_static_selectorELNS0_4arch9wavefront6targetE0EEEvS14_.kd
    .uniform_work_group_size: 1
    .uses_dynamic_stack: false
    .vgpr_count:     0
    .vgpr_spill_count: 0
    .wavefront_size: 32
    .workgroup_processor_mode: 1
  - .args:
      - .offset:         0
        .size:           88
        .value_kind:     by_value
    .group_segment_fixed_size: 640
    .kernarg_segment_align: 8
    .kernarg_segment_size: 88
    .language:       OpenCL C
    .language_version:
      - 2
      - 0
    .max_flat_workgroup_size: 256
    .name:           _ZN7rocprim17ROCPRIM_400000_NS6detail17trampoline_kernelINS0_14default_configENS1_22reduce_config_selectorIN6thrust23THRUST_200600_302600_NS5tupleIblNS6_9null_typeES8_S8_S8_S8_S8_S8_S8_EEEEZNS1_11reduce_implILb1ES3_NS6_12zip_iteratorINS7_INS6_11hip_rocprim26transform_input_iterator_tIbNSD_35transform_pair_of_input_iterators_tIbNS6_6detail15normal_iteratorINS6_10device_ptrIKfEEEESL_NS6_8equal_toIfEEEENSG_9not_fun_tINSD_8identityEEEEENSD_19counting_iterator_tIlEES8_S8_S8_S8_S8_S8_S8_S8_EEEEPS9_S9_NSD_9__find_if7functorIS9_EEEE10hipError_tPvRmT1_T2_T3_mT4_P12ihipStream_tbEUlT_E1_NS1_11comp_targetILNS1_3genE8ELNS1_11target_archE1030ELNS1_3gpuE2ELNS1_3repE0EEENS1_30default_config_static_selectorELNS0_4arch9wavefront6targetE0EEEvS14_
    .private_segment_fixed_size: 0
    .sgpr_count:     34
    .sgpr_spill_count: 0
    .symbol:         _ZN7rocprim17ROCPRIM_400000_NS6detail17trampoline_kernelINS0_14default_configENS1_22reduce_config_selectorIN6thrust23THRUST_200600_302600_NS5tupleIblNS6_9null_typeES8_S8_S8_S8_S8_S8_S8_EEEEZNS1_11reduce_implILb1ES3_NS6_12zip_iteratorINS7_INS6_11hip_rocprim26transform_input_iterator_tIbNSD_35transform_pair_of_input_iterators_tIbNS6_6detail15normal_iteratorINS6_10device_ptrIKfEEEESL_NS6_8equal_toIfEEEENSG_9not_fun_tINSD_8identityEEEEENSD_19counting_iterator_tIlEES8_S8_S8_S8_S8_S8_S8_S8_EEEEPS9_S9_NSD_9__find_if7functorIS9_EEEE10hipError_tPvRmT1_T2_T3_mT4_P12ihipStream_tbEUlT_E1_NS1_11comp_targetILNS1_3genE8ELNS1_11target_archE1030ELNS1_3gpuE2ELNS1_3repE0EEENS1_30default_config_static_selectorELNS0_4arch9wavefront6targetE0EEEvS14_.kd
    .uniform_work_group_size: 1
    .uses_dynamic_stack: false
    .vgpr_count:     27
    .vgpr_spill_count: 0
    .wavefront_size: 32
    .workgroup_processor_mode: 1
  - .args:
      - .offset:         0
        .size:           16
        .value_kind:     by_value
      - .offset:         16
        .size:           8
        .value_kind:     by_value
      - .offset:         24
        .size:           8
        .value_kind:     by_value
    .group_segment_fixed_size: 0
    .kernarg_segment_align: 8
    .kernarg_segment_size: 32
    .language:       OpenCL C
    .language_version:
      - 2
      - 0
    .max_flat_workgroup_size: 256
    .name:           _ZN6thrust23THRUST_200600_302600_NS11hip_rocprim14__parallel_for6kernelILj256ENS1_20__uninitialized_fill7functorINS0_10device_ptrIyEEyEEmLj1EEEvT0_T1_SA_
    .private_segment_fixed_size: 0
    .sgpr_count:     18
    .sgpr_spill_count: 0
    .symbol:         _ZN6thrust23THRUST_200600_302600_NS11hip_rocprim14__parallel_for6kernelILj256ENS1_20__uninitialized_fill7functorINS0_10device_ptrIyEEyEEmLj1EEEvT0_T1_SA_.kd
    .uniform_work_group_size: 1
    .uses_dynamic_stack: false
    .vgpr_count:     5
    .vgpr_spill_count: 0
    .wavefront_size: 32
    .workgroup_processor_mode: 1
  - .args:
      - .offset:         0
        .size:           64
        .value_kind:     by_value
    .group_segment_fixed_size: 0
    .kernarg_segment_align: 8
    .kernarg_segment_size: 64
    .language:       OpenCL C
    .language_version:
      - 2
      - 0
    .max_flat_workgroup_size: 512
    .name:           _ZN7rocprim17ROCPRIM_400000_NS6detail17trampoline_kernelINS0_14default_configENS1_21merge_config_selectorINS0_5tupleIJyyEEENS0_10empty_typeEEEZNS1_10merge_implIS3_NS0_12zip_iteratorINS5_IJN6thrust23THRUST_200600_302600_NS6detail15normal_iteratorINSC_10device_ptrIKyEEEESI_EEEEESK_NSA_INS5_IJNSE_INSF_IyEEEESM_EEEEEPS7_SP_SP_NSC_11hip_rocprim7__merge17predicate_wrapperIyyNSC_4lessIyEEEEEE10hipError_tPvRmT0_T1_T2_T3_T4_T5_mmT6_P12ihipStream_tbEUlT_E_NS1_11comp_targetILNS1_3genE0ELNS1_11target_archE4294967295ELNS1_3gpuE0ELNS1_3repE0EEENS1_30default_config_static_selectorELNS0_4arch9wavefront6targetE0EEEvS10_
    .private_segment_fixed_size: 0
    .sgpr_count:     0
    .sgpr_spill_count: 0
    .symbol:         _ZN7rocprim17ROCPRIM_400000_NS6detail17trampoline_kernelINS0_14default_configENS1_21merge_config_selectorINS0_5tupleIJyyEEENS0_10empty_typeEEEZNS1_10merge_implIS3_NS0_12zip_iteratorINS5_IJN6thrust23THRUST_200600_302600_NS6detail15normal_iteratorINSC_10device_ptrIKyEEEESI_EEEEESK_NSA_INS5_IJNSE_INSF_IyEEEESM_EEEEEPS7_SP_SP_NSC_11hip_rocprim7__merge17predicate_wrapperIyyNSC_4lessIyEEEEEE10hipError_tPvRmT0_T1_T2_T3_T4_T5_mmT6_P12ihipStream_tbEUlT_E_NS1_11comp_targetILNS1_3genE0ELNS1_11target_archE4294967295ELNS1_3gpuE0ELNS1_3repE0EEENS1_30default_config_static_selectorELNS0_4arch9wavefront6targetE0EEEvS10_.kd
    .uniform_work_group_size: 1
    .uses_dynamic_stack: false
    .vgpr_count:     0
    .vgpr_spill_count: 0
    .wavefront_size: 32
    .workgroup_processor_mode: 1
  - .args:
      - .offset:         0
        .size:           64
        .value_kind:     by_value
    .group_segment_fixed_size: 0
    .kernarg_segment_align: 8
    .kernarg_segment_size: 64
    .language:       OpenCL C
    .language_version:
      - 2
      - 0
    .max_flat_workgroup_size: 256
    .name:           _ZN7rocprim17ROCPRIM_400000_NS6detail17trampoline_kernelINS0_14default_configENS1_21merge_config_selectorINS0_5tupleIJyyEEENS0_10empty_typeEEEZNS1_10merge_implIS3_NS0_12zip_iteratorINS5_IJN6thrust23THRUST_200600_302600_NS6detail15normal_iteratorINSC_10device_ptrIKyEEEESI_EEEEESK_NSA_INS5_IJNSE_INSF_IyEEEESM_EEEEEPS7_SP_SP_NSC_11hip_rocprim7__merge17predicate_wrapperIyyNSC_4lessIyEEEEEE10hipError_tPvRmT0_T1_T2_T3_T4_T5_mmT6_P12ihipStream_tbEUlT_E_NS1_11comp_targetILNS1_3genE5ELNS1_11target_archE942ELNS1_3gpuE9ELNS1_3repE0EEENS1_30default_config_static_selectorELNS0_4arch9wavefront6targetE0EEEvS10_
    .private_segment_fixed_size: 0
    .sgpr_count:     0
    .sgpr_spill_count: 0
    .symbol:         _ZN7rocprim17ROCPRIM_400000_NS6detail17trampoline_kernelINS0_14default_configENS1_21merge_config_selectorINS0_5tupleIJyyEEENS0_10empty_typeEEEZNS1_10merge_implIS3_NS0_12zip_iteratorINS5_IJN6thrust23THRUST_200600_302600_NS6detail15normal_iteratorINSC_10device_ptrIKyEEEESI_EEEEESK_NSA_INS5_IJNSE_INSF_IyEEEESM_EEEEEPS7_SP_SP_NSC_11hip_rocprim7__merge17predicate_wrapperIyyNSC_4lessIyEEEEEE10hipError_tPvRmT0_T1_T2_T3_T4_T5_mmT6_P12ihipStream_tbEUlT_E_NS1_11comp_targetILNS1_3genE5ELNS1_11target_archE942ELNS1_3gpuE9ELNS1_3repE0EEENS1_30default_config_static_selectorELNS0_4arch9wavefront6targetE0EEEvS10_.kd
    .uniform_work_group_size: 1
    .uses_dynamic_stack: false
    .vgpr_count:     0
    .vgpr_spill_count: 0
    .wavefront_size: 32
    .workgroup_processor_mode: 1
  - .args:
      - .offset:         0
        .size:           64
        .value_kind:     by_value
    .group_segment_fixed_size: 0
    .kernarg_segment_align: 8
    .kernarg_segment_size: 64
    .language:       OpenCL C
    .language_version:
      - 2
      - 0
    .max_flat_workgroup_size: 512
    .name:           _ZN7rocprim17ROCPRIM_400000_NS6detail17trampoline_kernelINS0_14default_configENS1_21merge_config_selectorINS0_5tupleIJyyEEENS0_10empty_typeEEEZNS1_10merge_implIS3_NS0_12zip_iteratorINS5_IJN6thrust23THRUST_200600_302600_NS6detail15normal_iteratorINSC_10device_ptrIKyEEEESI_EEEEESK_NSA_INS5_IJNSE_INSF_IyEEEESM_EEEEEPS7_SP_SP_NSC_11hip_rocprim7__merge17predicate_wrapperIyyNSC_4lessIyEEEEEE10hipError_tPvRmT0_T1_T2_T3_T4_T5_mmT6_P12ihipStream_tbEUlT_E_NS1_11comp_targetILNS1_3genE4ELNS1_11target_archE910ELNS1_3gpuE8ELNS1_3repE0EEENS1_30default_config_static_selectorELNS0_4arch9wavefront6targetE0EEEvS10_
    .private_segment_fixed_size: 0
    .sgpr_count:     0
    .sgpr_spill_count: 0
    .symbol:         _ZN7rocprim17ROCPRIM_400000_NS6detail17trampoline_kernelINS0_14default_configENS1_21merge_config_selectorINS0_5tupleIJyyEEENS0_10empty_typeEEEZNS1_10merge_implIS3_NS0_12zip_iteratorINS5_IJN6thrust23THRUST_200600_302600_NS6detail15normal_iteratorINSC_10device_ptrIKyEEEESI_EEEEESK_NSA_INS5_IJNSE_INSF_IyEEEESM_EEEEEPS7_SP_SP_NSC_11hip_rocprim7__merge17predicate_wrapperIyyNSC_4lessIyEEEEEE10hipError_tPvRmT0_T1_T2_T3_T4_T5_mmT6_P12ihipStream_tbEUlT_E_NS1_11comp_targetILNS1_3genE4ELNS1_11target_archE910ELNS1_3gpuE8ELNS1_3repE0EEENS1_30default_config_static_selectorELNS0_4arch9wavefront6targetE0EEEvS10_.kd
    .uniform_work_group_size: 1
    .uses_dynamic_stack: false
    .vgpr_count:     0
    .vgpr_spill_count: 0
    .wavefront_size: 32
    .workgroup_processor_mode: 1
  - .args:
      - .offset:         0
        .size:           64
        .value_kind:     by_value
    .group_segment_fixed_size: 0
    .kernarg_segment_align: 8
    .kernarg_segment_size: 64
    .language:       OpenCL C
    .language_version:
      - 2
      - 0
    .max_flat_workgroup_size: 512
    .name:           _ZN7rocprim17ROCPRIM_400000_NS6detail17trampoline_kernelINS0_14default_configENS1_21merge_config_selectorINS0_5tupleIJyyEEENS0_10empty_typeEEEZNS1_10merge_implIS3_NS0_12zip_iteratorINS5_IJN6thrust23THRUST_200600_302600_NS6detail15normal_iteratorINSC_10device_ptrIKyEEEESI_EEEEESK_NSA_INS5_IJNSE_INSF_IyEEEESM_EEEEEPS7_SP_SP_NSC_11hip_rocprim7__merge17predicate_wrapperIyyNSC_4lessIyEEEEEE10hipError_tPvRmT0_T1_T2_T3_T4_T5_mmT6_P12ihipStream_tbEUlT_E_NS1_11comp_targetILNS1_3genE3ELNS1_11target_archE908ELNS1_3gpuE7ELNS1_3repE0EEENS1_30default_config_static_selectorELNS0_4arch9wavefront6targetE0EEEvS10_
    .private_segment_fixed_size: 0
    .sgpr_count:     0
    .sgpr_spill_count: 0
    .symbol:         _ZN7rocprim17ROCPRIM_400000_NS6detail17trampoline_kernelINS0_14default_configENS1_21merge_config_selectorINS0_5tupleIJyyEEENS0_10empty_typeEEEZNS1_10merge_implIS3_NS0_12zip_iteratorINS5_IJN6thrust23THRUST_200600_302600_NS6detail15normal_iteratorINSC_10device_ptrIKyEEEESI_EEEEESK_NSA_INS5_IJNSE_INSF_IyEEEESM_EEEEEPS7_SP_SP_NSC_11hip_rocprim7__merge17predicate_wrapperIyyNSC_4lessIyEEEEEE10hipError_tPvRmT0_T1_T2_T3_T4_T5_mmT6_P12ihipStream_tbEUlT_E_NS1_11comp_targetILNS1_3genE3ELNS1_11target_archE908ELNS1_3gpuE7ELNS1_3repE0EEENS1_30default_config_static_selectorELNS0_4arch9wavefront6targetE0EEEvS10_.kd
    .uniform_work_group_size: 1
    .uses_dynamic_stack: false
    .vgpr_count:     0
    .vgpr_spill_count: 0
    .wavefront_size: 32
    .workgroup_processor_mode: 1
  - .args:
      - .offset:         0
        .size:           64
        .value_kind:     by_value
    .group_segment_fixed_size: 0
    .kernarg_segment_align: 8
    .kernarg_segment_size: 64
    .language:       OpenCL C
    .language_version:
      - 2
      - 0
    .max_flat_workgroup_size: 512
    .name:           _ZN7rocprim17ROCPRIM_400000_NS6detail17trampoline_kernelINS0_14default_configENS1_21merge_config_selectorINS0_5tupleIJyyEEENS0_10empty_typeEEEZNS1_10merge_implIS3_NS0_12zip_iteratorINS5_IJN6thrust23THRUST_200600_302600_NS6detail15normal_iteratorINSC_10device_ptrIKyEEEESI_EEEEESK_NSA_INS5_IJNSE_INSF_IyEEEESM_EEEEEPS7_SP_SP_NSC_11hip_rocprim7__merge17predicate_wrapperIyyNSC_4lessIyEEEEEE10hipError_tPvRmT0_T1_T2_T3_T4_T5_mmT6_P12ihipStream_tbEUlT_E_NS1_11comp_targetILNS1_3genE2ELNS1_11target_archE906ELNS1_3gpuE6ELNS1_3repE0EEENS1_30default_config_static_selectorELNS0_4arch9wavefront6targetE0EEEvS10_
    .private_segment_fixed_size: 0
    .sgpr_count:     0
    .sgpr_spill_count: 0
    .symbol:         _ZN7rocprim17ROCPRIM_400000_NS6detail17trampoline_kernelINS0_14default_configENS1_21merge_config_selectorINS0_5tupleIJyyEEENS0_10empty_typeEEEZNS1_10merge_implIS3_NS0_12zip_iteratorINS5_IJN6thrust23THRUST_200600_302600_NS6detail15normal_iteratorINSC_10device_ptrIKyEEEESI_EEEEESK_NSA_INS5_IJNSE_INSF_IyEEEESM_EEEEEPS7_SP_SP_NSC_11hip_rocprim7__merge17predicate_wrapperIyyNSC_4lessIyEEEEEE10hipError_tPvRmT0_T1_T2_T3_T4_T5_mmT6_P12ihipStream_tbEUlT_E_NS1_11comp_targetILNS1_3genE2ELNS1_11target_archE906ELNS1_3gpuE6ELNS1_3repE0EEENS1_30default_config_static_selectorELNS0_4arch9wavefront6targetE0EEEvS10_.kd
    .uniform_work_group_size: 1
    .uses_dynamic_stack: false
    .vgpr_count:     0
    .vgpr_spill_count: 0
    .wavefront_size: 32
    .workgroup_processor_mode: 1
  - .args:
      - .offset:         0
        .size:           64
        .value_kind:     by_value
    .group_segment_fixed_size: 0
    .kernarg_segment_align: 8
    .kernarg_segment_size: 64
    .language:       OpenCL C
    .language_version:
      - 2
      - 0
    .max_flat_workgroup_size: 512
    .name:           _ZN7rocprim17ROCPRIM_400000_NS6detail17trampoline_kernelINS0_14default_configENS1_21merge_config_selectorINS0_5tupleIJyyEEENS0_10empty_typeEEEZNS1_10merge_implIS3_NS0_12zip_iteratorINS5_IJN6thrust23THRUST_200600_302600_NS6detail15normal_iteratorINSC_10device_ptrIKyEEEESI_EEEEESK_NSA_INS5_IJNSE_INSF_IyEEEESM_EEEEEPS7_SP_SP_NSC_11hip_rocprim7__merge17predicate_wrapperIyyNSC_4lessIyEEEEEE10hipError_tPvRmT0_T1_T2_T3_T4_T5_mmT6_P12ihipStream_tbEUlT_E_NS1_11comp_targetILNS1_3genE10ELNS1_11target_archE1201ELNS1_3gpuE5ELNS1_3repE0EEENS1_30default_config_static_selectorELNS0_4arch9wavefront6targetE0EEEvS10_
    .private_segment_fixed_size: 0
    .sgpr_count:     0
    .sgpr_spill_count: 0
    .symbol:         _ZN7rocprim17ROCPRIM_400000_NS6detail17trampoline_kernelINS0_14default_configENS1_21merge_config_selectorINS0_5tupleIJyyEEENS0_10empty_typeEEEZNS1_10merge_implIS3_NS0_12zip_iteratorINS5_IJN6thrust23THRUST_200600_302600_NS6detail15normal_iteratorINSC_10device_ptrIKyEEEESI_EEEEESK_NSA_INS5_IJNSE_INSF_IyEEEESM_EEEEEPS7_SP_SP_NSC_11hip_rocprim7__merge17predicate_wrapperIyyNSC_4lessIyEEEEEE10hipError_tPvRmT0_T1_T2_T3_T4_T5_mmT6_P12ihipStream_tbEUlT_E_NS1_11comp_targetILNS1_3genE10ELNS1_11target_archE1201ELNS1_3gpuE5ELNS1_3repE0EEENS1_30default_config_static_selectorELNS0_4arch9wavefront6targetE0EEEvS10_.kd
    .uniform_work_group_size: 1
    .uses_dynamic_stack: false
    .vgpr_count:     0
    .vgpr_spill_count: 0
    .wavefront_size: 32
    .workgroup_processor_mode: 1
  - .args:
      - .offset:         0
        .size:           64
        .value_kind:     by_value
    .group_segment_fixed_size: 0
    .kernarg_segment_align: 8
    .kernarg_segment_size: 64
    .language:       OpenCL C
    .language_version:
      - 2
      - 0
    .max_flat_workgroup_size: 256
    .name:           _ZN7rocprim17ROCPRIM_400000_NS6detail17trampoline_kernelINS0_14default_configENS1_21merge_config_selectorINS0_5tupleIJyyEEENS0_10empty_typeEEEZNS1_10merge_implIS3_NS0_12zip_iteratorINS5_IJN6thrust23THRUST_200600_302600_NS6detail15normal_iteratorINSC_10device_ptrIKyEEEESI_EEEEESK_NSA_INS5_IJNSE_INSF_IyEEEESM_EEEEEPS7_SP_SP_NSC_11hip_rocprim7__merge17predicate_wrapperIyyNSC_4lessIyEEEEEE10hipError_tPvRmT0_T1_T2_T3_T4_T5_mmT6_P12ihipStream_tbEUlT_E_NS1_11comp_targetILNS1_3genE10ELNS1_11target_archE1200ELNS1_3gpuE4ELNS1_3repE0EEENS1_30default_config_static_selectorELNS0_4arch9wavefront6targetE0EEEvS10_
    .private_segment_fixed_size: 0
    .sgpr_count:     0
    .sgpr_spill_count: 0
    .symbol:         _ZN7rocprim17ROCPRIM_400000_NS6detail17trampoline_kernelINS0_14default_configENS1_21merge_config_selectorINS0_5tupleIJyyEEENS0_10empty_typeEEEZNS1_10merge_implIS3_NS0_12zip_iteratorINS5_IJN6thrust23THRUST_200600_302600_NS6detail15normal_iteratorINSC_10device_ptrIKyEEEESI_EEEEESK_NSA_INS5_IJNSE_INSF_IyEEEESM_EEEEEPS7_SP_SP_NSC_11hip_rocprim7__merge17predicate_wrapperIyyNSC_4lessIyEEEEEE10hipError_tPvRmT0_T1_T2_T3_T4_T5_mmT6_P12ihipStream_tbEUlT_E_NS1_11comp_targetILNS1_3genE10ELNS1_11target_archE1200ELNS1_3gpuE4ELNS1_3repE0EEENS1_30default_config_static_selectorELNS0_4arch9wavefront6targetE0EEEvS10_.kd
    .uniform_work_group_size: 1
    .uses_dynamic_stack: false
    .vgpr_count:     0
    .vgpr_spill_count: 0
    .wavefront_size: 32
    .workgroup_processor_mode: 1
  - .args:
      - .offset:         0
        .size:           64
        .value_kind:     by_value
    .group_segment_fixed_size: 0
    .kernarg_segment_align: 8
    .kernarg_segment_size: 64
    .language:       OpenCL C
    .language_version:
      - 2
      - 0
    .max_flat_workgroup_size: 1024
    .name:           _ZN7rocprim17ROCPRIM_400000_NS6detail17trampoline_kernelINS0_14default_configENS1_21merge_config_selectorINS0_5tupleIJyyEEENS0_10empty_typeEEEZNS1_10merge_implIS3_NS0_12zip_iteratorINS5_IJN6thrust23THRUST_200600_302600_NS6detail15normal_iteratorINSC_10device_ptrIKyEEEESI_EEEEESK_NSA_INS5_IJNSE_INSF_IyEEEESM_EEEEEPS7_SP_SP_NSC_11hip_rocprim7__merge17predicate_wrapperIyyNSC_4lessIyEEEEEE10hipError_tPvRmT0_T1_T2_T3_T4_T5_mmT6_P12ihipStream_tbEUlT_E_NS1_11comp_targetILNS1_3genE9ELNS1_11target_archE1100ELNS1_3gpuE3ELNS1_3repE0EEENS1_30default_config_static_selectorELNS0_4arch9wavefront6targetE0EEEvS10_
    .private_segment_fixed_size: 0
    .sgpr_count:     0
    .sgpr_spill_count: 0
    .symbol:         _ZN7rocprim17ROCPRIM_400000_NS6detail17trampoline_kernelINS0_14default_configENS1_21merge_config_selectorINS0_5tupleIJyyEEENS0_10empty_typeEEEZNS1_10merge_implIS3_NS0_12zip_iteratorINS5_IJN6thrust23THRUST_200600_302600_NS6detail15normal_iteratorINSC_10device_ptrIKyEEEESI_EEEEESK_NSA_INS5_IJNSE_INSF_IyEEEESM_EEEEEPS7_SP_SP_NSC_11hip_rocprim7__merge17predicate_wrapperIyyNSC_4lessIyEEEEEE10hipError_tPvRmT0_T1_T2_T3_T4_T5_mmT6_P12ihipStream_tbEUlT_E_NS1_11comp_targetILNS1_3genE9ELNS1_11target_archE1100ELNS1_3gpuE3ELNS1_3repE0EEENS1_30default_config_static_selectorELNS0_4arch9wavefront6targetE0EEEvS10_.kd
    .uniform_work_group_size: 1
    .uses_dynamic_stack: false
    .vgpr_count:     0
    .vgpr_spill_count: 0
    .wavefront_size: 32
    .workgroup_processor_mode: 1
  - .args:
      - .offset:         0
        .size:           64
        .value_kind:     by_value
      - .offset:         64
        .size:           4
        .value_kind:     hidden_block_count_x
      - .offset:         68
        .size:           4
        .value_kind:     hidden_block_count_y
      - .offset:         72
        .size:           4
        .value_kind:     hidden_block_count_z
      - .offset:         76
        .size:           2
        .value_kind:     hidden_group_size_x
      - .offset:         78
        .size:           2
        .value_kind:     hidden_group_size_y
      - .offset:         80
        .size:           2
        .value_kind:     hidden_group_size_z
      - .offset:         82
        .size:           2
        .value_kind:     hidden_remainder_x
      - .offset:         84
        .size:           2
        .value_kind:     hidden_remainder_y
      - .offset:         86
        .size:           2
        .value_kind:     hidden_remainder_z
      - .offset:         104
        .size:           8
        .value_kind:     hidden_global_offset_x
      - .offset:         112
        .size:           8
        .value_kind:     hidden_global_offset_y
      - .offset:         120
        .size:           8
        .value_kind:     hidden_global_offset_z
      - .offset:         128
        .size:           2
        .value_kind:     hidden_grid_dims
    .group_segment_fixed_size: 0
    .kernarg_segment_align: 8
    .kernarg_segment_size: 320
    .language:       OpenCL C
    .language_version:
      - 2
      - 0
    .max_flat_workgroup_size: 256
    .name:           _ZN7rocprim17ROCPRIM_400000_NS6detail17trampoline_kernelINS0_14default_configENS1_21merge_config_selectorINS0_5tupleIJyyEEENS0_10empty_typeEEEZNS1_10merge_implIS3_NS0_12zip_iteratorINS5_IJN6thrust23THRUST_200600_302600_NS6detail15normal_iteratorINSC_10device_ptrIKyEEEESI_EEEEESK_NSA_INS5_IJNSE_INSF_IyEEEESM_EEEEEPS7_SP_SP_NSC_11hip_rocprim7__merge17predicate_wrapperIyyNSC_4lessIyEEEEEE10hipError_tPvRmT0_T1_T2_T3_T4_T5_mmT6_P12ihipStream_tbEUlT_E_NS1_11comp_targetILNS1_3genE8ELNS1_11target_archE1030ELNS1_3gpuE2ELNS1_3repE0EEENS1_30default_config_static_selectorELNS0_4arch9wavefront6targetE0EEEvS10_
    .private_segment_fixed_size: 0
    .sgpr_count:     18
    .sgpr_spill_count: 0
    .symbol:         _ZN7rocprim17ROCPRIM_400000_NS6detail17trampoline_kernelINS0_14default_configENS1_21merge_config_selectorINS0_5tupleIJyyEEENS0_10empty_typeEEEZNS1_10merge_implIS3_NS0_12zip_iteratorINS5_IJN6thrust23THRUST_200600_302600_NS6detail15normal_iteratorINSC_10device_ptrIKyEEEESI_EEEEESK_NSA_INS5_IJNSE_INSF_IyEEEESM_EEEEEPS7_SP_SP_NSC_11hip_rocprim7__merge17predicate_wrapperIyyNSC_4lessIyEEEEEE10hipError_tPvRmT0_T1_T2_T3_T4_T5_mmT6_P12ihipStream_tbEUlT_E_NS1_11comp_targetILNS1_3genE8ELNS1_11target_archE1030ELNS1_3gpuE2ELNS1_3repE0EEENS1_30default_config_static_selectorELNS0_4arch9wavefront6targetE0EEEvS10_.kd
    .uniform_work_group_size: 1
    .uses_dynamic_stack: false
    .vgpr_count:     14
    .vgpr_spill_count: 0
    .wavefront_size: 32
    .workgroup_processor_mode: 1
  - .args:
      - .offset:         0
        .size:           112
        .value_kind:     by_value
    .group_segment_fixed_size: 0
    .kernarg_segment_align: 8
    .kernarg_segment_size: 112
    .language:       OpenCL C
    .language_version:
      - 2
      - 0
    .max_flat_workgroup_size: 512
    .name:           _ZN7rocprim17ROCPRIM_400000_NS6detail17trampoline_kernelINS0_14default_configENS1_21merge_config_selectorINS0_5tupleIJyyEEENS0_10empty_typeEEEZNS1_10merge_implIS3_NS0_12zip_iteratorINS5_IJN6thrust23THRUST_200600_302600_NS6detail15normal_iteratorINSC_10device_ptrIKyEEEESI_EEEEESK_NSA_INS5_IJNSE_INSF_IyEEEESM_EEEEEPS7_SP_SP_NSC_11hip_rocprim7__merge17predicate_wrapperIyyNSC_4lessIyEEEEEE10hipError_tPvRmT0_T1_T2_T3_T4_T5_mmT6_P12ihipStream_tbEUlT_E0_NS1_11comp_targetILNS1_3genE0ELNS1_11target_archE4294967295ELNS1_3gpuE0ELNS1_3repE0EEENS1_30default_config_static_selectorELNS0_4arch9wavefront6targetE0EEEvS10_
    .private_segment_fixed_size: 0
    .sgpr_count:     0
    .sgpr_spill_count: 0
    .symbol:         _ZN7rocprim17ROCPRIM_400000_NS6detail17trampoline_kernelINS0_14default_configENS1_21merge_config_selectorINS0_5tupleIJyyEEENS0_10empty_typeEEEZNS1_10merge_implIS3_NS0_12zip_iteratorINS5_IJN6thrust23THRUST_200600_302600_NS6detail15normal_iteratorINSC_10device_ptrIKyEEEESI_EEEEESK_NSA_INS5_IJNSE_INSF_IyEEEESM_EEEEEPS7_SP_SP_NSC_11hip_rocprim7__merge17predicate_wrapperIyyNSC_4lessIyEEEEEE10hipError_tPvRmT0_T1_T2_T3_T4_T5_mmT6_P12ihipStream_tbEUlT_E0_NS1_11comp_targetILNS1_3genE0ELNS1_11target_archE4294967295ELNS1_3gpuE0ELNS1_3repE0EEENS1_30default_config_static_selectorELNS0_4arch9wavefront6targetE0EEEvS10_.kd
    .uniform_work_group_size: 1
    .uses_dynamic_stack: false
    .vgpr_count:     0
    .vgpr_spill_count: 0
    .wavefront_size: 32
    .workgroup_processor_mode: 1
  - .args:
      - .offset:         0
        .size:           112
        .value_kind:     by_value
    .group_segment_fixed_size: 0
    .kernarg_segment_align: 8
    .kernarg_segment_size: 112
    .language:       OpenCL C
    .language_version:
      - 2
      - 0
    .max_flat_workgroup_size: 256
    .name:           _ZN7rocprim17ROCPRIM_400000_NS6detail17trampoline_kernelINS0_14default_configENS1_21merge_config_selectorINS0_5tupleIJyyEEENS0_10empty_typeEEEZNS1_10merge_implIS3_NS0_12zip_iteratorINS5_IJN6thrust23THRUST_200600_302600_NS6detail15normal_iteratorINSC_10device_ptrIKyEEEESI_EEEEESK_NSA_INS5_IJNSE_INSF_IyEEEESM_EEEEEPS7_SP_SP_NSC_11hip_rocprim7__merge17predicate_wrapperIyyNSC_4lessIyEEEEEE10hipError_tPvRmT0_T1_T2_T3_T4_T5_mmT6_P12ihipStream_tbEUlT_E0_NS1_11comp_targetILNS1_3genE5ELNS1_11target_archE942ELNS1_3gpuE9ELNS1_3repE0EEENS1_30default_config_static_selectorELNS0_4arch9wavefront6targetE0EEEvS10_
    .private_segment_fixed_size: 0
    .sgpr_count:     0
    .sgpr_spill_count: 0
    .symbol:         _ZN7rocprim17ROCPRIM_400000_NS6detail17trampoline_kernelINS0_14default_configENS1_21merge_config_selectorINS0_5tupleIJyyEEENS0_10empty_typeEEEZNS1_10merge_implIS3_NS0_12zip_iteratorINS5_IJN6thrust23THRUST_200600_302600_NS6detail15normal_iteratorINSC_10device_ptrIKyEEEESI_EEEEESK_NSA_INS5_IJNSE_INSF_IyEEEESM_EEEEEPS7_SP_SP_NSC_11hip_rocprim7__merge17predicate_wrapperIyyNSC_4lessIyEEEEEE10hipError_tPvRmT0_T1_T2_T3_T4_T5_mmT6_P12ihipStream_tbEUlT_E0_NS1_11comp_targetILNS1_3genE5ELNS1_11target_archE942ELNS1_3gpuE9ELNS1_3repE0EEENS1_30default_config_static_selectorELNS0_4arch9wavefront6targetE0EEEvS10_.kd
    .uniform_work_group_size: 1
    .uses_dynamic_stack: false
    .vgpr_count:     0
    .vgpr_spill_count: 0
    .wavefront_size: 32
    .workgroup_processor_mode: 1
  - .args:
      - .offset:         0
        .size:           112
        .value_kind:     by_value
    .group_segment_fixed_size: 0
    .kernarg_segment_align: 8
    .kernarg_segment_size: 112
    .language:       OpenCL C
    .language_version:
      - 2
      - 0
    .max_flat_workgroup_size: 512
    .name:           _ZN7rocprim17ROCPRIM_400000_NS6detail17trampoline_kernelINS0_14default_configENS1_21merge_config_selectorINS0_5tupleIJyyEEENS0_10empty_typeEEEZNS1_10merge_implIS3_NS0_12zip_iteratorINS5_IJN6thrust23THRUST_200600_302600_NS6detail15normal_iteratorINSC_10device_ptrIKyEEEESI_EEEEESK_NSA_INS5_IJNSE_INSF_IyEEEESM_EEEEEPS7_SP_SP_NSC_11hip_rocprim7__merge17predicate_wrapperIyyNSC_4lessIyEEEEEE10hipError_tPvRmT0_T1_T2_T3_T4_T5_mmT6_P12ihipStream_tbEUlT_E0_NS1_11comp_targetILNS1_3genE4ELNS1_11target_archE910ELNS1_3gpuE8ELNS1_3repE0EEENS1_30default_config_static_selectorELNS0_4arch9wavefront6targetE0EEEvS10_
    .private_segment_fixed_size: 0
    .sgpr_count:     0
    .sgpr_spill_count: 0
    .symbol:         _ZN7rocprim17ROCPRIM_400000_NS6detail17trampoline_kernelINS0_14default_configENS1_21merge_config_selectorINS0_5tupleIJyyEEENS0_10empty_typeEEEZNS1_10merge_implIS3_NS0_12zip_iteratorINS5_IJN6thrust23THRUST_200600_302600_NS6detail15normal_iteratorINSC_10device_ptrIKyEEEESI_EEEEESK_NSA_INS5_IJNSE_INSF_IyEEEESM_EEEEEPS7_SP_SP_NSC_11hip_rocprim7__merge17predicate_wrapperIyyNSC_4lessIyEEEEEE10hipError_tPvRmT0_T1_T2_T3_T4_T5_mmT6_P12ihipStream_tbEUlT_E0_NS1_11comp_targetILNS1_3genE4ELNS1_11target_archE910ELNS1_3gpuE8ELNS1_3repE0EEENS1_30default_config_static_selectorELNS0_4arch9wavefront6targetE0EEEvS10_.kd
    .uniform_work_group_size: 1
    .uses_dynamic_stack: false
    .vgpr_count:     0
    .vgpr_spill_count: 0
    .wavefront_size: 32
    .workgroup_processor_mode: 1
  - .args:
      - .offset:         0
        .size:           112
        .value_kind:     by_value
    .group_segment_fixed_size: 0
    .kernarg_segment_align: 8
    .kernarg_segment_size: 112
    .language:       OpenCL C
    .language_version:
      - 2
      - 0
    .max_flat_workgroup_size: 512
    .name:           _ZN7rocprim17ROCPRIM_400000_NS6detail17trampoline_kernelINS0_14default_configENS1_21merge_config_selectorINS0_5tupleIJyyEEENS0_10empty_typeEEEZNS1_10merge_implIS3_NS0_12zip_iteratorINS5_IJN6thrust23THRUST_200600_302600_NS6detail15normal_iteratorINSC_10device_ptrIKyEEEESI_EEEEESK_NSA_INS5_IJNSE_INSF_IyEEEESM_EEEEEPS7_SP_SP_NSC_11hip_rocprim7__merge17predicate_wrapperIyyNSC_4lessIyEEEEEE10hipError_tPvRmT0_T1_T2_T3_T4_T5_mmT6_P12ihipStream_tbEUlT_E0_NS1_11comp_targetILNS1_3genE3ELNS1_11target_archE908ELNS1_3gpuE7ELNS1_3repE0EEENS1_30default_config_static_selectorELNS0_4arch9wavefront6targetE0EEEvS10_
    .private_segment_fixed_size: 0
    .sgpr_count:     0
    .sgpr_spill_count: 0
    .symbol:         _ZN7rocprim17ROCPRIM_400000_NS6detail17trampoline_kernelINS0_14default_configENS1_21merge_config_selectorINS0_5tupleIJyyEEENS0_10empty_typeEEEZNS1_10merge_implIS3_NS0_12zip_iteratorINS5_IJN6thrust23THRUST_200600_302600_NS6detail15normal_iteratorINSC_10device_ptrIKyEEEESI_EEEEESK_NSA_INS5_IJNSE_INSF_IyEEEESM_EEEEEPS7_SP_SP_NSC_11hip_rocprim7__merge17predicate_wrapperIyyNSC_4lessIyEEEEEE10hipError_tPvRmT0_T1_T2_T3_T4_T5_mmT6_P12ihipStream_tbEUlT_E0_NS1_11comp_targetILNS1_3genE3ELNS1_11target_archE908ELNS1_3gpuE7ELNS1_3repE0EEENS1_30default_config_static_selectorELNS0_4arch9wavefront6targetE0EEEvS10_.kd
    .uniform_work_group_size: 1
    .uses_dynamic_stack: false
    .vgpr_count:     0
    .vgpr_spill_count: 0
    .wavefront_size: 32
    .workgroup_processor_mode: 1
  - .args:
      - .offset:         0
        .size:           112
        .value_kind:     by_value
    .group_segment_fixed_size: 0
    .kernarg_segment_align: 8
    .kernarg_segment_size: 112
    .language:       OpenCL C
    .language_version:
      - 2
      - 0
    .max_flat_workgroup_size: 512
    .name:           _ZN7rocprim17ROCPRIM_400000_NS6detail17trampoline_kernelINS0_14default_configENS1_21merge_config_selectorINS0_5tupleIJyyEEENS0_10empty_typeEEEZNS1_10merge_implIS3_NS0_12zip_iteratorINS5_IJN6thrust23THRUST_200600_302600_NS6detail15normal_iteratorINSC_10device_ptrIKyEEEESI_EEEEESK_NSA_INS5_IJNSE_INSF_IyEEEESM_EEEEEPS7_SP_SP_NSC_11hip_rocprim7__merge17predicate_wrapperIyyNSC_4lessIyEEEEEE10hipError_tPvRmT0_T1_T2_T3_T4_T5_mmT6_P12ihipStream_tbEUlT_E0_NS1_11comp_targetILNS1_3genE2ELNS1_11target_archE906ELNS1_3gpuE6ELNS1_3repE0EEENS1_30default_config_static_selectorELNS0_4arch9wavefront6targetE0EEEvS10_
    .private_segment_fixed_size: 0
    .sgpr_count:     0
    .sgpr_spill_count: 0
    .symbol:         _ZN7rocprim17ROCPRIM_400000_NS6detail17trampoline_kernelINS0_14default_configENS1_21merge_config_selectorINS0_5tupleIJyyEEENS0_10empty_typeEEEZNS1_10merge_implIS3_NS0_12zip_iteratorINS5_IJN6thrust23THRUST_200600_302600_NS6detail15normal_iteratorINSC_10device_ptrIKyEEEESI_EEEEESK_NSA_INS5_IJNSE_INSF_IyEEEESM_EEEEEPS7_SP_SP_NSC_11hip_rocprim7__merge17predicate_wrapperIyyNSC_4lessIyEEEEEE10hipError_tPvRmT0_T1_T2_T3_T4_T5_mmT6_P12ihipStream_tbEUlT_E0_NS1_11comp_targetILNS1_3genE2ELNS1_11target_archE906ELNS1_3gpuE6ELNS1_3repE0EEENS1_30default_config_static_selectorELNS0_4arch9wavefront6targetE0EEEvS10_.kd
    .uniform_work_group_size: 1
    .uses_dynamic_stack: false
    .vgpr_count:     0
    .vgpr_spill_count: 0
    .wavefront_size: 32
    .workgroup_processor_mode: 1
  - .args:
      - .offset:         0
        .size:           112
        .value_kind:     by_value
    .group_segment_fixed_size: 0
    .kernarg_segment_align: 8
    .kernarg_segment_size: 112
    .language:       OpenCL C
    .language_version:
      - 2
      - 0
    .max_flat_workgroup_size: 512
    .name:           _ZN7rocprim17ROCPRIM_400000_NS6detail17trampoline_kernelINS0_14default_configENS1_21merge_config_selectorINS0_5tupleIJyyEEENS0_10empty_typeEEEZNS1_10merge_implIS3_NS0_12zip_iteratorINS5_IJN6thrust23THRUST_200600_302600_NS6detail15normal_iteratorINSC_10device_ptrIKyEEEESI_EEEEESK_NSA_INS5_IJNSE_INSF_IyEEEESM_EEEEEPS7_SP_SP_NSC_11hip_rocprim7__merge17predicate_wrapperIyyNSC_4lessIyEEEEEE10hipError_tPvRmT0_T1_T2_T3_T4_T5_mmT6_P12ihipStream_tbEUlT_E0_NS1_11comp_targetILNS1_3genE10ELNS1_11target_archE1201ELNS1_3gpuE5ELNS1_3repE0EEENS1_30default_config_static_selectorELNS0_4arch9wavefront6targetE0EEEvS10_
    .private_segment_fixed_size: 0
    .sgpr_count:     0
    .sgpr_spill_count: 0
    .symbol:         _ZN7rocprim17ROCPRIM_400000_NS6detail17trampoline_kernelINS0_14default_configENS1_21merge_config_selectorINS0_5tupleIJyyEEENS0_10empty_typeEEEZNS1_10merge_implIS3_NS0_12zip_iteratorINS5_IJN6thrust23THRUST_200600_302600_NS6detail15normal_iteratorINSC_10device_ptrIKyEEEESI_EEEEESK_NSA_INS5_IJNSE_INSF_IyEEEESM_EEEEEPS7_SP_SP_NSC_11hip_rocprim7__merge17predicate_wrapperIyyNSC_4lessIyEEEEEE10hipError_tPvRmT0_T1_T2_T3_T4_T5_mmT6_P12ihipStream_tbEUlT_E0_NS1_11comp_targetILNS1_3genE10ELNS1_11target_archE1201ELNS1_3gpuE5ELNS1_3repE0EEENS1_30default_config_static_selectorELNS0_4arch9wavefront6targetE0EEEvS10_.kd
    .uniform_work_group_size: 1
    .uses_dynamic_stack: false
    .vgpr_count:     0
    .vgpr_spill_count: 0
    .wavefront_size: 32
    .workgroup_processor_mode: 1
  - .args:
      - .offset:         0
        .size:           112
        .value_kind:     by_value
    .group_segment_fixed_size: 0
    .kernarg_segment_align: 8
    .kernarg_segment_size: 112
    .language:       OpenCL C
    .language_version:
      - 2
      - 0
    .max_flat_workgroup_size: 256
    .name:           _ZN7rocprim17ROCPRIM_400000_NS6detail17trampoline_kernelINS0_14default_configENS1_21merge_config_selectorINS0_5tupleIJyyEEENS0_10empty_typeEEEZNS1_10merge_implIS3_NS0_12zip_iteratorINS5_IJN6thrust23THRUST_200600_302600_NS6detail15normal_iteratorINSC_10device_ptrIKyEEEESI_EEEEESK_NSA_INS5_IJNSE_INSF_IyEEEESM_EEEEEPS7_SP_SP_NSC_11hip_rocprim7__merge17predicate_wrapperIyyNSC_4lessIyEEEEEE10hipError_tPvRmT0_T1_T2_T3_T4_T5_mmT6_P12ihipStream_tbEUlT_E0_NS1_11comp_targetILNS1_3genE10ELNS1_11target_archE1200ELNS1_3gpuE4ELNS1_3repE0EEENS1_30default_config_static_selectorELNS0_4arch9wavefront6targetE0EEEvS10_
    .private_segment_fixed_size: 0
    .sgpr_count:     0
    .sgpr_spill_count: 0
    .symbol:         _ZN7rocprim17ROCPRIM_400000_NS6detail17trampoline_kernelINS0_14default_configENS1_21merge_config_selectorINS0_5tupleIJyyEEENS0_10empty_typeEEEZNS1_10merge_implIS3_NS0_12zip_iteratorINS5_IJN6thrust23THRUST_200600_302600_NS6detail15normal_iteratorINSC_10device_ptrIKyEEEESI_EEEEESK_NSA_INS5_IJNSE_INSF_IyEEEESM_EEEEEPS7_SP_SP_NSC_11hip_rocprim7__merge17predicate_wrapperIyyNSC_4lessIyEEEEEE10hipError_tPvRmT0_T1_T2_T3_T4_T5_mmT6_P12ihipStream_tbEUlT_E0_NS1_11comp_targetILNS1_3genE10ELNS1_11target_archE1200ELNS1_3gpuE4ELNS1_3repE0EEENS1_30default_config_static_selectorELNS0_4arch9wavefront6targetE0EEEvS10_.kd
    .uniform_work_group_size: 1
    .uses_dynamic_stack: false
    .vgpr_count:     0
    .vgpr_spill_count: 0
    .wavefront_size: 32
    .workgroup_processor_mode: 1
  - .args:
      - .offset:         0
        .size:           112
        .value_kind:     by_value
    .group_segment_fixed_size: 0
    .kernarg_segment_align: 8
    .kernarg_segment_size: 112
    .language:       OpenCL C
    .language_version:
      - 2
      - 0
    .max_flat_workgroup_size: 1024
    .name:           _ZN7rocprim17ROCPRIM_400000_NS6detail17trampoline_kernelINS0_14default_configENS1_21merge_config_selectorINS0_5tupleIJyyEEENS0_10empty_typeEEEZNS1_10merge_implIS3_NS0_12zip_iteratorINS5_IJN6thrust23THRUST_200600_302600_NS6detail15normal_iteratorINSC_10device_ptrIKyEEEESI_EEEEESK_NSA_INS5_IJNSE_INSF_IyEEEESM_EEEEEPS7_SP_SP_NSC_11hip_rocprim7__merge17predicate_wrapperIyyNSC_4lessIyEEEEEE10hipError_tPvRmT0_T1_T2_T3_T4_T5_mmT6_P12ihipStream_tbEUlT_E0_NS1_11comp_targetILNS1_3genE9ELNS1_11target_archE1100ELNS1_3gpuE3ELNS1_3repE0EEENS1_30default_config_static_selectorELNS0_4arch9wavefront6targetE0EEEvS10_
    .private_segment_fixed_size: 0
    .sgpr_count:     0
    .sgpr_spill_count: 0
    .symbol:         _ZN7rocprim17ROCPRIM_400000_NS6detail17trampoline_kernelINS0_14default_configENS1_21merge_config_selectorINS0_5tupleIJyyEEENS0_10empty_typeEEEZNS1_10merge_implIS3_NS0_12zip_iteratorINS5_IJN6thrust23THRUST_200600_302600_NS6detail15normal_iteratorINSC_10device_ptrIKyEEEESI_EEEEESK_NSA_INS5_IJNSE_INSF_IyEEEESM_EEEEEPS7_SP_SP_NSC_11hip_rocprim7__merge17predicate_wrapperIyyNSC_4lessIyEEEEEE10hipError_tPvRmT0_T1_T2_T3_T4_T5_mmT6_P12ihipStream_tbEUlT_E0_NS1_11comp_targetILNS1_3genE9ELNS1_11target_archE1100ELNS1_3gpuE3ELNS1_3repE0EEENS1_30default_config_static_selectorELNS0_4arch9wavefront6targetE0EEEvS10_.kd
    .uniform_work_group_size: 1
    .uses_dynamic_stack: false
    .vgpr_count:     0
    .vgpr_spill_count: 0
    .wavefront_size: 32
    .workgroup_processor_mode: 1
  - .args:
      - .offset:         0
        .size:           112
        .value_kind:     by_value
    .group_segment_fixed_size: 33792
    .kernarg_segment_align: 8
    .kernarg_segment_size: 112
    .language:       OpenCL C
    .language_version:
      - 2
      - 0
    .max_flat_workgroup_size: 256
    .name:           _ZN7rocprim17ROCPRIM_400000_NS6detail17trampoline_kernelINS0_14default_configENS1_21merge_config_selectorINS0_5tupleIJyyEEENS0_10empty_typeEEEZNS1_10merge_implIS3_NS0_12zip_iteratorINS5_IJN6thrust23THRUST_200600_302600_NS6detail15normal_iteratorINSC_10device_ptrIKyEEEESI_EEEEESK_NSA_INS5_IJNSE_INSF_IyEEEESM_EEEEEPS7_SP_SP_NSC_11hip_rocprim7__merge17predicate_wrapperIyyNSC_4lessIyEEEEEE10hipError_tPvRmT0_T1_T2_T3_T4_T5_mmT6_P12ihipStream_tbEUlT_E0_NS1_11comp_targetILNS1_3genE8ELNS1_11target_archE1030ELNS1_3gpuE2ELNS1_3repE0EEENS1_30default_config_static_selectorELNS0_4arch9wavefront6targetE0EEEvS10_
    .private_segment_fixed_size: 0
    .sgpr_count:     28
    .sgpr_spill_count: 0
    .symbol:         _ZN7rocprim17ROCPRIM_400000_NS6detail17trampoline_kernelINS0_14default_configENS1_21merge_config_selectorINS0_5tupleIJyyEEENS0_10empty_typeEEEZNS1_10merge_implIS3_NS0_12zip_iteratorINS5_IJN6thrust23THRUST_200600_302600_NS6detail15normal_iteratorINSC_10device_ptrIKyEEEESI_EEEEESK_NSA_INS5_IJNSE_INSF_IyEEEESM_EEEEEPS7_SP_SP_NSC_11hip_rocprim7__merge17predicate_wrapperIyyNSC_4lessIyEEEEEE10hipError_tPvRmT0_T1_T2_T3_T4_T5_mmT6_P12ihipStream_tbEUlT_E0_NS1_11comp_targetILNS1_3genE8ELNS1_11target_archE1030ELNS1_3gpuE2ELNS1_3repE0EEENS1_30default_config_static_selectorELNS0_4arch9wavefront6targetE0EEEvS10_.kd
    .uniform_work_group_size: 1
    .uses_dynamic_stack: false
    .vgpr_count:     63
    .vgpr_spill_count: 0
    .wavefront_size: 32
    .workgroup_processor_mode: 1
  - .args:
      - .offset:         0
        .size:           104
        .value_kind:     by_value
    .group_segment_fixed_size: 0
    .kernarg_segment_align: 8
    .kernarg_segment_size: 104
    .language:       OpenCL C
    .language_version:
      - 2
      - 0
    .max_flat_workgroup_size: 128
    .name:           _ZN7rocprim17ROCPRIM_400000_NS6detail17trampoline_kernelINS0_14default_configENS1_22reduce_config_selectorIN6thrust23THRUST_200600_302600_NS5tupleIblNS6_9null_typeES8_S8_S8_S8_S8_S8_S8_EEEEZNS1_11reduce_implILb1ES3_NS6_12zip_iteratorINS7_INS6_11hip_rocprim26transform_input_iterator_tIbNSD_35transform_pair_of_input_iterators_tIbNS6_6detail15normal_iteratorINS6_10device_ptrIKyEEEESL_NS6_8equal_toIyEEEENSG_9not_fun_tINSD_8identityEEEEENSD_19counting_iterator_tIlEES8_S8_S8_S8_S8_S8_S8_S8_EEEEPS9_S9_NSD_9__find_if7functorIS9_EEEE10hipError_tPvRmT1_T2_T3_mT4_P12ihipStream_tbEUlT_E0_NS1_11comp_targetILNS1_3genE0ELNS1_11target_archE4294967295ELNS1_3gpuE0ELNS1_3repE0EEENS1_30default_config_static_selectorELNS0_4arch9wavefront6targetE0EEEvS14_
    .private_segment_fixed_size: 0
    .sgpr_count:     0
    .sgpr_spill_count: 0
    .symbol:         _ZN7rocprim17ROCPRIM_400000_NS6detail17trampoline_kernelINS0_14default_configENS1_22reduce_config_selectorIN6thrust23THRUST_200600_302600_NS5tupleIblNS6_9null_typeES8_S8_S8_S8_S8_S8_S8_EEEEZNS1_11reduce_implILb1ES3_NS6_12zip_iteratorINS7_INS6_11hip_rocprim26transform_input_iterator_tIbNSD_35transform_pair_of_input_iterators_tIbNS6_6detail15normal_iteratorINS6_10device_ptrIKyEEEESL_NS6_8equal_toIyEEEENSG_9not_fun_tINSD_8identityEEEEENSD_19counting_iterator_tIlEES8_S8_S8_S8_S8_S8_S8_S8_EEEEPS9_S9_NSD_9__find_if7functorIS9_EEEE10hipError_tPvRmT1_T2_T3_mT4_P12ihipStream_tbEUlT_E0_NS1_11comp_targetILNS1_3genE0ELNS1_11target_archE4294967295ELNS1_3gpuE0ELNS1_3repE0EEENS1_30default_config_static_selectorELNS0_4arch9wavefront6targetE0EEEvS14_.kd
    .uniform_work_group_size: 1
    .uses_dynamic_stack: false
    .vgpr_count:     0
    .vgpr_spill_count: 0
    .wavefront_size: 32
    .workgroup_processor_mode: 1
  - .args:
      - .offset:         0
        .size:           104
        .value_kind:     by_value
    .group_segment_fixed_size: 0
    .kernarg_segment_align: 8
    .kernarg_segment_size: 104
    .language:       OpenCL C
    .language_version:
      - 2
      - 0
    .max_flat_workgroup_size: 256
    .name:           _ZN7rocprim17ROCPRIM_400000_NS6detail17trampoline_kernelINS0_14default_configENS1_22reduce_config_selectorIN6thrust23THRUST_200600_302600_NS5tupleIblNS6_9null_typeES8_S8_S8_S8_S8_S8_S8_EEEEZNS1_11reduce_implILb1ES3_NS6_12zip_iteratorINS7_INS6_11hip_rocprim26transform_input_iterator_tIbNSD_35transform_pair_of_input_iterators_tIbNS6_6detail15normal_iteratorINS6_10device_ptrIKyEEEESL_NS6_8equal_toIyEEEENSG_9not_fun_tINSD_8identityEEEEENSD_19counting_iterator_tIlEES8_S8_S8_S8_S8_S8_S8_S8_EEEEPS9_S9_NSD_9__find_if7functorIS9_EEEE10hipError_tPvRmT1_T2_T3_mT4_P12ihipStream_tbEUlT_E0_NS1_11comp_targetILNS1_3genE5ELNS1_11target_archE942ELNS1_3gpuE9ELNS1_3repE0EEENS1_30default_config_static_selectorELNS0_4arch9wavefront6targetE0EEEvS14_
    .private_segment_fixed_size: 0
    .sgpr_count:     0
    .sgpr_spill_count: 0
    .symbol:         _ZN7rocprim17ROCPRIM_400000_NS6detail17trampoline_kernelINS0_14default_configENS1_22reduce_config_selectorIN6thrust23THRUST_200600_302600_NS5tupleIblNS6_9null_typeES8_S8_S8_S8_S8_S8_S8_EEEEZNS1_11reduce_implILb1ES3_NS6_12zip_iteratorINS7_INS6_11hip_rocprim26transform_input_iterator_tIbNSD_35transform_pair_of_input_iterators_tIbNS6_6detail15normal_iteratorINS6_10device_ptrIKyEEEESL_NS6_8equal_toIyEEEENSG_9not_fun_tINSD_8identityEEEEENSD_19counting_iterator_tIlEES8_S8_S8_S8_S8_S8_S8_S8_EEEEPS9_S9_NSD_9__find_if7functorIS9_EEEE10hipError_tPvRmT1_T2_T3_mT4_P12ihipStream_tbEUlT_E0_NS1_11comp_targetILNS1_3genE5ELNS1_11target_archE942ELNS1_3gpuE9ELNS1_3repE0EEENS1_30default_config_static_selectorELNS0_4arch9wavefront6targetE0EEEvS14_.kd
    .uniform_work_group_size: 1
    .uses_dynamic_stack: false
    .vgpr_count:     0
    .vgpr_spill_count: 0
    .wavefront_size: 32
    .workgroup_processor_mode: 1
  - .args:
      - .offset:         0
        .size:           104
        .value_kind:     by_value
    .group_segment_fixed_size: 0
    .kernarg_segment_align: 8
    .kernarg_segment_size: 104
    .language:       OpenCL C
    .language_version:
      - 2
      - 0
    .max_flat_workgroup_size: 256
    .name:           _ZN7rocprim17ROCPRIM_400000_NS6detail17trampoline_kernelINS0_14default_configENS1_22reduce_config_selectorIN6thrust23THRUST_200600_302600_NS5tupleIblNS6_9null_typeES8_S8_S8_S8_S8_S8_S8_EEEEZNS1_11reduce_implILb1ES3_NS6_12zip_iteratorINS7_INS6_11hip_rocprim26transform_input_iterator_tIbNSD_35transform_pair_of_input_iterators_tIbNS6_6detail15normal_iteratorINS6_10device_ptrIKyEEEESL_NS6_8equal_toIyEEEENSG_9not_fun_tINSD_8identityEEEEENSD_19counting_iterator_tIlEES8_S8_S8_S8_S8_S8_S8_S8_EEEEPS9_S9_NSD_9__find_if7functorIS9_EEEE10hipError_tPvRmT1_T2_T3_mT4_P12ihipStream_tbEUlT_E0_NS1_11comp_targetILNS1_3genE4ELNS1_11target_archE910ELNS1_3gpuE8ELNS1_3repE0EEENS1_30default_config_static_selectorELNS0_4arch9wavefront6targetE0EEEvS14_
    .private_segment_fixed_size: 0
    .sgpr_count:     0
    .sgpr_spill_count: 0
    .symbol:         _ZN7rocprim17ROCPRIM_400000_NS6detail17trampoline_kernelINS0_14default_configENS1_22reduce_config_selectorIN6thrust23THRUST_200600_302600_NS5tupleIblNS6_9null_typeES8_S8_S8_S8_S8_S8_S8_EEEEZNS1_11reduce_implILb1ES3_NS6_12zip_iteratorINS7_INS6_11hip_rocprim26transform_input_iterator_tIbNSD_35transform_pair_of_input_iterators_tIbNS6_6detail15normal_iteratorINS6_10device_ptrIKyEEEESL_NS6_8equal_toIyEEEENSG_9not_fun_tINSD_8identityEEEEENSD_19counting_iterator_tIlEES8_S8_S8_S8_S8_S8_S8_S8_EEEEPS9_S9_NSD_9__find_if7functorIS9_EEEE10hipError_tPvRmT1_T2_T3_mT4_P12ihipStream_tbEUlT_E0_NS1_11comp_targetILNS1_3genE4ELNS1_11target_archE910ELNS1_3gpuE8ELNS1_3repE0EEENS1_30default_config_static_selectorELNS0_4arch9wavefront6targetE0EEEvS14_.kd
    .uniform_work_group_size: 1
    .uses_dynamic_stack: false
    .vgpr_count:     0
    .vgpr_spill_count: 0
    .wavefront_size: 32
    .workgroup_processor_mode: 1
  - .args:
      - .offset:         0
        .size:           104
        .value_kind:     by_value
    .group_segment_fixed_size: 0
    .kernarg_segment_align: 8
    .kernarg_segment_size: 104
    .language:       OpenCL C
    .language_version:
      - 2
      - 0
    .max_flat_workgroup_size: 128
    .name:           _ZN7rocprim17ROCPRIM_400000_NS6detail17trampoline_kernelINS0_14default_configENS1_22reduce_config_selectorIN6thrust23THRUST_200600_302600_NS5tupleIblNS6_9null_typeES8_S8_S8_S8_S8_S8_S8_EEEEZNS1_11reduce_implILb1ES3_NS6_12zip_iteratorINS7_INS6_11hip_rocprim26transform_input_iterator_tIbNSD_35transform_pair_of_input_iterators_tIbNS6_6detail15normal_iteratorINS6_10device_ptrIKyEEEESL_NS6_8equal_toIyEEEENSG_9not_fun_tINSD_8identityEEEEENSD_19counting_iterator_tIlEES8_S8_S8_S8_S8_S8_S8_S8_EEEEPS9_S9_NSD_9__find_if7functorIS9_EEEE10hipError_tPvRmT1_T2_T3_mT4_P12ihipStream_tbEUlT_E0_NS1_11comp_targetILNS1_3genE3ELNS1_11target_archE908ELNS1_3gpuE7ELNS1_3repE0EEENS1_30default_config_static_selectorELNS0_4arch9wavefront6targetE0EEEvS14_
    .private_segment_fixed_size: 0
    .sgpr_count:     0
    .sgpr_spill_count: 0
    .symbol:         _ZN7rocprim17ROCPRIM_400000_NS6detail17trampoline_kernelINS0_14default_configENS1_22reduce_config_selectorIN6thrust23THRUST_200600_302600_NS5tupleIblNS6_9null_typeES8_S8_S8_S8_S8_S8_S8_EEEEZNS1_11reduce_implILb1ES3_NS6_12zip_iteratorINS7_INS6_11hip_rocprim26transform_input_iterator_tIbNSD_35transform_pair_of_input_iterators_tIbNS6_6detail15normal_iteratorINS6_10device_ptrIKyEEEESL_NS6_8equal_toIyEEEENSG_9not_fun_tINSD_8identityEEEEENSD_19counting_iterator_tIlEES8_S8_S8_S8_S8_S8_S8_S8_EEEEPS9_S9_NSD_9__find_if7functorIS9_EEEE10hipError_tPvRmT1_T2_T3_mT4_P12ihipStream_tbEUlT_E0_NS1_11comp_targetILNS1_3genE3ELNS1_11target_archE908ELNS1_3gpuE7ELNS1_3repE0EEENS1_30default_config_static_selectorELNS0_4arch9wavefront6targetE0EEEvS14_.kd
    .uniform_work_group_size: 1
    .uses_dynamic_stack: false
    .vgpr_count:     0
    .vgpr_spill_count: 0
    .wavefront_size: 32
    .workgroup_processor_mode: 1
  - .args:
      - .offset:         0
        .size:           104
        .value_kind:     by_value
    .group_segment_fixed_size: 0
    .kernarg_segment_align: 8
    .kernarg_segment_size: 104
    .language:       OpenCL C
    .language_version:
      - 2
      - 0
    .max_flat_workgroup_size: 128
    .name:           _ZN7rocprim17ROCPRIM_400000_NS6detail17trampoline_kernelINS0_14default_configENS1_22reduce_config_selectorIN6thrust23THRUST_200600_302600_NS5tupleIblNS6_9null_typeES8_S8_S8_S8_S8_S8_S8_EEEEZNS1_11reduce_implILb1ES3_NS6_12zip_iteratorINS7_INS6_11hip_rocprim26transform_input_iterator_tIbNSD_35transform_pair_of_input_iterators_tIbNS6_6detail15normal_iteratorINS6_10device_ptrIKyEEEESL_NS6_8equal_toIyEEEENSG_9not_fun_tINSD_8identityEEEEENSD_19counting_iterator_tIlEES8_S8_S8_S8_S8_S8_S8_S8_EEEEPS9_S9_NSD_9__find_if7functorIS9_EEEE10hipError_tPvRmT1_T2_T3_mT4_P12ihipStream_tbEUlT_E0_NS1_11comp_targetILNS1_3genE2ELNS1_11target_archE906ELNS1_3gpuE6ELNS1_3repE0EEENS1_30default_config_static_selectorELNS0_4arch9wavefront6targetE0EEEvS14_
    .private_segment_fixed_size: 0
    .sgpr_count:     0
    .sgpr_spill_count: 0
    .symbol:         _ZN7rocprim17ROCPRIM_400000_NS6detail17trampoline_kernelINS0_14default_configENS1_22reduce_config_selectorIN6thrust23THRUST_200600_302600_NS5tupleIblNS6_9null_typeES8_S8_S8_S8_S8_S8_S8_EEEEZNS1_11reduce_implILb1ES3_NS6_12zip_iteratorINS7_INS6_11hip_rocprim26transform_input_iterator_tIbNSD_35transform_pair_of_input_iterators_tIbNS6_6detail15normal_iteratorINS6_10device_ptrIKyEEEESL_NS6_8equal_toIyEEEENSG_9not_fun_tINSD_8identityEEEEENSD_19counting_iterator_tIlEES8_S8_S8_S8_S8_S8_S8_S8_EEEEPS9_S9_NSD_9__find_if7functorIS9_EEEE10hipError_tPvRmT1_T2_T3_mT4_P12ihipStream_tbEUlT_E0_NS1_11comp_targetILNS1_3genE2ELNS1_11target_archE906ELNS1_3gpuE6ELNS1_3repE0EEENS1_30default_config_static_selectorELNS0_4arch9wavefront6targetE0EEEvS14_.kd
    .uniform_work_group_size: 1
    .uses_dynamic_stack: false
    .vgpr_count:     0
    .vgpr_spill_count: 0
    .wavefront_size: 32
    .workgroup_processor_mode: 1
  - .args:
      - .offset:         0
        .size:           104
        .value_kind:     by_value
    .group_segment_fixed_size: 0
    .kernarg_segment_align: 8
    .kernarg_segment_size: 104
    .language:       OpenCL C
    .language_version:
      - 2
      - 0
    .max_flat_workgroup_size: 256
    .name:           _ZN7rocprim17ROCPRIM_400000_NS6detail17trampoline_kernelINS0_14default_configENS1_22reduce_config_selectorIN6thrust23THRUST_200600_302600_NS5tupleIblNS6_9null_typeES8_S8_S8_S8_S8_S8_S8_EEEEZNS1_11reduce_implILb1ES3_NS6_12zip_iteratorINS7_INS6_11hip_rocprim26transform_input_iterator_tIbNSD_35transform_pair_of_input_iterators_tIbNS6_6detail15normal_iteratorINS6_10device_ptrIKyEEEESL_NS6_8equal_toIyEEEENSG_9not_fun_tINSD_8identityEEEEENSD_19counting_iterator_tIlEES8_S8_S8_S8_S8_S8_S8_S8_EEEEPS9_S9_NSD_9__find_if7functorIS9_EEEE10hipError_tPvRmT1_T2_T3_mT4_P12ihipStream_tbEUlT_E0_NS1_11comp_targetILNS1_3genE10ELNS1_11target_archE1201ELNS1_3gpuE5ELNS1_3repE0EEENS1_30default_config_static_selectorELNS0_4arch9wavefront6targetE0EEEvS14_
    .private_segment_fixed_size: 0
    .sgpr_count:     0
    .sgpr_spill_count: 0
    .symbol:         _ZN7rocprim17ROCPRIM_400000_NS6detail17trampoline_kernelINS0_14default_configENS1_22reduce_config_selectorIN6thrust23THRUST_200600_302600_NS5tupleIblNS6_9null_typeES8_S8_S8_S8_S8_S8_S8_EEEEZNS1_11reduce_implILb1ES3_NS6_12zip_iteratorINS7_INS6_11hip_rocprim26transform_input_iterator_tIbNSD_35transform_pair_of_input_iterators_tIbNS6_6detail15normal_iteratorINS6_10device_ptrIKyEEEESL_NS6_8equal_toIyEEEENSG_9not_fun_tINSD_8identityEEEEENSD_19counting_iterator_tIlEES8_S8_S8_S8_S8_S8_S8_S8_EEEEPS9_S9_NSD_9__find_if7functorIS9_EEEE10hipError_tPvRmT1_T2_T3_mT4_P12ihipStream_tbEUlT_E0_NS1_11comp_targetILNS1_3genE10ELNS1_11target_archE1201ELNS1_3gpuE5ELNS1_3repE0EEENS1_30default_config_static_selectorELNS0_4arch9wavefront6targetE0EEEvS14_.kd
    .uniform_work_group_size: 1
    .uses_dynamic_stack: false
    .vgpr_count:     0
    .vgpr_spill_count: 0
    .wavefront_size: 32
    .workgroup_processor_mode: 1
  - .args:
      - .offset:         0
        .size:           104
        .value_kind:     by_value
    .group_segment_fixed_size: 0
    .kernarg_segment_align: 8
    .kernarg_segment_size: 104
    .language:       OpenCL C
    .language_version:
      - 2
      - 0
    .max_flat_workgroup_size: 256
    .name:           _ZN7rocprim17ROCPRIM_400000_NS6detail17trampoline_kernelINS0_14default_configENS1_22reduce_config_selectorIN6thrust23THRUST_200600_302600_NS5tupleIblNS6_9null_typeES8_S8_S8_S8_S8_S8_S8_EEEEZNS1_11reduce_implILb1ES3_NS6_12zip_iteratorINS7_INS6_11hip_rocprim26transform_input_iterator_tIbNSD_35transform_pair_of_input_iterators_tIbNS6_6detail15normal_iteratorINS6_10device_ptrIKyEEEESL_NS6_8equal_toIyEEEENSG_9not_fun_tINSD_8identityEEEEENSD_19counting_iterator_tIlEES8_S8_S8_S8_S8_S8_S8_S8_EEEEPS9_S9_NSD_9__find_if7functorIS9_EEEE10hipError_tPvRmT1_T2_T3_mT4_P12ihipStream_tbEUlT_E0_NS1_11comp_targetILNS1_3genE10ELNS1_11target_archE1200ELNS1_3gpuE4ELNS1_3repE0EEENS1_30default_config_static_selectorELNS0_4arch9wavefront6targetE0EEEvS14_
    .private_segment_fixed_size: 0
    .sgpr_count:     0
    .sgpr_spill_count: 0
    .symbol:         _ZN7rocprim17ROCPRIM_400000_NS6detail17trampoline_kernelINS0_14default_configENS1_22reduce_config_selectorIN6thrust23THRUST_200600_302600_NS5tupleIblNS6_9null_typeES8_S8_S8_S8_S8_S8_S8_EEEEZNS1_11reduce_implILb1ES3_NS6_12zip_iteratorINS7_INS6_11hip_rocprim26transform_input_iterator_tIbNSD_35transform_pair_of_input_iterators_tIbNS6_6detail15normal_iteratorINS6_10device_ptrIKyEEEESL_NS6_8equal_toIyEEEENSG_9not_fun_tINSD_8identityEEEEENSD_19counting_iterator_tIlEES8_S8_S8_S8_S8_S8_S8_S8_EEEEPS9_S9_NSD_9__find_if7functorIS9_EEEE10hipError_tPvRmT1_T2_T3_mT4_P12ihipStream_tbEUlT_E0_NS1_11comp_targetILNS1_3genE10ELNS1_11target_archE1200ELNS1_3gpuE4ELNS1_3repE0EEENS1_30default_config_static_selectorELNS0_4arch9wavefront6targetE0EEEvS14_.kd
    .uniform_work_group_size: 1
    .uses_dynamic_stack: false
    .vgpr_count:     0
    .vgpr_spill_count: 0
    .wavefront_size: 32
    .workgroup_processor_mode: 1
  - .args:
      - .offset:         0
        .size:           104
        .value_kind:     by_value
    .group_segment_fixed_size: 0
    .kernarg_segment_align: 8
    .kernarg_segment_size: 104
    .language:       OpenCL C
    .language_version:
      - 2
      - 0
    .max_flat_workgroup_size: 256
    .name:           _ZN7rocprim17ROCPRIM_400000_NS6detail17trampoline_kernelINS0_14default_configENS1_22reduce_config_selectorIN6thrust23THRUST_200600_302600_NS5tupleIblNS6_9null_typeES8_S8_S8_S8_S8_S8_S8_EEEEZNS1_11reduce_implILb1ES3_NS6_12zip_iteratorINS7_INS6_11hip_rocprim26transform_input_iterator_tIbNSD_35transform_pair_of_input_iterators_tIbNS6_6detail15normal_iteratorINS6_10device_ptrIKyEEEESL_NS6_8equal_toIyEEEENSG_9not_fun_tINSD_8identityEEEEENSD_19counting_iterator_tIlEES8_S8_S8_S8_S8_S8_S8_S8_EEEEPS9_S9_NSD_9__find_if7functorIS9_EEEE10hipError_tPvRmT1_T2_T3_mT4_P12ihipStream_tbEUlT_E0_NS1_11comp_targetILNS1_3genE9ELNS1_11target_archE1100ELNS1_3gpuE3ELNS1_3repE0EEENS1_30default_config_static_selectorELNS0_4arch9wavefront6targetE0EEEvS14_
    .private_segment_fixed_size: 0
    .sgpr_count:     0
    .sgpr_spill_count: 0
    .symbol:         _ZN7rocprim17ROCPRIM_400000_NS6detail17trampoline_kernelINS0_14default_configENS1_22reduce_config_selectorIN6thrust23THRUST_200600_302600_NS5tupleIblNS6_9null_typeES8_S8_S8_S8_S8_S8_S8_EEEEZNS1_11reduce_implILb1ES3_NS6_12zip_iteratorINS7_INS6_11hip_rocprim26transform_input_iterator_tIbNSD_35transform_pair_of_input_iterators_tIbNS6_6detail15normal_iteratorINS6_10device_ptrIKyEEEESL_NS6_8equal_toIyEEEENSG_9not_fun_tINSD_8identityEEEEENSD_19counting_iterator_tIlEES8_S8_S8_S8_S8_S8_S8_S8_EEEEPS9_S9_NSD_9__find_if7functorIS9_EEEE10hipError_tPvRmT1_T2_T3_mT4_P12ihipStream_tbEUlT_E0_NS1_11comp_targetILNS1_3genE9ELNS1_11target_archE1100ELNS1_3gpuE3ELNS1_3repE0EEENS1_30default_config_static_selectorELNS0_4arch9wavefront6targetE0EEEvS14_.kd
    .uniform_work_group_size: 1
    .uses_dynamic_stack: false
    .vgpr_count:     0
    .vgpr_spill_count: 0
    .wavefront_size: 32
    .workgroup_processor_mode: 1
  - .args:
      - .offset:         0
        .size:           104
        .value_kind:     by_value
    .group_segment_fixed_size: 256
    .kernarg_segment_align: 8
    .kernarg_segment_size: 104
    .language:       OpenCL C
    .language_version:
      - 2
      - 0
    .max_flat_workgroup_size: 256
    .name:           _ZN7rocprim17ROCPRIM_400000_NS6detail17trampoline_kernelINS0_14default_configENS1_22reduce_config_selectorIN6thrust23THRUST_200600_302600_NS5tupleIblNS6_9null_typeES8_S8_S8_S8_S8_S8_S8_EEEEZNS1_11reduce_implILb1ES3_NS6_12zip_iteratorINS7_INS6_11hip_rocprim26transform_input_iterator_tIbNSD_35transform_pair_of_input_iterators_tIbNS6_6detail15normal_iteratorINS6_10device_ptrIKyEEEESL_NS6_8equal_toIyEEEENSG_9not_fun_tINSD_8identityEEEEENSD_19counting_iterator_tIlEES8_S8_S8_S8_S8_S8_S8_S8_EEEEPS9_S9_NSD_9__find_if7functorIS9_EEEE10hipError_tPvRmT1_T2_T3_mT4_P12ihipStream_tbEUlT_E0_NS1_11comp_targetILNS1_3genE8ELNS1_11target_archE1030ELNS1_3gpuE2ELNS1_3repE0EEENS1_30default_config_static_selectorELNS0_4arch9wavefront6targetE0EEEvS14_
    .private_segment_fixed_size: 0
    .sgpr_count:     30
    .sgpr_spill_count: 0
    .symbol:         _ZN7rocprim17ROCPRIM_400000_NS6detail17trampoline_kernelINS0_14default_configENS1_22reduce_config_selectorIN6thrust23THRUST_200600_302600_NS5tupleIblNS6_9null_typeES8_S8_S8_S8_S8_S8_S8_EEEEZNS1_11reduce_implILb1ES3_NS6_12zip_iteratorINS7_INS6_11hip_rocprim26transform_input_iterator_tIbNSD_35transform_pair_of_input_iterators_tIbNS6_6detail15normal_iteratorINS6_10device_ptrIKyEEEESL_NS6_8equal_toIyEEEENSG_9not_fun_tINSD_8identityEEEEENSD_19counting_iterator_tIlEES8_S8_S8_S8_S8_S8_S8_S8_EEEEPS9_S9_NSD_9__find_if7functorIS9_EEEE10hipError_tPvRmT1_T2_T3_mT4_P12ihipStream_tbEUlT_E0_NS1_11comp_targetILNS1_3genE8ELNS1_11target_archE1030ELNS1_3gpuE2ELNS1_3repE0EEENS1_30default_config_static_selectorELNS0_4arch9wavefront6targetE0EEEvS14_.kd
    .uniform_work_group_size: 1
    .uses_dynamic_stack: false
    .vgpr_count:     14
    .vgpr_spill_count: 0
    .wavefront_size: 32
    .workgroup_processor_mode: 1
  - .args:
      - .offset:         0
        .size:           88
        .value_kind:     by_value
    .group_segment_fixed_size: 0
    .kernarg_segment_align: 8
    .kernarg_segment_size: 88
    .language:       OpenCL C
    .language_version:
      - 2
      - 0
    .max_flat_workgroup_size: 128
    .name:           _ZN7rocprim17ROCPRIM_400000_NS6detail17trampoline_kernelINS0_14default_configENS1_22reduce_config_selectorIN6thrust23THRUST_200600_302600_NS5tupleIblNS6_9null_typeES8_S8_S8_S8_S8_S8_S8_EEEEZNS1_11reduce_implILb1ES3_NS6_12zip_iteratorINS7_INS6_11hip_rocprim26transform_input_iterator_tIbNSD_35transform_pair_of_input_iterators_tIbNS6_6detail15normal_iteratorINS6_10device_ptrIKyEEEESL_NS6_8equal_toIyEEEENSG_9not_fun_tINSD_8identityEEEEENSD_19counting_iterator_tIlEES8_S8_S8_S8_S8_S8_S8_S8_EEEEPS9_S9_NSD_9__find_if7functorIS9_EEEE10hipError_tPvRmT1_T2_T3_mT4_P12ihipStream_tbEUlT_E1_NS1_11comp_targetILNS1_3genE0ELNS1_11target_archE4294967295ELNS1_3gpuE0ELNS1_3repE0EEENS1_30default_config_static_selectorELNS0_4arch9wavefront6targetE0EEEvS14_
    .private_segment_fixed_size: 0
    .sgpr_count:     0
    .sgpr_spill_count: 0
    .symbol:         _ZN7rocprim17ROCPRIM_400000_NS6detail17trampoline_kernelINS0_14default_configENS1_22reduce_config_selectorIN6thrust23THRUST_200600_302600_NS5tupleIblNS6_9null_typeES8_S8_S8_S8_S8_S8_S8_EEEEZNS1_11reduce_implILb1ES3_NS6_12zip_iteratorINS7_INS6_11hip_rocprim26transform_input_iterator_tIbNSD_35transform_pair_of_input_iterators_tIbNS6_6detail15normal_iteratorINS6_10device_ptrIKyEEEESL_NS6_8equal_toIyEEEENSG_9not_fun_tINSD_8identityEEEEENSD_19counting_iterator_tIlEES8_S8_S8_S8_S8_S8_S8_S8_EEEEPS9_S9_NSD_9__find_if7functorIS9_EEEE10hipError_tPvRmT1_T2_T3_mT4_P12ihipStream_tbEUlT_E1_NS1_11comp_targetILNS1_3genE0ELNS1_11target_archE4294967295ELNS1_3gpuE0ELNS1_3repE0EEENS1_30default_config_static_selectorELNS0_4arch9wavefront6targetE0EEEvS14_.kd
    .uniform_work_group_size: 1
    .uses_dynamic_stack: false
    .vgpr_count:     0
    .vgpr_spill_count: 0
    .wavefront_size: 32
    .workgroup_processor_mode: 1
  - .args:
      - .offset:         0
        .size:           88
        .value_kind:     by_value
    .group_segment_fixed_size: 0
    .kernarg_segment_align: 8
    .kernarg_segment_size: 88
    .language:       OpenCL C
    .language_version:
      - 2
      - 0
    .max_flat_workgroup_size: 256
    .name:           _ZN7rocprim17ROCPRIM_400000_NS6detail17trampoline_kernelINS0_14default_configENS1_22reduce_config_selectorIN6thrust23THRUST_200600_302600_NS5tupleIblNS6_9null_typeES8_S8_S8_S8_S8_S8_S8_EEEEZNS1_11reduce_implILb1ES3_NS6_12zip_iteratorINS7_INS6_11hip_rocprim26transform_input_iterator_tIbNSD_35transform_pair_of_input_iterators_tIbNS6_6detail15normal_iteratorINS6_10device_ptrIKyEEEESL_NS6_8equal_toIyEEEENSG_9not_fun_tINSD_8identityEEEEENSD_19counting_iterator_tIlEES8_S8_S8_S8_S8_S8_S8_S8_EEEEPS9_S9_NSD_9__find_if7functorIS9_EEEE10hipError_tPvRmT1_T2_T3_mT4_P12ihipStream_tbEUlT_E1_NS1_11comp_targetILNS1_3genE5ELNS1_11target_archE942ELNS1_3gpuE9ELNS1_3repE0EEENS1_30default_config_static_selectorELNS0_4arch9wavefront6targetE0EEEvS14_
    .private_segment_fixed_size: 0
    .sgpr_count:     0
    .sgpr_spill_count: 0
    .symbol:         _ZN7rocprim17ROCPRIM_400000_NS6detail17trampoline_kernelINS0_14default_configENS1_22reduce_config_selectorIN6thrust23THRUST_200600_302600_NS5tupleIblNS6_9null_typeES8_S8_S8_S8_S8_S8_S8_EEEEZNS1_11reduce_implILb1ES3_NS6_12zip_iteratorINS7_INS6_11hip_rocprim26transform_input_iterator_tIbNSD_35transform_pair_of_input_iterators_tIbNS6_6detail15normal_iteratorINS6_10device_ptrIKyEEEESL_NS6_8equal_toIyEEEENSG_9not_fun_tINSD_8identityEEEEENSD_19counting_iterator_tIlEES8_S8_S8_S8_S8_S8_S8_S8_EEEEPS9_S9_NSD_9__find_if7functorIS9_EEEE10hipError_tPvRmT1_T2_T3_mT4_P12ihipStream_tbEUlT_E1_NS1_11comp_targetILNS1_3genE5ELNS1_11target_archE942ELNS1_3gpuE9ELNS1_3repE0EEENS1_30default_config_static_selectorELNS0_4arch9wavefront6targetE0EEEvS14_.kd
    .uniform_work_group_size: 1
    .uses_dynamic_stack: false
    .vgpr_count:     0
    .vgpr_spill_count: 0
    .wavefront_size: 32
    .workgroup_processor_mode: 1
  - .args:
      - .offset:         0
        .size:           88
        .value_kind:     by_value
    .group_segment_fixed_size: 0
    .kernarg_segment_align: 8
    .kernarg_segment_size: 88
    .language:       OpenCL C
    .language_version:
      - 2
      - 0
    .max_flat_workgroup_size: 256
    .name:           _ZN7rocprim17ROCPRIM_400000_NS6detail17trampoline_kernelINS0_14default_configENS1_22reduce_config_selectorIN6thrust23THRUST_200600_302600_NS5tupleIblNS6_9null_typeES8_S8_S8_S8_S8_S8_S8_EEEEZNS1_11reduce_implILb1ES3_NS6_12zip_iteratorINS7_INS6_11hip_rocprim26transform_input_iterator_tIbNSD_35transform_pair_of_input_iterators_tIbNS6_6detail15normal_iteratorINS6_10device_ptrIKyEEEESL_NS6_8equal_toIyEEEENSG_9not_fun_tINSD_8identityEEEEENSD_19counting_iterator_tIlEES8_S8_S8_S8_S8_S8_S8_S8_EEEEPS9_S9_NSD_9__find_if7functorIS9_EEEE10hipError_tPvRmT1_T2_T3_mT4_P12ihipStream_tbEUlT_E1_NS1_11comp_targetILNS1_3genE4ELNS1_11target_archE910ELNS1_3gpuE8ELNS1_3repE0EEENS1_30default_config_static_selectorELNS0_4arch9wavefront6targetE0EEEvS14_
    .private_segment_fixed_size: 0
    .sgpr_count:     0
    .sgpr_spill_count: 0
    .symbol:         _ZN7rocprim17ROCPRIM_400000_NS6detail17trampoline_kernelINS0_14default_configENS1_22reduce_config_selectorIN6thrust23THRUST_200600_302600_NS5tupleIblNS6_9null_typeES8_S8_S8_S8_S8_S8_S8_EEEEZNS1_11reduce_implILb1ES3_NS6_12zip_iteratorINS7_INS6_11hip_rocprim26transform_input_iterator_tIbNSD_35transform_pair_of_input_iterators_tIbNS6_6detail15normal_iteratorINS6_10device_ptrIKyEEEESL_NS6_8equal_toIyEEEENSG_9not_fun_tINSD_8identityEEEEENSD_19counting_iterator_tIlEES8_S8_S8_S8_S8_S8_S8_S8_EEEEPS9_S9_NSD_9__find_if7functorIS9_EEEE10hipError_tPvRmT1_T2_T3_mT4_P12ihipStream_tbEUlT_E1_NS1_11comp_targetILNS1_3genE4ELNS1_11target_archE910ELNS1_3gpuE8ELNS1_3repE0EEENS1_30default_config_static_selectorELNS0_4arch9wavefront6targetE0EEEvS14_.kd
    .uniform_work_group_size: 1
    .uses_dynamic_stack: false
    .vgpr_count:     0
    .vgpr_spill_count: 0
    .wavefront_size: 32
    .workgroup_processor_mode: 1
  - .args:
      - .offset:         0
        .size:           88
        .value_kind:     by_value
    .group_segment_fixed_size: 0
    .kernarg_segment_align: 8
    .kernarg_segment_size: 88
    .language:       OpenCL C
    .language_version:
      - 2
      - 0
    .max_flat_workgroup_size: 128
    .name:           _ZN7rocprim17ROCPRIM_400000_NS6detail17trampoline_kernelINS0_14default_configENS1_22reduce_config_selectorIN6thrust23THRUST_200600_302600_NS5tupleIblNS6_9null_typeES8_S8_S8_S8_S8_S8_S8_EEEEZNS1_11reduce_implILb1ES3_NS6_12zip_iteratorINS7_INS6_11hip_rocprim26transform_input_iterator_tIbNSD_35transform_pair_of_input_iterators_tIbNS6_6detail15normal_iteratorINS6_10device_ptrIKyEEEESL_NS6_8equal_toIyEEEENSG_9not_fun_tINSD_8identityEEEEENSD_19counting_iterator_tIlEES8_S8_S8_S8_S8_S8_S8_S8_EEEEPS9_S9_NSD_9__find_if7functorIS9_EEEE10hipError_tPvRmT1_T2_T3_mT4_P12ihipStream_tbEUlT_E1_NS1_11comp_targetILNS1_3genE3ELNS1_11target_archE908ELNS1_3gpuE7ELNS1_3repE0EEENS1_30default_config_static_selectorELNS0_4arch9wavefront6targetE0EEEvS14_
    .private_segment_fixed_size: 0
    .sgpr_count:     0
    .sgpr_spill_count: 0
    .symbol:         _ZN7rocprim17ROCPRIM_400000_NS6detail17trampoline_kernelINS0_14default_configENS1_22reduce_config_selectorIN6thrust23THRUST_200600_302600_NS5tupleIblNS6_9null_typeES8_S8_S8_S8_S8_S8_S8_EEEEZNS1_11reduce_implILb1ES3_NS6_12zip_iteratorINS7_INS6_11hip_rocprim26transform_input_iterator_tIbNSD_35transform_pair_of_input_iterators_tIbNS6_6detail15normal_iteratorINS6_10device_ptrIKyEEEESL_NS6_8equal_toIyEEEENSG_9not_fun_tINSD_8identityEEEEENSD_19counting_iterator_tIlEES8_S8_S8_S8_S8_S8_S8_S8_EEEEPS9_S9_NSD_9__find_if7functorIS9_EEEE10hipError_tPvRmT1_T2_T3_mT4_P12ihipStream_tbEUlT_E1_NS1_11comp_targetILNS1_3genE3ELNS1_11target_archE908ELNS1_3gpuE7ELNS1_3repE0EEENS1_30default_config_static_selectorELNS0_4arch9wavefront6targetE0EEEvS14_.kd
    .uniform_work_group_size: 1
    .uses_dynamic_stack: false
    .vgpr_count:     0
    .vgpr_spill_count: 0
    .wavefront_size: 32
    .workgroup_processor_mode: 1
  - .args:
      - .offset:         0
        .size:           88
        .value_kind:     by_value
    .group_segment_fixed_size: 0
    .kernarg_segment_align: 8
    .kernarg_segment_size: 88
    .language:       OpenCL C
    .language_version:
      - 2
      - 0
    .max_flat_workgroup_size: 128
    .name:           _ZN7rocprim17ROCPRIM_400000_NS6detail17trampoline_kernelINS0_14default_configENS1_22reduce_config_selectorIN6thrust23THRUST_200600_302600_NS5tupleIblNS6_9null_typeES8_S8_S8_S8_S8_S8_S8_EEEEZNS1_11reduce_implILb1ES3_NS6_12zip_iteratorINS7_INS6_11hip_rocprim26transform_input_iterator_tIbNSD_35transform_pair_of_input_iterators_tIbNS6_6detail15normal_iteratorINS6_10device_ptrIKyEEEESL_NS6_8equal_toIyEEEENSG_9not_fun_tINSD_8identityEEEEENSD_19counting_iterator_tIlEES8_S8_S8_S8_S8_S8_S8_S8_EEEEPS9_S9_NSD_9__find_if7functorIS9_EEEE10hipError_tPvRmT1_T2_T3_mT4_P12ihipStream_tbEUlT_E1_NS1_11comp_targetILNS1_3genE2ELNS1_11target_archE906ELNS1_3gpuE6ELNS1_3repE0EEENS1_30default_config_static_selectorELNS0_4arch9wavefront6targetE0EEEvS14_
    .private_segment_fixed_size: 0
    .sgpr_count:     0
    .sgpr_spill_count: 0
    .symbol:         _ZN7rocprim17ROCPRIM_400000_NS6detail17trampoline_kernelINS0_14default_configENS1_22reduce_config_selectorIN6thrust23THRUST_200600_302600_NS5tupleIblNS6_9null_typeES8_S8_S8_S8_S8_S8_S8_EEEEZNS1_11reduce_implILb1ES3_NS6_12zip_iteratorINS7_INS6_11hip_rocprim26transform_input_iterator_tIbNSD_35transform_pair_of_input_iterators_tIbNS6_6detail15normal_iteratorINS6_10device_ptrIKyEEEESL_NS6_8equal_toIyEEEENSG_9not_fun_tINSD_8identityEEEEENSD_19counting_iterator_tIlEES8_S8_S8_S8_S8_S8_S8_S8_EEEEPS9_S9_NSD_9__find_if7functorIS9_EEEE10hipError_tPvRmT1_T2_T3_mT4_P12ihipStream_tbEUlT_E1_NS1_11comp_targetILNS1_3genE2ELNS1_11target_archE906ELNS1_3gpuE6ELNS1_3repE0EEENS1_30default_config_static_selectorELNS0_4arch9wavefront6targetE0EEEvS14_.kd
    .uniform_work_group_size: 1
    .uses_dynamic_stack: false
    .vgpr_count:     0
    .vgpr_spill_count: 0
    .wavefront_size: 32
    .workgroup_processor_mode: 1
  - .args:
      - .offset:         0
        .size:           88
        .value_kind:     by_value
    .group_segment_fixed_size: 0
    .kernarg_segment_align: 8
    .kernarg_segment_size: 88
    .language:       OpenCL C
    .language_version:
      - 2
      - 0
    .max_flat_workgroup_size: 256
    .name:           _ZN7rocprim17ROCPRIM_400000_NS6detail17trampoline_kernelINS0_14default_configENS1_22reduce_config_selectorIN6thrust23THRUST_200600_302600_NS5tupleIblNS6_9null_typeES8_S8_S8_S8_S8_S8_S8_EEEEZNS1_11reduce_implILb1ES3_NS6_12zip_iteratorINS7_INS6_11hip_rocprim26transform_input_iterator_tIbNSD_35transform_pair_of_input_iterators_tIbNS6_6detail15normal_iteratorINS6_10device_ptrIKyEEEESL_NS6_8equal_toIyEEEENSG_9not_fun_tINSD_8identityEEEEENSD_19counting_iterator_tIlEES8_S8_S8_S8_S8_S8_S8_S8_EEEEPS9_S9_NSD_9__find_if7functorIS9_EEEE10hipError_tPvRmT1_T2_T3_mT4_P12ihipStream_tbEUlT_E1_NS1_11comp_targetILNS1_3genE10ELNS1_11target_archE1201ELNS1_3gpuE5ELNS1_3repE0EEENS1_30default_config_static_selectorELNS0_4arch9wavefront6targetE0EEEvS14_
    .private_segment_fixed_size: 0
    .sgpr_count:     0
    .sgpr_spill_count: 0
    .symbol:         _ZN7rocprim17ROCPRIM_400000_NS6detail17trampoline_kernelINS0_14default_configENS1_22reduce_config_selectorIN6thrust23THRUST_200600_302600_NS5tupleIblNS6_9null_typeES8_S8_S8_S8_S8_S8_S8_EEEEZNS1_11reduce_implILb1ES3_NS6_12zip_iteratorINS7_INS6_11hip_rocprim26transform_input_iterator_tIbNSD_35transform_pair_of_input_iterators_tIbNS6_6detail15normal_iteratorINS6_10device_ptrIKyEEEESL_NS6_8equal_toIyEEEENSG_9not_fun_tINSD_8identityEEEEENSD_19counting_iterator_tIlEES8_S8_S8_S8_S8_S8_S8_S8_EEEEPS9_S9_NSD_9__find_if7functorIS9_EEEE10hipError_tPvRmT1_T2_T3_mT4_P12ihipStream_tbEUlT_E1_NS1_11comp_targetILNS1_3genE10ELNS1_11target_archE1201ELNS1_3gpuE5ELNS1_3repE0EEENS1_30default_config_static_selectorELNS0_4arch9wavefront6targetE0EEEvS14_.kd
    .uniform_work_group_size: 1
    .uses_dynamic_stack: false
    .vgpr_count:     0
    .vgpr_spill_count: 0
    .wavefront_size: 32
    .workgroup_processor_mode: 1
  - .args:
      - .offset:         0
        .size:           88
        .value_kind:     by_value
    .group_segment_fixed_size: 0
    .kernarg_segment_align: 8
    .kernarg_segment_size: 88
    .language:       OpenCL C
    .language_version:
      - 2
      - 0
    .max_flat_workgroup_size: 256
    .name:           _ZN7rocprim17ROCPRIM_400000_NS6detail17trampoline_kernelINS0_14default_configENS1_22reduce_config_selectorIN6thrust23THRUST_200600_302600_NS5tupleIblNS6_9null_typeES8_S8_S8_S8_S8_S8_S8_EEEEZNS1_11reduce_implILb1ES3_NS6_12zip_iteratorINS7_INS6_11hip_rocprim26transform_input_iterator_tIbNSD_35transform_pair_of_input_iterators_tIbNS6_6detail15normal_iteratorINS6_10device_ptrIKyEEEESL_NS6_8equal_toIyEEEENSG_9not_fun_tINSD_8identityEEEEENSD_19counting_iterator_tIlEES8_S8_S8_S8_S8_S8_S8_S8_EEEEPS9_S9_NSD_9__find_if7functorIS9_EEEE10hipError_tPvRmT1_T2_T3_mT4_P12ihipStream_tbEUlT_E1_NS1_11comp_targetILNS1_3genE10ELNS1_11target_archE1200ELNS1_3gpuE4ELNS1_3repE0EEENS1_30default_config_static_selectorELNS0_4arch9wavefront6targetE0EEEvS14_
    .private_segment_fixed_size: 0
    .sgpr_count:     0
    .sgpr_spill_count: 0
    .symbol:         _ZN7rocprim17ROCPRIM_400000_NS6detail17trampoline_kernelINS0_14default_configENS1_22reduce_config_selectorIN6thrust23THRUST_200600_302600_NS5tupleIblNS6_9null_typeES8_S8_S8_S8_S8_S8_S8_EEEEZNS1_11reduce_implILb1ES3_NS6_12zip_iteratorINS7_INS6_11hip_rocprim26transform_input_iterator_tIbNSD_35transform_pair_of_input_iterators_tIbNS6_6detail15normal_iteratorINS6_10device_ptrIKyEEEESL_NS6_8equal_toIyEEEENSG_9not_fun_tINSD_8identityEEEEENSD_19counting_iterator_tIlEES8_S8_S8_S8_S8_S8_S8_S8_EEEEPS9_S9_NSD_9__find_if7functorIS9_EEEE10hipError_tPvRmT1_T2_T3_mT4_P12ihipStream_tbEUlT_E1_NS1_11comp_targetILNS1_3genE10ELNS1_11target_archE1200ELNS1_3gpuE4ELNS1_3repE0EEENS1_30default_config_static_selectorELNS0_4arch9wavefront6targetE0EEEvS14_.kd
    .uniform_work_group_size: 1
    .uses_dynamic_stack: false
    .vgpr_count:     0
    .vgpr_spill_count: 0
    .wavefront_size: 32
    .workgroup_processor_mode: 1
  - .args:
      - .offset:         0
        .size:           88
        .value_kind:     by_value
    .group_segment_fixed_size: 0
    .kernarg_segment_align: 8
    .kernarg_segment_size: 88
    .language:       OpenCL C
    .language_version:
      - 2
      - 0
    .max_flat_workgroup_size: 256
    .name:           _ZN7rocprim17ROCPRIM_400000_NS6detail17trampoline_kernelINS0_14default_configENS1_22reduce_config_selectorIN6thrust23THRUST_200600_302600_NS5tupleIblNS6_9null_typeES8_S8_S8_S8_S8_S8_S8_EEEEZNS1_11reduce_implILb1ES3_NS6_12zip_iteratorINS7_INS6_11hip_rocprim26transform_input_iterator_tIbNSD_35transform_pair_of_input_iterators_tIbNS6_6detail15normal_iteratorINS6_10device_ptrIKyEEEESL_NS6_8equal_toIyEEEENSG_9not_fun_tINSD_8identityEEEEENSD_19counting_iterator_tIlEES8_S8_S8_S8_S8_S8_S8_S8_EEEEPS9_S9_NSD_9__find_if7functorIS9_EEEE10hipError_tPvRmT1_T2_T3_mT4_P12ihipStream_tbEUlT_E1_NS1_11comp_targetILNS1_3genE9ELNS1_11target_archE1100ELNS1_3gpuE3ELNS1_3repE0EEENS1_30default_config_static_selectorELNS0_4arch9wavefront6targetE0EEEvS14_
    .private_segment_fixed_size: 0
    .sgpr_count:     0
    .sgpr_spill_count: 0
    .symbol:         _ZN7rocprim17ROCPRIM_400000_NS6detail17trampoline_kernelINS0_14default_configENS1_22reduce_config_selectorIN6thrust23THRUST_200600_302600_NS5tupleIblNS6_9null_typeES8_S8_S8_S8_S8_S8_S8_EEEEZNS1_11reduce_implILb1ES3_NS6_12zip_iteratorINS7_INS6_11hip_rocprim26transform_input_iterator_tIbNSD_35transform_pair_of_input_iterators_tIbNS6_6detail15normal_iteratorINS6_10device_ptrIKyEEEESL_NS6_8equal_toIyEEEENSG_9not_fun_tINSD_8identityEEEEENSD_19counting_iterator_tIlEES8_S8_S8_S8_S8_S8_S8_S8_EEEEPS9_S9_NSD_9__find_if7functorIS9_EEEE10hipError_tPvRmT1_T2_T3_mT4_P12ihipStream_tbEUlT_E1_NS1_11comp_targetILNS1_3genE9ELNS1_11target_archE1100ELNS1_3gpuE3ELNS1_3repE0EEENS1_30default_config_static_selectorELNS0_4arch9wavefront6targetE0EEEvS14_.kd
    .uniform_work_group_size: 1
    .uses_dynamic_stack: false
    .vgpr_count:     0
    .vgpr_spill_count: 0
    .wavefront_size: 32
    .workgroup_processor_mode: 1
  - .args:
      - .offset:         0
        .size:           88
        .value_kind:     by_value
    .group_segment_fixed_size: 640
    .kernarg_segment_align: 8
    .kernarg_segment_size: 88
    .language:       OpenCL C
    .language_version:
      - 2
      - 0
    .max_flat_workgroup_size: 256
    .name:           _ZN7rocprim17ROCPRIM_400000_NS6detail17trampoline_kernelINS0_14default_configENS1_22reduce_config_selectorIN6thrust23THRUST_200600_302600_NS5tupleIblNS6_9null_typeES8_S8_S8_S8_S8_S8_S8_EEEEZNS1_11reduce_implILb1ES3_NS6_12zip_iteratorINS7_INS6_11hip_rocprim26transform_input_iterator_tIbNSD_35transform_pair_of_input_iterators_tIbNS6_6detail15normal_iteratorINS6_10device_ptrIKyEEEESL_NS6_8equal_toIyEEEENSG_9not_fun_tINSD_8identityEEEEENSD_19counting_iterator_tIlEES8_S8_S8_S8_S8_S8_S8_S8_EEEEPS9_S9_NSD_9__find_if7functorIS9_EEEE10hipError_tPvRmT1_T2_T3_mT4_P12ihipStream_tbEUlT_E1_NS1_11comp_targetILNS1_3genE8ELNS1_11target_archE1030ELNS1_3gpuE2ELNS1_3repE0EEENS1_30default_config_static_selectorELNS0_4arch9wavefront6targetE0EEEvS14_
    .private_segment_fixed_size: 0
    .sgpr_count:     34
    .sgpr_spill_count: 0
    .symbol:         _ZN7rocprim17ROCPRIM_400000_NS6detail17trampoline_kernelINS0_14default_configENS1_22reduce_config_selectorIN6thrust23THRUST_200600_302600_NS5tupleIblNS6_9null_typeES8_S8_S8_S8_S8_S8_S8_EEEEZNS1_11reduce_implILb1ES3_NS6_12zip_iteratorINS7_INS6_11hip_rocprim26transform_input_iterator_tIbNSD_35transform_pair_of_input_iterators_tIbNS6_6detail15normal_iteratorINS6_10device_ptrIKyEEEESL_NS6_8equal_toIyEEEENSG_9not_fun_tINSD_8identityEEEEENSD_19counting_iterator_tIlEES8_S8_S8_S8_S8_S8_S8_S8_EEEEPS9_S9_NSD_9__find_if7functorIS9_EEEE10hipError_tPvRmT1_T2_T3_mT4_P12ihipStream_tbEUlT_E1_NS1_11comp_targetILNS1_3genE8ELNS1_11target_archE1030ELNS1_3gpuE2ELNS1_3repE0EEENS1_30default_config_static_selectorELNS0_4arch9wavefront6targetE0EEEvS14_.kd
    .uniform_work_group_size: 1
    .uses_dynamic_stack: false
    .vgpr_count:     36
    .vgpr_spill_count: 0
    .wavefront_size: 32
    .workgroup_processor_mode: 1
  - .args:
      - .offset:         0
        .size:           16
        .value_kind:     by_value
      - .offset:         16
        .size:           8
        .value_kind:     by_value
      - .offset:         24
        .size:           8
        .value_kind:     by_value
    .group_segment_fixed_size: 0
    .kernarg_segment_align: 8
    .kernarg_segment_size: 32
    .language:       OpenCL C
    .language_version:
      - 2
      - 0
    .max_flat_workgroup_size: 256
    .name:           _ZN6thrust23THRUST_200600_302600_NS11hip_rocprim14__parallel_for6kernelILj256ENS1_20__uninitialized_fill7functorINS0_10device_ptrIjEEjEEmLj1EEEvT0_T1_SA_
    .private_segment_fixed_size: 0
    .sgpr_count:     14
    .sgpr_spill_count: 0
    .symbol:         _ZN6thrust23THRUST_200600_302600_NS11hip_rocprim14__parallel_for6kernelILj256ENS1_20__uninitialized_fill7functorINS0_10device_ptrIjEEjEEmLj1EEEvT0_T1_SA_.kd
    .uniform_work_group_size: 1
    .uses_dynamic_stack: false
    .vgpr_count:     4
    .vgpr_spill_count: 0
    .wavefront_size: 32
    .workgroup_processor_mode: 1
  - .args:
      - .offset:         0
        .size:           64
        .value_kind:     by_value
    .group_segment_fixed_size: 0
    .kernarg_segment_align: 8
    .kernarg_segment_size: 64
    .language:       OpenCL C
    .language_version:
      - 2
      - 0
    .max_flat_workgroup_size: 256
    .name:           _ZN7rocprim17ROCPRIM_400000_NS6detail17trampoline_kernelINS0_14default_configENS1_21merge_config_selectorINS0_5tupleIJjjEEENS0_10empty_typeEEEZNS1_10merge_implIS3_NS0_12zip_iteratorINS5_IJN6thrust23THRUST_200600_302600_NS6detail15normal_iteratorINSC_10device_ptrIKjEEEESI_EEEEESK_NSA_INS5_IJNSE_INSF_IjEEEESM_EEEEEPS7_SP_SP_NSC_11hip_rocprim7__merge17predicate_wrapperIjjNSC_4lessIjEEEEEE10hipError_tPvRmT0_T1_T2_T3_T4_T5_mmT6_P12ihipStream_tbEUlT_E_NS1_11comp_targetILNS1_3genE0ELNS1_11target_archE4294967295ELNS1_3gpuE0ELNS1_3repE0EEENS1_30default_config_static_selectorELNS0_4arch9wavefront6targetE0EEEvS10_
    .private_segment_fixed_size: 0
    .sgpr_count:     0
    .sgpr_spill_count: 0
    .symbol:         _ZN7rocprim17ROCPRIM_400000_NS6detail17trampoline_kernelINS0_14default_configENS1_21merge_config_selectorINS0_5tupleIJjjEEENS0_10empty_typeEEEZNS1_10merge_implIS3_NS0_12zip_iteratorINS5_IJN6thrust23THRUST_200600_302600_NS6detail15normal_iteratorINSC_10device_ptrIKjEEEESI_EEEEESK_NSA_INS5_IJNSE_INSF_IjEEEESM_EEEEEPS7_SP_SP_NSC_11hip_rocprim7__merge17predicate_wrapperIjjNSC_4lessIjEEEEEE10hipError_tPvRmT0_T1_T2_T3_T4_T5_mmT6_P12ihipStream_tbEUlT_E_NS1_11comp_targetILNS1_3genE0ELNS1_11target_archE4294967295ELNS1_3gpuE0ELNS1_3repE0EEENS1_30default_config_static_selectorELNS0_4arch9wavefront6targetE0EEEvS10_.kd
    .uniform_work_group_size: 1
    .uses_dynamic_stack: false
    .vgpr_count:     0
    .vgpr_spill_count: 0
    .wavefront_size: 32
    .workgroup_processor_mode: 1
  - .args:
      - .offset:         0
        .size:           64
        .value_kind:     by_value
    .group_segment_fixed_size: 0
    .kernarg_segment_align: 8
    .kernarg_segment_size: 64
    .language:       OpenCL C
    .language_version:
      - 2
      - 0
    .max_flat_workgroup_size: 256
    .name:           _ZN7rocprim17ROCPRIM_400000_NS6detail17trampoline_kernelINS0_14default_configENS1_21merge_config_selectorINS0_5tupleIJjjEEENS0_10empty_typeEEEZNS1_10merge_implIS3_NS0_12zip_iteratorINS5_IJN6thrust23THRUST_200600_302600_NS6detail15normal_iteratorINSC_10device_ptrIKjEEEESI_EEEEESK_NSA_INS5_IJNSE_INSF_IjEEEESM_EEEEEPS7_SP_SP_NSC_11hip_rocprim7__merge17predicate_wrapperIjjNSC_4lessIjEEEEEE10hipError_tPvRmT0_T1_T2_T3_T4_T5_mmT6_P12ihipStream_tbEUlT_E_NS1_11comp_targetILNS1_3genE5ELNS1_11target_archE942ELNS1_3gpuE9ELNS1_3repE0EEENS1_30default_config_static_selectorELNS0_4arch9wavefront6targetE0EEEvS10_
    .private_segment_fixed_size: 0
    .sgpr_count:     0
    .sgpr_spill_count: 0
    .symbol:         _ZN7rocprim17ROCPRIM_400000_NS6detail17trampoline_kernelINS0_14default_configENS1_21merge_config_selectorINS0_5tupleIJjjEEENS0_10empty_typeEEEZNS1_10merge_implIS3_NS0_12zip_iteratorINS5_IJN6thrust23THRUST_200600_302600_NS6detail15normal_iteratorINSC_10device_ptrIKjEEEESI_EEEEESK_NSA_INS5_IJNSE_INSF_IjEEEESM_EEEEEPS7_SP_SP_NSC_11hip_rocprim7__merge17predicate_wrapperIjjNSC_4lessIjEEEEEE10hipError_tPvRmT0_T1_T2_T3_T4_T5_mmT6_P12ihipStream_tbEUlT_E_NS1_11comp_targetILNS1_3genE5ELNS1_11target_archE942ELNS1_3gpuE9ELNS1_3repE0EEENS1_30default_config_static_selectorELNS0_4arch9wavefront6targetE0EEEvS10_.kd
    .uniform_work_group_size: 1
    .uses_dynamic_stack: false
    .vgpr_count:     0
    .vgpr_spill_count: 0
    .wavefront_size: 32
    .workgroup_processor_mode: 1
  - .args:
      - .offset:         0
        .size:           64
        .value_kind:     by_value
    .group_segment_fixed_size: 0
    .kernarg_segment_align: 8
    .kernarg_segment_size: 64
    .language:       OpenCL C
    .language_version:
      - 2
      - 0
    .max_flat_workgroup_size: 256
    .name:           _ZN7rocprim17ROCPRIM_400000_NS6detail17trampoline_kernelINS0_14default_configENS1_21merge_config_selectorINS0_5tupleIJjjEEENS0_10empty_typeEEEZNS1_10merge_implIS3_NS0_12zip_iteratorINS5_IJN6thrust23THRUST_200600_302600_NS6detail15normal_iteratorINSC_10device_ptrIKjEEEESI_EEEEESK_NSA_INS5_IJNSE_INSF_IjEEEESM_EEEEEPS7_SP_SP_NSC_11hip_rocprim7__merge17predicate_wrapperIjjNSC_4lessIjEEEEEE10hipError_tPvRmT0_T1_T2_T3_T4_T5_mmT6_P12ihipStream_tbEUlT_E_NS1_11comp_targetILNS1_3genE4ELNS1_11target_archE910ELNS1_3gpuE8ELNS1_3repE0EEENS1_30default_config_static_selectorELNS0_4arch9wavefront6targetE0EEEvS10_
    .private_segment_fixed_size: 0
    .sgpr_count:     0
    .sgpr_spill_count: 0
    .symbol:         _ZN7rocprim17ROCPRIM_400000_NS6detail17trampoline_kernelINS0_14default_configENS1_21merge_config_selectorINS0_5tupleIJjjEEENS0_10empty_typeEEEZNS1_10merge_implIS3_NS0_12zip_iteratorINS5_IJN6thrust23THRUST_200600_302600_NS6detail15normal_iteratorINSC_10device_ptrIKjEEEESI_EEEEESK_NSA_INS5_IJNSE_INSF_IjEEEESM_EEEEEPS7_SP_SP_NSC_11hip_rocprim7__merge17predicate_wrapperIjjNSC_4lessIjEEEEEE10hipError_tPvRmT0_T1_T2_T3_T4_T5_mmT6_P12ihipStream_tbEUlT_E_NS1_11comp_targetILNS1_3genE4ELNS1_11target_archE910ELNS1_3gpuE8ELNS1_3repE0EEENS1_30default_config_static_selectorELNS0_4arch9wavefront6targetE0EEEvS10_.kd
    .uniform_work_group_size: 1
    .uses_dynamic_stack: false
    .vgpr_count:     0
    .vgpr_spill_count: 0
    .wavefront_size: 32
    .workgroup_processor_mode: 1
  - .args:
      - .offset:         0
        .size:           64
        .value_kind:     by_value
    .group_segment_fixed_size: 0
    .kernarg_segment_align: 8
    .kernarg_segment_size: 64
    .language:       OpenCL C
    .language_version:
      - 2
      - 0
    .max_flat_workgroup_size: 256
    .name:           _ZN7rocprim17ROCPRIM_400000_NS6detail17trampoline_kernelINS0_14default_configENS1_21merge_config_selectorINS0_5tupleIJjjEEENS0_10empty_typeEEEZNS1_10merge_implIS3_NS0_12zip_iteratorINS5_IJN6thrust23THRUST_200600_302600_NS6detail15normal_iteratorINSC_10device_ptrIKjEEEESI_EEEEESK_NSA_INS5_IJNSE_INSF_IjEEEESM_EEEEEPS7_SP_SP_NSC_11hip_rocprim7__merge17predicate_wrapperIjjNSC_4lessIjEEEEEE10hipError_tPvRmT0_T1_T2_T3_T4_T5_mmT6_P12ihipStream_tbEUlT_E_NS1_11comp_targetILNS1_3genE3ELNS1_11target_archE908ELNS1_3gpuE7ELNS1_3repE0EEENS1_30default_config_static_selectorELNS0_4arch9wavefront6targetE0EEEvS10_
    .private_segment_fixed_size: 0
    .sgpr_count:     0
    .sgpr_spill_count: 0
    .symbol:         _ZN7rocprim17ROCPRIM_400000_NS6detail17trampoline_kernelINS0_14default_configENS1_21merge_config_selectorINS0_5tupleIJjjEEENS0_10empty_typeEEEZNS1_10merge_implIS3_NS0_12zip_iteratorINS5_IJN6thrust23THRUST_200600_302600_NS6detail15normal_iteratorINSC_10device_ptrIKjEEEESI_EEEEESK_NSA_INS5_IJNSE_INSF_IjEEEESM_EEEEEPS7_SP_SP_NSC_11hip_rocprim7__merge17predicate_wrapperIjjNSC_4lessIjEEEEEE10hipError_tPvRmT0_T1_T2_T3_T4_T5_mmT6_P12ihipStream_tbEUlT_E_NS1_11comp_targetILNS1_3genE3ELNS1_11target_archE908ELNS1_3gpuE7ELNS1_3repE0EEENS1_30default_config_static_selectorELNS0_4arch9wavefront6targetE0EEEvS10_.kd
    .uniform_work_group_size: 1
    .uses_dynamic_stack: false
    .vgpr_count:     0
    .vgpr_spill_count: 0
    .wavefront_size: 32
    .workgroup_processor_mode: 1
  - .args:
      - .offset:         0
        .size:           64
        .value_kind:     by_value
    .group_segment_fixed_size: 0
    .kernarg_segment_align: 8
    .kernarg_segment_size: 64
    .language:       OpenCL C
    .language_version:
      - 2
      - 0
    .max_flat_workgroup_size: 256
    .name:           _ZN7rocprim17ROCPRIM_400000_NS6detail17trampoline_kernelINS0_14default_configENS1_21merge_config_selectorINS0_5tupleIJjjEEENS0_10empty_typeEEEZNS1_10merge_implIS3_NS0_12zip_iteratorINS5_IJN6thrust23THRUST_200600_302600_NS6detail15normal_iteratorINSC_10device_ptrIKjEEEESI_EEEEESK_NSA_INS5_IJNSE_INSF_IjEEEESM_EEEEEPS7_SP_SP_NSC_11hip_rocprim7__merge17predicate_wrapperIjjNSC_4lessIjEEEEEE10hipError_tPvRmT0_T1_T2_T3_T4_T5_mmT6_P12ihipStream_tbEUlT_E_NS1_11comp_targetILNS1_3genE2ELNS1_11target_archE906ELNS1_3gpuE6ELNS1_3repE0EEENS1_30default_config_static_selectorELNS0_4arch9wavefront6targetE0EEEvS10_
    .private_segment_fixed_size: 0
    .sgpr_count:     0
    .sgpr_spill_count: 0
    .symbol:         _ZN7rocprim17ROCPRIM_400000_NS6detail17trampoline_kernelINS0_14default_configENS1_21merge_config_selectorINS0_5tupleIJjjEEENS0_10empty_typeEEEZNS1_10merge_implIS3_NS0_12zip_iteratorINS5_IJN6thrust23THRUST_200600_302600_NS6detail15normal_iteratorINSC_10device_ptrIKjEEEESI_EEEEESK_NSA_INS5_IJNSE_INSF_IjEEEESM_EEEEEPS7_SP_SP_NSC_11hip_rocprim7__merge17predicate_wrapperIjjNSC_4lessIjEEEEEE10hipError_tPvRmT0_T1_T2_T3_T4_T5_mmT6_P12ihipStream_tbEUlT_E_NS1_11comp_targetILNS1_3genE2ELNS1_11target_archE906ELNS1_3gpuE6ELNS1_3repE0EEENS1_30default_config_static_selectorELNS0_4arch9wavefront6targetE0EEEvS10_.kd
    .uniform_work_group_size: 1
    .uses_dynamic_stack: false
    .vgpr_count:     0
    .vgpr_spill_count: 0
    .wavefront_size: 32
    .workgroup_processor_mode: 1
  - .args:
      - .offset:         0
        .size:           64
        .value_kind:     by_value
    .group_segment_fixed_size: 0
    .kernarg_segment_align: 8
    .kernarg_segment_size: 64
    .language:       OpenCL C
    .language_version:
      - 2
      - 0
    .max_flat_workgroup_size: 512
    .name:           _ZN7rocprim17ROCPRIM_400000_NS6detail17trampoline_kernelINS0_14default_configENS1_21merge_config_selectorINS0_5tupleIJjjEEENS0_10empty_typeEEEZNS1_10merge_implIS3_NS0_12zip_iteratorINS5_IJN6thrust23THRUST_200600_302600_NS6detail15normal_iteratorINSC_10device_ptrIKjEEEESI_EEEEESK_NSA_INS5_IJNSE_INSF_IjEEEESM_EEEEEPS7_SP_SP_NSC_11hip_rocprim7__merge17predicate_wrapperIjjNSC_4lessIjEEEEEE10hipError_tPvRmT0_T1_T2_T3_T4_T5_mmT6_P12ihipStream_tbEUlT_E_NS1_11comp_targetILNS1_3genE10ELNS1_11target_archE1201ELNS1_3gpuE5ELNS1_3repE0EEENS1_30default_config_static_selectorELNS0_4arch9wavefront6targetE0EEEvS10_
    .private_segment_fixed_size: 0
    .sgpr_count:     0
    .sgpr_spill_count: 0
    .symbol:         _ZN7rocprim17ROCPRIM_400000_NS6detail17trampoline_kernelINS0_14default_configENS1_21merge_config_selectorINS0_5tupleIJjjEEENS0_10empty_typeEEEZNS1_10merge_implIS3_NS0_12zip_iteratorINS5_IJN6thrust23THRUST_200600_302600_NS6detail15normal_iteratorINSC_10device_ptrIKjEEEESI_EEEEESK_NSA_INS5_IJNSE_INSF_IjEEEESM_EEEEEPS7_SP_SP_NSC_11hip_rocprim7__merge17predicate_wrapperIjjNSC_4lessIjEEEEEE10hipError_tPvRmT0_T1_T2_T3_T4_T5_mmT6_P12ihipStream_tbEUlT_E_NS1_11comp_targetILNS1_3genE10ELNS1_11target_archE1201ELNS1_3gpuE5ELNS1_3repE0EEENS1_30default_config_static_selectorELNS0_4arch9wavefront6targetE0EEEvS10_.kd
    .uniform_work_group_size: 1
    .uses_dynamic_stack: false
    .vgpr_count:     0
    .vgpr_spill_count: 0
    .wavefront_size: 32
    .workgroup_processor_mode: 1
  - .args:
      - .offset:         0
        .size:           64
        .value_kind:     by_value
    .group_segment_fixed_size: 0
    .kernarg_segment_align: 8
    .kernarg_segment_size: 64
    .language:       OpenCL C
    .language_version:
      - 2
      - 0
    .max_flat_workgroup_size: 1024
    .name:           _ZN7rocprim17ROCPRIM_400000_NS6detail17trampoline_kernelINS0_14default_configENS1_21merge_config_selectorINS0_5tupleIJjjEEENS0_10empty_typeEEEZNS1_10merge_implIS3_NS0_12zip_iteratorINS5_IJN6thrust23THRUST_200600_302600_NS6detail15normal_iteratorINSC_10device_ptrIKjEEEESI_EEEEESK_NSA_INS5_IJNSE_INSF_IjEEEESM_EEEEEPS7_SP_SP_NSC_11hip_rocprim7__merge17predicate_wrapperIjjNSC_4lessIjEEEEEE10hipError_tPvRmT0_T1_T2_T3_T4_T5_mmT6_P12ihipStream_tbEUlT_E_NS1_11comp_targetILNS1_3genE10ELNS1_11target_archE1200ELNS1_3gpuE4ELNS1_3repE0EEENS1_30default_config_static_selectorELNS0_4arch9wavefront6targetE0EEEvS10_
    .private_segment_fixed_size: 0
    .sgpr_count:     0
    .sgpr_spill_count: 0
    .symbol:         _ZN7rocprim17ROCPRIM_400000_NS6detail17trampoline_kernelINS0_14default_configENS1_21merge_config_selectorINS0_5tupleIJjjEEENS0_10empty_typeEEEZNS1_10merge_implIS3_NS0_12zip_iteratorINS5_IJN6thrust23THRUST_200600_302600_NS6detail15normal_iteratorINSC_10device_ptrIKjEEEESI_EEEEESK_NSA_INS5_IJNSE_INSF_IjEEEESM_EEEEEPS7_SP_SP_NSC_11hip_rocprim7__merge17predicate_wrapperIjjNSC_4lessIjEEEEEE10hipError_tPvRmT0_T1_T2_T3_T4_T5_mmT6_P12ihipStream_tbEUlT_E_NS1_11comp_targetILNS1_3genE10ELNS1_11target_archE1200ELNS1_3gpuE4ELNS1_3repE0EEENS1_30default_config_static_selectorELNS0_4arch9wavefront6targetE0EEEvS10_.kd
    .uniform_work_group_size: 1
    .uses_dynamic_stack: false
    .vgpr_count:     0
    .vgpr_spill_count: 0
    .wavefront_size: 32
    .workgroup_processor_mode: 1
  - .args:
      - .offset:         0
        .size:           64
        .value_kind:     by_value
    .group_segment_fixed_size: 0
    .kernarg_segment_align: 8
    .kernarg_segment_size: 64
    .language:       OpenCL C
    .language_version:
      - 2
      - 0
    .max_flat_workgroup_size: 1024
    .name:           _ZN7rocprim17ROCPRIM_400000_NS6detail17trampoline_kernelINS0_14default_configENS1_21merge_config_selectorINS0_5tupleIJjjEEENS0_10empty_typeEEEZNS1_10merge_implIS3_NS0_12zip_iteratorINS5_IJN6thrust23THRUST_200600_302600_NS6detail15normal_iteratorINSC_10device_ptrIKjEEEESI_EEEEESK_NSA_INS5_IJNSE_INSF_IjEEEESM_EEEEEPS7_SP_SP_NSC_11hip_rocprim7__merge17predicate_wrapperIjjNSC_4lessIjEEEEEE10hipError_tPvRmT0_T1_T2_T3_T4_T5_mmT6_P12ihipStream_tbEUlT_E_NS1_11comp_targetILNS1_3genE9ELNS1_11target_archE1100ELNS1_3gpuE3ELNS1_3repE0EEENS1_30default_config_static_selectorELNS0_4arch9wavefront6targetE0EEEvS10_
    .private_segment_fixed_size: 0
    .sgpr_count:     0
    .sgpr_spill_count: 0
    .symbol:         _ZN7rocprim17ROCPRIM_400000_NS6detail17trampoline_kernelINS0_14default_configENS1_21merge_config_selectorINS0_5tupleIJjjEEENS0_10empty_typeEEEZNS1_10merge_implIS3_NS0_12zip_iteratorINS5_IJN6thrust23THRUST_200600_302600_NS6detail15normal_iteratorINSC_10device_ptrIKjEEEESI_EEEEESK_NSA_INS5_IJNSE_INSF_IjEEEESM_EEEEEPS7_SP_SP_NSC_11hip_rocprim7__merge17predicate_wrapperIjjNSC_4lessIjEEEEEE10hipError_tPvRmT0_T1_T2_T3_T4_T5_mmT6_P12ihipStream_tbEUlT_E_NS1_11comp_targetILNS1_3genE9ELNS1_11target_archE1100ELNS1_3gpuE3ELNS1_3repE0EEENS1_30default_config_static_selectorELNS0_4arch9wavefront6targetE0EEEvS10_.kd
    .uniform_work_group_size: 1
    .uses_dynamic_stack: false
    .vgpr_count:     0
    .vgpr_spill_count: 0
    .wavefront_size: 32
    .workgroup_processor_mode: 1
  - .args:
      - .offset:         0
        .size:           64
        .value_kind:     by_value
      - .offset:         64
        .size:           4
        .value_kind:     hidden_block_count_x
      - .offset:         68
        .size:           4
        .value_kind:     hidden_block_count_y
      - .offset:         72
        .size:           4
        .value_kind:     hidden_block_count_z
      - .offset:         76
        .size:           2
        .value_kind:     hidden_group_size_x
      - .offset:         78
        .size:           2
        .value_kind:     hidden_group_size_y
      - .offset:         80
        .size:           2
        .value_kind:     hidden_group_size_z
      - .offset:         82
        .size:           2
        .value_kind:     hidden_remainder_x
      - .offset:         84
        .size:           2
        .value_kind:     hidden_remainder_y
      - .offset:         86
        .size:           2
        .value_kind:     hidden_remainder_z
      - .offset:         104
        .size:           8
        .value_kind:     hidden_global_offset_x
      - .offset:         112
        .size:           8
        .value_kind:     hidden_global_offset_y
      - .offset:         120
        .size:           8
        .value_kind:     hidden_global_offset_z
      - .offset:         128
        .size:           2
        .value_kind:     hidden_grid_dims
    .group_segment_fixed_size: 0
    .kernarg_segment_align: 8
    .kernarg_segment_size: 320
    .language:       OpenCL C
    .language_version:
      - 2
      - 0
    .max_flat_workgroup_size: 256
    .name:           _ZN7rocprim17ROCPRIM_400000_NS6detail17trampoline_kernelINS0_14default_configENS1_21merge_config_selectorINS0_5tupleIJjjEEENS0_10empty_typeEEEZNS1_10merge_implIS3_NS0_12zip_iteratorINS5_IJN6thrust23THRUST_200600_302600_NS6detail15normal_iteratorINSC_10device_ptrIKjEEEESI_EEEEESK_NSA_INS5_IJNSE_INSF_IjEEEESM_EEEEEPS7_SP_SP_NSC_11hip_rocprim7__merge17predicate_wrapperIjjNSC_4lessIjEEEEEE10hipError_tPvRmT0_T1_T2_T3_T4_T5_mmT6_P12ihipStream_tbEUlT_E_NS1_11comp_targetILNS1_3genE8ELNS1_11target_archE1030ELNS1_3gpuE2ELNS1_3repE0EEENS1_30default_config_static_selectorELNS0_4arch9wavefront6targetE0EEEvS10_
    .private_segment_fixed_size: 0
    .sgpr_count:     18
    .sgpr_spill_count: 0
    .symbol:         _ZN7rocprim17ROCPRIM_400000_NS6detail17trampoline_kernelINS0_14default_configENS1_21merge_config_selectorINS0_5tupleIJjjEEENS0_10empty_typeEEEZNS1_10merge_implIS3_NS0_12zip_iteratorINS5_IJN6thrust23THRUST_200600_302600_NS6detail15normal_iteratorINSC_10device_ptrIKjEEEESI_EEEEESK_NSA_INS5_IJNSE_INSF_IjEEEESM_EEEEEPS7_SP_SP_NSC_11hip_rocprim7__merge17predicate_wrapperIjjNSC_4lessIjEEEEEE10hipError_tPvRmT0_T1_T2_T3_T4_T5_mmT6_P12ihipStream_tbEUlT_E_NS1_11comp_targetILNS1_3genE8ELNS1_11target_archE1030ELNS1_3gpuE2ELNS1_3repE0EEENS1_30default_config_static_selectorELNS0_4arch9wavefront6targetE0EEEvS10_.kd
    .uniform_work_group_size: 1
    .uses_dynamic_stack: false
    .vgpr_count:     13
    .vgpr_spill_count: 0
    .wavefront_size: 32
    .workgroup_processor_mode: 1
  - .args:
      - .offset:         0
        .size:           112
        .value_kind:     by_value
    .group_segment_fixed_size: 0
    .kernarg_segment_align: 8
    .kernarg_segment_size: 112
    .language:       OpenCL C
    .language_version:
      - 2
      - 0
    .max_flat_workgroup_size: 256
    .name:           _ZN7rocprim17ROCPRIM_400000_NS6detail17trampoline_kernelINS0_14default_configENS1_21merge_config_selectorINS0_5tupleIJjjEEENS0_10empty_typeEEEZNS1_10merge_implIS3_NS0_12zip_iteratorINS5_IJN6thrust23THRUST_200600_302600_NS6detail15normal_iteratorINSC_10device_ptrIKjEEEESI_EEEEESK_NSA_INS5_IJNSE_INSF_IjEEEESM_EEEEEPS7_SP_SP_NSC_11hip_rocprim7__merge17predicate_wrapperIjjNSC_4lessIjEEEEEE10hipError_tPvRmT0_T1_T2_T3_T4_T5_mmT6_P12ihipStream_tbEUlT_E0_NS1_11comp_targetILNS1_3genE0ELNS1_11target_archE4294967295ELNS1_3gpuE0ELNS1_3repE0EEENS1_30default_config_static_selectorELNS0_4arch9wavefront6targetE0EEEvS10_
    .private_segment_fixed_size: 0
    .sgpr_count:     0
    .sgpr_spill_count: 0
    .symbol:         _ZN7rocprim17ROCPRIM_400000_NS6detail17trampoline_kernelINS0_14default_configENS1_21merge_config_selectorINS0_5tupleIJjjEEENS0_10empty_typeEEEZNS1_10merge_implIS3_NS0_12zip_iteratorINS5_IJN6thrust23THRUST_200600_302600_NS6detail15normal_iteratorINSC_10device_ptrIKjEEEESI_EEEEESK_NSA_INS5_IJNSE_INSF_IjEEEESM_EEEEEPS7_SP_SP_NSC_11hip_rocprim7__merge17predicate_wrapperIjjNSC_4lessIjEEEEEE10hipError_tPvRmT0_T1_T2_T3_T4_T5_mmT6_P12ihipStream_tbEUlT_E0_NS1_11comp_targetILNS1_3genE0ELNS1_11target_archE4294967295ELNS1_3gpuE0ELNS1_3repE0EEENS1_30default_config_static_selectorELNS0_4arch9wavefront6targetE0EEEvS10_.kd
    .uniform_work_group_size: 1
    .uses_dynamic_stack: false
    .vgpr_count:     0
    .vgpr_spill_count: 0
    .wavefront_size: 32
    .workgroup_processor_mode: 1
  - .args:
      - .offset:         0
        .size:           112
        .value_kind:     by_value
    .group_segment_fixed_size: 0
    .kernarg_segment_align: 8
    .kernarg_segment_size: 112
    .language:       OpenCL C
    .language_version:
      - 2
      - 0
    .max_flat_workgroup_size: 256
    .name:           _ZN7rocprim17ROCPRIM_400000_NS6detail17trampoline_kernelINS0_14default_configENS1_21merge_config_selectorINS0_5tupleIJjjEEENS0_10empty_typeEEEZNS1_10merge_implIS3_NS0_12zip_iteratorINS5_IJN6thrust23THRUST_200600_302600_NS6detail15normal_iteratorINSC_10device_ptrIKjEEEESI_EEEEESK_NSA_INS5_IJNSE_INSF_IjEEEESM_EEEEEPS7_SP_SP_NSC_11hip_rocprim7__merge17predicate_wrapperIjjNSC_4lessIjEEEEEE10hipError_tPvRmT0_T1_T2_T3_T4_T5_mmT6_P12ihipStream_tbEUlT_E0_NS1_11comp_targetILNS1_3genE5ELNS1_11target_archE942ELNS1_3gpuE9ELNS1_3repE0EEENS1_30default_config_static_selectorELNS0_4arch9wavefront6targetE0EEEvS10_
    .private_segment_fixed_size: 0
    .sgpr_count:     0
    .sgpr_spill_count: 0
    .symbol:         _ZN7rocprim17ROCPRIM_400000_NS6detail17trampoline_kernelINS0_14default_configENS1_21merge_config_selectorINS0_5tupleIJjjEEENS0_10empty_typeEEEZNS1_10merge_implIS3_NS0_12zip_iteratorINS5_IJN6thrust23THRUST_200600_302600_NS6detail15normal_iteratorINSC_10device_ptrIKjEEEESI_EEEEESK_NSA_INS5_IJNSE_INSF_IjEEEESM_EEEEEPS7_SP_SP_NSC_11hip_rocprim7__merge17predicate_wrapperIjjNSC_4lessIjEEEEEE10hipError_tPvRmT0_T1_T2_T3_T4_T5_mmT6_P12ihipStream_tbEUlT_E0_NS1_11comp_targetILNS1_3genE5ELNS1_11target_archE942ELNS1_3gpuE9ELNS1_3repE0EEENS1_30default_config_static_selectorELNS0_4arch9wavefront6targetE0EEEvS10_.kd
    .uniform_work_group_size: 1
    .uses_dynamic_stack: false
    .vgpr_count:     0
    .vgpr_spill_count: 0
    .wavefront_size: 32
    .workgroup_processor_mode: 1
  - .args:
      - .offset:         0
        .size:           112
        .value_kind:     by_value
    .group_segment_fixed_size: 0
    .kernarg_segment_align: 8
    .kernarg_segment_size: 112
    .language:       OpenCL C
    .language_version:
      - 2
      - 0
    .max_flat_workgroup_size: 256
    .name:           _ZN7rocprim17ROCPRIM_400000_NS6detail17trampoline_kernelINS0_14default_configENS1_21merge_config_selectorINS0_5tupleIJjjEEENS0_10empty_typeEEEZNS1_10merge_implIS3_NS0_12zip_iteratorINS5_IJN6thrust23THRUST_200600_302600_NS6detail15normal_iteratorINSC_10device_ptrIKjEEEESI_EEEEESK_NSA_INS5_IJNSE_INSF_IjEEEESM_EEEEEPS7_SP_SP_NSC_11hip_rocprim7__merge17predicate_wrapperIjjNSC_4lessIjEEEEEE10hipError_tPvRmT0_T1_T2_T3_T4_T5_mmT6_P12ihipStream_tbEUlT_E0_NS1_11comp_targetILNS1_3genE4ELNS1_11target_archE910ELNS1_3gpuE8ELNS1_3repE0EEENS1_30default_config_static_selectorELNS0_4arch9wavefront6targetE0EEEvS10_
    .private_segment_fixed_size: 0
    .sgpr_count:     0
    .sgpr_spill_count: 0
    .symbol:         _ZN7rocprim17ROCPRIM_400000_NS6detail17trampoline_kernelINS0_14default_configENS1_21merge_config_selectorINS0_5tupleIJjjEEENS0_10empty_typeEEEZNS1_10merge_implIS3_NS0_12zip_iteratorINS5_IJN6thrust23THRUST_200600_302600_NS6detail15normal_iteratorINSC_10device_ptrIKjEEEESI_EEEEESK_NSA_INS5_IJNSE_INSF_IjEEEESM_EEEEEPS7_SP_SP_NSC_11hip_rocprim7__merge17predicate_wrapperIjjNSC_4lessIjEEEEEE10hipError_tPvRmT0_T1_T2_T3_T4_T5_mmT6_P12ihipStream_tbEUlT_E0_NS1_11comp_targetILNS1_3genE4ELNS1_11target_archE910ELNS1_3gpuE8ELNS1_3repE0EEENS1_30default_config_static_selectorELNS0_4arch9wavefront6targetE0EEEvS10_.kd
    .uniform_work_group_size: 1
    .uses_dynamic_stack: false
    .vgpr_count:     0
    .vgpr_spill_count: 0
    .wavefront_size: 32
    .workgroup_processor_mode: 1
  - .args:
      - .offset:         0
        .size:           112
        .value_kind:     by_value
    .group_segment_fixed_size: 0
    .kernarg_segment_align: 8
    .kernarg_segment_size: 112
    .language:       OpenCL C
    .language_version:
      - 2
      - 0
    .max_flat_workgroup_size: 256
    .name:           _ZN7rocprim17ROCPRIM_400000_NS6detail17trampoline_kernelINS0_14default_configENS1_21merge_config_selectorINS0_5tupleIJjjEEENS0_10empty_typeEEEZNS1_10merge_implIS3_NS0_12zip_iteratorINS5_IJN6thrust23THRUST_200600_302600_NS6detail15normal_iteratorINSC_10device_ptrIKjEEEESI_EEEEESK_NSA_INS5_IJNSE_INSF_IjEEEESM_EEEEEPS7_SP_SP_NSC_11hip_rocprim7__merge17predicate_wrapperIjjNSC_4lessIjEEEEEE10hipError_tPvRmT0_T1_T2_T3_T4_T5_mmT6_P12ihipStream_tbEUlT_E0_NS1_11comp_targetILNS1_3genE3ELNS1_11target_archE908ELNS1_3gpuE7ELNS1_3repE0EEENS1_30default_config_static_selectorELNS0_4arch9wavefront6targetE0EEEvS10_
    .private_segment_fixed_size: 0
    .sgpr_count:     0
    .sgpr_spill_count: 0
    .symbol:         _ZN7rocprim17ROCPRIM_400000_NS6detail17trampoline_kernelINS0_14default_configENS1_21merge_config_selectorINS0_5tupleIJjjEEENS0_10empty_typeEEEZNS1_10merge_implIS3_NS0_12zip_iteratorINS5_IJN6thrust23THRUST_200600_302600_NS6detail15normal_iteratorINSC_10device_ptrIKjEEEESI_EEEEESK_NSA_INS5_IJNSE_INSF_IjEEEESM_EEEEEPS7_SP_SP_NSC_11hip_rocprim7__merge17predicate_wrapperIjjNSC_4lessIjEEEEEE10hipError_tPvRmT0_T1_T2_T3_T4_T5_mmT6_P12ihipStream_tbEUlT_E0_NS1_11comp_targetILNS1_3genE3ELNS1_11target_archE908ELNS1_3gpuE7ELNS1_3repE0EEENS1_30default_config_static_selectorELNS0_4arch9wavefront6targetE0EEEvS10_.kd
    .uniform_work_group_size: 1
    .uses_dynamic_stack: false
    .vgpr_count:     0
    .vgpr_spill_count: 0
    .wavefront_size: 32
    .workgroup_processor_mode: 1
  - .args:
      - .offset:         0
        .size:           112
        .value_kind:     by_value
    .group_segment_fixed_size: 0
    .kernarg_segment_align: 8
    .kernarg_segment_size: 112
    .language:       OpenCL C
    .language_version:
      - 2
      - 0
    .max_flat_workgroup_size: 256
    .name:           _ZN7rocprim17ROCPRIM_400000_NS6detail17trampoline_kernelINS0_14default_configENS1_21merge_config_selectorINS0_5tupleIJjjEEENS0_10empty_typeEEEZNS1_10merge_implIS3_NS0_12zip_iteratorINS5_IJN6thrust23THRUST_200600_302600_NS6detail15normal_iteratorINSC_10device_ptrIKjEEEESI_EEEEESK_NSA_INS5_IJNSE_INSF_IjEEEESM_EEEEEPS7_SP_SP_NSC_11hip_rocprim7__merge17predicate_wrapperIjjNSC_4lessIjEEEEEE10hipError_tPvRmT0_T1_T2_T3_T4_T5_mmT6_P12ihipStream_tbEUlT_E0_NS1_11comp_targetILNS1_3genE2ELNS1_11target_archE906ELNS1_3gpuE6ELNS1_3repE0EEENS1_30default_config_static_selectorELNS0_4arch9wavefront6targetE0EEEvS10_
    .private_segment_fixed_size: 0
    .sgpr_count:     0
    .sgpr_spill_count: 0
    .symbol:         _ZN7rocprim17ROCPRIM_400000_NS6detail17trampoline_kernelINS0_14default_configENS1_21merge_config_selectorINS0_5tupleIJjjEEENS0_10empty_typeEEEZNS1_10merge_implIS3_NS0_12zip_iteratorINS5_IJN6thrust23THRUST_200600_302600_NS6detail15normal_iteratorINSC_10device_ptrIKjEEEESI_EEEEESK_NSA_INS5_IJNSE_INSF_IjEEEESM_EEEEEPS7_SP_SP_NSC_11hip_rocprim7__merge17predicate_wrapperIjjNSC_4lessIjEEEEEE10hipError_tPvRmT0_T1_T2_T3_T4_T5_mmT6_P12ihipStream_tbEUlT_E0_NS1_11comp_targetILNS1_3genE2ELNS1_11target_archE906ELNS1_3gpuE6ELNS1_3repE0EEENS1_30default_config_static_selectorELNS0_4arch9wavefront6targetE0EEEvS10_.kd
    .uniform_work_group_size: 1
    .uses_dynamic_stack: false
    .vgpr_count:     0
    .vgpr_spill_count: 0
    .wavefront_size: 32
    .workgroup_processor_mode: 1
  - .args:
      - .offset:         0
        .size:           112
        .value_kind:     by_value
    .group_segment_fixed_size: 0
    .kernarg_segment_align: 8
    .kernarg_segment_size: 112
    .language:       OpenCL C
    .language_version:
      - 2
      - 0
    .max_flat_workgroup_size: 512
    .name:           _ZN7rocprim17ROCPRIM_400000_NS6detail17trampoline_kernelINS0_14default_configENS1_21merge_config_selectorINS0_5tupleIJjjEEENS0_10empty_typeEEEZNS1_10merge_implIS3_NS0_12zip_iteratorINS5_IJN6thrust23THRUST_200600_302600_NS6detail15normal_iteratorINSC_10device_ptrIKjEEEESI_EEEEESK_NSA_INS5_IJNSE_INSF_IjEEEESM_EEEEEPS7_SP_SP_NSC_11hip_rocprim7__merge17predicate_wrapperIjjNSC_4lessIjEEEEEE10hipError_tPvRmT0_T1_T2_T3_T4_T5_mmT6_P12ihipStream_tbEUlT_E0_NS1_11comp_targetILNS1_3genE10ELNS1_11target_archE1201ELNS1_3gpuE5ELNS1_3repE0EEENS1_30default_config_static_selectorELNS0_4arch9wavefront6targetE0EEEvS10_
    .private_segment_fixed_size: 0
    .sgpr_count:     0
    .sgpr_spill_count: 0
    .symbol:         _ZN7rocprim17ROCPRIM_400000_NS6detail17trampoline_kernelINS0_14default_configENS1_21merge_config_selectorINS0_5tupleIJjjEEENS0_10empty_typeEEEZNS1_10merge_implIS3_NS0_12zip_iteratorINS5_IJN6thrust23THRUST_200600_302600_NS6detail15normal_iteratorINSC_10device_ptrIKjEEEESI_EEEEESK_NSA_INS5_IJNSE_INSF_IjEEEESM_EEEEEPS7_SP_SP_NSC_11hip_rocprim7__merge17predicate_wrapperIjjNSC_4lessIjEEEEEE10hipError_tPvRmT0_T1_T2_T3_T4_T5_mmT6_P12ihipStream_tbEUlT_E0_NS1_11comp_targetILNS1_3genE10ELNS1_11target_archE1201ELNS1_3gpuE5ELNS1_3repE0EEENS1_30default_config_static_selectorELNS0_4arch9wavefront6targetE0EEEvS10_.kd
    .uniform_work_group_size: 1
    .uses_dynamic_stack: false
    .vgpr_count:     0
    .vgpr_spill_count: 0
    .wavefront_size: 32
    .workgroup_processor_mode: 1
  - .args:
      - .offset:         0
        .size:           112
        .value_kind:     by_value
    .group_segment_fixed_size: 0
    .kernarg_segment_align: 8
    .kernarg_segment_size: 112
    .language:       OpenCL C
    .language_version:
      - 2
      - 0
    .max_flat_workgroup_size: 1024
    .name:           _ZN7rocprim17ROCPRIM_400000_NS6detail17trampoline_kernelINS0_14default_configENS1_21merge_config_selectorINS0_5tupleIJjjEEENS0_10empty_typeEEEZNS1_10merge_implIS3_NS0_12zip_iteratorINS5_IJN6thrust23THRUST_200600_302600_NS6detail15normal_iteratorINSC_10device_ptrIKjEEEESI_EEEEESK_NSA_INS5_IJNSE_INSF_IjEEEESM_EEEEEPS7_SP_SP_NSC_11hip_rocprim7__merge17predicate_wrapperIjjNSC_4lessIjEEEEEE10hipError_tPvRmT0_T1_T2_T3_T4_T5_mmT6_P12ihipStream_tbEUlT_E0_NS1_11comp_targetILNS1_3genE10ELNS1_11target_archE1200ELNS1_3gpuE4ELNS1_3repE0EEENS1_30default_config_static_selectorELNS0_4arch9wavefront6targetE0EEEvS10_
    .private_segment_fixed_size: 0
    .sgpr_count:     0
    .sgpr_spill_count: 0
    .symbol:         _ZN7rocprim17ROCPRIM_400000_NS6detail17trampoline_kernelINS0_14default_configENS1_21merge_config_selectorINS0_5tupleIJjjEEENS0_10empty_typeEEEZNS1_10merge_implIS3_NS0_12zip_iteratorINS5_IJN6thrust23THRUST_200600_302600_NS6detail15normal_iteratorINSC_10device_ptrIKjEEEESI_EEEEESK_NSA_INS5_IJNSE_INSF_IjEEEESM_EEEEEPS7_SP_SP_NSC_11hip_rocprim7__merge17predicate_wrapperIjjNSC_4lessIjEEEEEE10hipError_tPvRmT0_T1_T2_T3_T4_T5_mmT6_P12ihipStream_tbEUlT_E0_NS1_11comp_targetILNS1_3genE10ELNS1_11target_archE1200ELNS1_3gpuE4ELNS1_3repE0EEENS1_30default_config_static_selectorELNS0_4arch9wavefront6targetE0EEEvS10_.kd
    .uniform_work_group_size: 1
    .uses_dynamic_stack: false
    .vgpr_count:     0
    .vgpr_spill_count: 0
    .wavefront_size: 32
    .workgroup_processor_mode: 1
  - .args:
      - .offset:         0
        .size:           112
        .value_kind:     by_value
    .group_segment_fixed_size: 0
    .kernarg_segment_align: 8
    .kernarg_segment_size: 112
    .language:       OpenCL C
    .language_version:
      - 2
      - 0
    .max_flat_workgroup_size: 1024
    .name:           _ZN7rocprim17ROCPRIM_400000_NS6detail17trampoline_kernelINS0_14default_configENS1_21merge_config_selectorINS0_5tupleIJjjEEENS0_10empty_typeEEEZNS1_10merge_implIS3_NS0_12zip_iteratorINS5_IJN6thrust23THRUST_200600_302600_NS6detail15normal_iteratorINSC_10device_ptrIKjEEEESI_EEEEESK_NSA_INS5_IJNSE_INSF_IjEEEESM_EEEEEPS7_SP_SP_NSC_11hip_rocprim7__merge17predicate_wrapperIjjNSC_4lessIjEEEEEE10hipError_tPvRmT0_T1_T2_T3_T4_T5_mmT6_P12ihipStream_tbEUlT_E0_NS1_11comp_targetILNS1_3genE9ELNS1_11target_archE1100ELNS1_3gpuE3ELNS1_3repE0EEENS1_30default_config_static_selectorELNS0_4arch9wavefront6targetE0EEEvS10_
    .private_segment_fixed_size: 0
    .sgpr_count:     0
    .sgpr_spill_count: 0
    .symbol:         _ZN7rocprim17ROCPRIM_400000_NS6detail17trampoline_kernelINS0_14default_configENS1_21merge_config_selectorINS0_5tupleIJjjEEENS0_10empty_typeEEEZNS1_10merge_implIS3_NS0_12zip_iteratorINS5_IJN6thrust23THRUST_200600_302600_NS6detail15normal_iteratorINSC_10device_ptrIKjEEEESI_EEEEESK_NSA_INS5_IJNSE_INSF_IjEEEESM_EEEEEPS7_SP_SP_NSC_11hip_rocprim7__merge17predicate_wrapperIjjNSC_4lessIjEEEEEE10hipError_tPvRmT0_T1_T2_T3_T4_T5_mmT6_P12ihipStream_tbEUlT_E0_NS1_11comp_targetILNS1_3genE9ELNS1_11target_archE1100ELNS1_3gpuE3ELNS1_3repE0EEENS1_30default_config_static_selectorELNS0_4arch9wavefront6targetE0EEEvS10_.kd
    .uniform_work_group_size: 1
    .uses_dynamic_stack: false
    .vgpr_count:     0
    .vgpr_spill_count: 0
    .wavefront_size: 32
    .workgroup_processor_mode: 1
  - .args:
      - .offset:         0
        .size:           112
        .value_kind:     by_value
    .group_segment_fixed_size: 33792
    .kernarg_segment_align: 8
    .kernarg_segment_size: 112
    .language:       OpenCL C
    .language_version:
      - 2
      - 0
    .max_flat_workgroup_size: 256
    .name:           _ZN7rocprim17ROCPRIM_400000_NS6detail17trampoline_kernelINS0_14default_configENS1_21merge_config_selectorINS0_5tupleIJjjEEENS0_10empty_typeEEEZNS1_10merge_implIS3_NS0_12zip_iteratorINS5_IJN6thrust23THRUST_200600_302600_NS6detail15normal_iteratorINSC_10device_ptrIKjEEEESI_EEEEESK_NSA_INS5_IJNSE_INSF_IjEEEESM_EEEEEPS7_SP_SP_NSC_11hip_rocprim7__merge17predicate_wrapperIjjNSC_4lessIjEEEEEE10hipError_tPvRmT0_T1_T2_T3_T4_T5_mmT6_P12ihipStream_tbEUlT_E0_NS1_11comp_targetILNS1_3genE8ELNS1_11target_archE1030ELNS1_3gpuE2ELNS1_3repE0EEENS1_30default_config_static_selectorELNS0_4arch9wavefront6targetE0EEEvS10_
    .private_segment_fixed_size: 0
    .sgpr_count:     30
    .sgpr_spill_count: 0
    .symbol:         _ZN7rocprim17ROCPRIM_400000_NS6detail17trampoline_kernelINS0_14default_configENS1_21merge_config_selectorINS0_5tupleIJjjEEENS0_10empty_typeEEEZNS1_10merge_implIS3_NS0_12zip_iteratorINS5_IJN6thrust23THRUST_200600_302600_NS6detail15normal_iteratorINSC_10device_ptrIKjEEEESI_EEEEESK_NSA_INS5_IJNSE_INSF_IjEEEESM_EEEEEPS7_SP_SP_NSC_11hip_rocprim7__merge17predicate_wrapperIjjNSC_4lessIjEEEEEE10hipError_tPvRmT0_T1_T2_T3_T4_T5_mmT6_P12ihipStream_tbEUlT_E0_NS1_11comp_targetILNS1_3genE8ELNS1_11target_archE1030ELNS1_3gpuE2ELNS1_3repE0EEENS1_30default_config_static_selectorELNS0_4arch9wavefront6targetE0EEEvS10_.kd
    .uniform_work_group_size: 1
    .uses_dynamic_stack: false
    .vgpr_count:     73
    .vgpr_spill_count: 0
    .wavefront_size: 32
    .workgroup_processor_mode: 1
  - .args:
      - .offset:         0
        .size:           104
        .value_kind:     by_value
    .group_segment_fixed_size: 0
    .kernarg_segment_align: 8
    .kernarg_segment_size: 104
    .language:       OpenCL C
    .language_version:
      - 2
      - 0
    .max_flat_workgroup_size: 128
    .name:           _ZN7rocprim17ROCPRIM_400000_NS6detail17trampoline_kernelINS0_14default_configENS1_22reduce_config_selectorIN6thrust23THRUST_200600_302600_NS5tupleIblNS6_9null_typeES8_S8_S8_S8_S8_S8_S8_EEEEZNS1_11reduce_implILb1ES3_NS6_12zip_iteratorINS7_INS6_11hip_rocprim26transform_input_iterator_tIbNSD_35transform_pair_of_input_iterators_tIbNS6_6detail15normal_iteratorINS6_10device_ptrIKjEEEESL_NS6_8equal_toIjEEEENSG_9not_fun_tINSD_8identityEEEEENSD_19counting_iterator_tIlEES8_S8_S8_S8_S8_S8_S8_S8_EEEEPS9_S9_NSD_9__find_if7functorIS9_EEEE10hipError_tPvRmT1_T2_T3_mT4_P12ihipStream_tbEUlT_E0_NS1_11comp_targetILNS1_3genE0ELNS1_11target_archE4294967295ELNS1_3gpuE0ELNS1_3repE0EEENS1_30default_config_static_selectorELNS0_4arch9wavefront6targetE0EEEvS14_
    .private_segment_fixed_size: 0
    .sgpr_count:     0
    .sgpr_spill_count: 0
    .symbol:         _ZN7rocprim17ROCPRIM_400000_NS6detail17trampoline_kernelINS0_14default_configENS1_22reduce_config_selectorIN6thrust23THRUST_200600_302600_NS5tupleIblNS6_9null_typeES8_S8_S8_S8_S8_S8_S8_EEEEZNS1_11reduce_implILb1ES3_NS6_12zip_iteratorINS7_INS6_11hip_rocprim26transform_input_iterator_tIbNSD_35transform_pair_of_input_iterators_tIbNS6_6detail15normal_iteratorINS6_10device_ptrIKjEEEESL_NS6_8equal_toIjEEEENSG_9not_fun_tINSD_8identityEEEEENSD_19counting_iterator_tIlEES8_S8_S8_S8_S8_S8_S8_S8_EEEEPS9_S9_NSD_9__find_if7functorIS9_EEEE10hipError_tPvRmT1_T2_T3_mT4_P12ihipStream_tbEUlT_E0_NS1_11comp_targetILNS1_3genE0ELNS1_11target_archE4294967295ELNS1_3gpuE0ELNS1_3repE0EEENS1_30default_config_static_selectorELNS0_4arch9wavefront6targetE0EEEvS14_.kd
    .uniform_work_group_size: 1
    .uses_dynamic_stack: false
    .vgpr_count:     0
    .vgpr_spill_count: 0
    .wavefront_size: 32
    .workgroup_processor_mode: 1
  - .args:
      - .offset:         0
        .size:           104
        .value_kind:     by_value
    .group_segment_fixed_size: 0
    .kernarg_segment_align: 8
    .kernarg_segment_size: 104
    .language:       OpenCL C
    .language_version:
      - 2
      - 0
    .max_flat_workgroup_size: 256
    .name:           _ZN7rocprim17ROCPRIM_400000_NS6detail17trampoline_kernelINS0_14default_configENS1_22reduce_config_selectorIN6thrust23THRUST_200600_302600_NS5tupleIblNS6_9null_typeES8_S8_S8_S8_S8_S8_S8_EEEEZNS1_11reduce_implILb1ES3_NS6_12zip_iteratorINS7_INS6_11hip_rocprim26transform_input_iterator_tIbNSD_35transform_pair_of_input_iterators_tIbNS6_6detail15normal_iteratorINS6_10device_ptrIKjEEEESL_NS6_8equal_toIjEEEENSG_9not_fun_tINSD_8identityEEEEENSD_19counting_iterator_tIlEES8_S8_S8_S8_S8_S8_S8_S8_EEEEPS9_S9_NSD_9__find_if7functorIS9_EEEE10hipError_tPvRmT1_T2_T3_mT4_P12ihipStream_tbEUlT_E0_NS1_11comp_targetILNS1_3genE5ELNS1_11target_archE942ELNS1_3gpuE9ELNS1_3repE0EEENS1_30default_config_static_selectorELNS0_4arch9wavefront6targetE0EEEvS14_
    .private_segment_fixed_size: 0
    .sgpr_count:     0
    .sgpr_spill_count: 0
    .symbol:         _ZN7rocprim17ROCPRIM_400000_NS6detail17trampoline_kernelINS0_14default_configENS1_22reduce_config_selectorIN6thrust23THRUST_200600_302600_NS5tupleIblNS6_9null_typeES8_S8_S8_S8_S8_S8_S8_EEEEZNS1_11reduce_implILb1ES3_NS6_12zip_iteratorINS7_INS6_11hip_rocprim26transform_input_iterator_tIbNSD_35transform_pair_of_input_iterators_tIbNS6_6detail15normal_iteratorINS6_10device_ptrIKjEEEESL_NS6_8equal_toIjEEEENSG_9not_fun_tINSD_8identityEEEEENSD_19counting_iterator_tIlEES8_S8_S8_S8_S8_S8_S8_S8_EEEEPS9_S9_NSD_9__find_if7functorIS9_EEEE10hipError_tPvRmT1_T2_T3_mT4_P12ihipStream_tbEUlT_E0_NS1_11comp_targetILNS1_3genE5ELNS1_11target_archE942ELNS1_3gpuE9ELNS1_3repE0EEENS1_30default_config_static_selectorELNS0_4arch9wavefront6targetE0EEEvS14_.kd
    .uniform_work_group_size: 1
    .uses_dynamic_stack: false
    .vgpr_count:     0
    .vgpr_spill_count: 0
    .wavefront_size: 32
    .workgroup_processor_mode: 1
  - .args:
      - .offset:         0
        .size:           104
        .value_kind:     by_value
    .group_segment_fixed_size: 0
    .kernarg_segment_align: 8
    .kernarg_segment_size: 104
    .language:       OpenCL C
    .language_version:
      - 2
      - 0
    .max_flat_workgroup_size: 256
    .name:           _ZN7rocprim17ROCPRIM_400000_NS6detail17trampoline_kernelINS0_14default_configENS1_22reduce_config_selectorIN6thrust23THRUST_200600_302600_NS5tupleIblNS6_9null_typeES8_S8_S8_S8_S8_S8_S8_EEEEZNS1_11reduce_implILb1ES3_NS6_12zip_iteratorINS7_INS6_11hip_rocprim26transform_input_iterator_tIbNSD_35transform_pair_of_input_iterators_tIbNS6_6detail15normal_iteratorINS6_10device_ptrIKjEEEESL_NS6_8equal_toIjEEEENSG_9not_fun_tINSD_8identityEEEEENSD_19counting_iterator_tIlEES8_S8_S8_S8_S8_S8_S8_S8_EEEEPS9_S9_NSD_9__find_if7functorIS9_EEEE10hipError_tPvRmT1_T2_T3_mT4_P12ihipStream_tbEUlT_E0_NS1_11comp_targetILNS1_3genE4ELNS1_11target_archE910ELNS1_3gpuE8ELNS1_3repE0EEENS1_30default_config_static_selectorELNS0_4arch9wavefront6targetE0EEEvS14_
    .private_segment_fixed_size: 0
    .sgpr_count:     0
    .sgpr_spill_count: 0
    .symbol:         _ZN7rocprim17ROCPRIM_400000_NS6detail17trampoline_kernelINS0_14default_configENS1_22reduce_config_selectorIN6thrust23THRUST_200600_302600_NS5tupleIblNS6_9null_typeES8_S8_S8_S8_S8_S8_S8_EEEEZNS1_11reduce_implILb1ES3_NS6_12zip_iteratorINS7_INS6_11hip_rocprim26transform_input_iterator_tIbNSD_35transform_pair_of_input_iterators_tIbNS6_6detail15normal_iteratorINS6_10device_ptrIKjEEEESL_NS6_8equal_toIjEEEENSG_9not_fun_tINSD_8identityEEEEENSD_19counting_iterator_tIlEES8_S8_S8_S8_S8_S8_S8_S8_EEEEPS9_S9_NSD_9__find_if7functorIS9_EEEE10hipError_tPvRmT1_T2_T3_mT4_P12ihipStream_tbEUlT_E0_NS1_11comp_targetILNS1_3genE4ELNS1_11target_archE910ELNS1_3gpuE8ELNS1_3repE0EEENS1_30default_config_static_selectorELNS0_4arch9wavefront6targetE0EEEvS14_.kd
    .uniform_work_group_size: 1
    .uses_dynamic_stack: false
    .vgpr_count:     0
    .vgpr_spill_count: 0
    .wavefront_size: 32
    .workgroup_processor_mode: 1
  - .args:
      - .offset:         0
        .size:           104
        .value_kind:     by_value
    .group_segment_fixed_size: 0
    .kernarg_segment_align: 8
    .kernarg_segment_size: 104
    .language:       OpenCL C
    .language_version:
      - 2
      - 0
    .max_flat_workgroup_size: 128
    .name:           _ZN7rocprim17ROCPRIM_400000_NS6detail17trampoline_kernelINS0_14default_configENS1_22reduce_config_selectorIN6thrust23THRUST_200600_302600_NS5tupleIblNS6_9null_typeES8_S8_S8_S8_S8_S8_S8_EEEEZNS1_11reduce_implILb1ES3_NS6_12zip_iteratorINS7_INS6_11hip_rocprim26transform_input_iterator_tIbNSD_35transform_pair_of_input_iterators_tIbNS6_6detail15normal_iteratorINS6_10device_ptrIKjEEEESL_NS6_8equal_toIjEEEENSG_9not_fun_tINSD_8identityEEEEENSD_19counting_iterator_tIlEES8_S8_S8_S8_S8_S8_S8_S8_EEEEPS9_S9_NSD_9__find_if7functorIS9_EEEE10hipError_tPvRmT1_T2_T3_mT4_P12ihipStream_tbEUlT_E0_NS1_11comp_targetILNS1_3genE3ELNS1_11target_archE908ELNS1_3gpuE7ELNS1_3repE0EEENS1_30default_config_static_selectorELNS0_4arch9wavefront6targetE0EEEvS14_
    .private_segment_fixed_size: 0
    .sgpr_count:     0
    .sgpr_spill_count: 0
    .symbol:         _ZN7rocprim17ROCPRIM_400000_NS6detail17trampoline_kernelINS0_14default_configENS1_22reduce_config_selectorIN6thrust23THRUST_200600_302600_NS5tupleIblNS6_9null_typeES8_S8_S8_S8_S8_S8_S8_EEEEZNS1_11reduce_implILb1ES3_NS6_12zip_iteratorINS7_INS6_11hip_rocprim26transform_input_iterator_tIbNSD_35transform_pair_of_input_iterators_tIbNS6_6detail15normal_iteratorINS6_10device_ptrIKjEEEESL_NS6_8equal_toIjEEEENSG_9not_fun_tINSD_8identityEEEEENSD_19counting_iterator_tIlEES8_S8_S8_S8_S8_S8_S8_S8_EEEEPS9_S9_NSD_9__find_if7functorIS9_EEEE10hipError_tPvRmT1_T2_T3_mT4_P12ihipStream_tbEUlT_E0_NS1_11comp_targetILNS1_3genE3ELNS1_11target_archE908ELNS1_3gpuE7ELNS1_3repE0EEENS1_30default_config_static_selectorELNS0_4arch9wavefront6targetE0EEEvS14_.kd
    .uniform_work_group_size: 1
    .uses_dynamic_stack: false
    .vgpr_count:     0
    .vgpr_spill_count: 0
    .wavefront_size: 32
    .workgroup_processor_mode: 1
  - .args:
      - .offset:         0
        .size:           104
        .value_kind:     by_value
    .group_segment_fixed_size: 0
    .kernarg_segment_align: 8
    .kernarg_segment_size: 104
    .language:       OpenCL C
    .language_version:
      - 2
      - 0
    .max_flat_workgroup_size: 128
    .name:           _ZN7rocprim17ROCPRIM_400000_NS6detail17trampoline_kernelINS0_14default_configENS1_22reduce_config_selectorIN6thrust23THRUST_200600_302600_NS5tupleIblNS6_9null_typeES8_S8_S8_S8_S8_S8_S8_EEEEZNS1_11reduce_implILb1ES3_NS6_12zip_iteratorINS7_INS6_11hip_rocprim26transform_input_iterator_tIbNSD_35transform_pair_of_input_iterators_tIbNS6_6detail15normal_iteratorINS6_10device_ptrIKjEEEESL_NS6_8equal_toIjEEEENSG_9not_fun_tINSD_8identityEEEEENSD_19counting_iterator_tIlEES8_S8_S8_S8_S8_S8_S8_S8_EEEEPS9_S9_NSD_9__find_if7functorIS9_EEEE10hipError_tPvRmT1_T2_T3_mT4_P12ihipStream_tbEUlT_E0_NS1_11comp_targetILNS1_3genE2ELNS1_11target_archE906ELNS1_3gpuE6ELNS1_3repE0EEENS1_30default_config_static_selectorELNS0_4arch9wavefront6targetE0EEEvS14_
    .private_segment_fixed_size: 0
    .sgpr_count:     0
    .sgpr_spill_count: 0
    .symbol:         _ZN7rocprim17ROCPRIM_400000_NS6detail17trampoline_kernelINS0_14default_configENS1_22reduce_config_selectorIN6thrust23THRUST_200600_302600_NS5tupleIblNS6_9null_typeES8_S8_S8_S8_S8_S8_S8_EEEEZNS1_11reduce_implILb1ES3_NS6_12zip_iteratorINS7_INS6_11hip_rocprim26transform_input_iterator_tIbNSD_35transform_pair_of_input_iterators_tIbNS6_6detail15normal_iteratorINS6_10device_ptrIKjEEEESL_NS6_8equal_toIjEEEENSG_9not_fun_tINSD_8identityEEEEENSD_19counting_iterator_tIlEES8_S8_S8_S8_S8_S8_S8_S8_EEEEPS9_S9_NSD_9__find_if7functorIS9_EEEE10hipError_tPvRmT1_T2_T3_mT4_P12ihipStream_tbEUlT_E0_NS1_11comp_targetILNS1_3genE2ELNS1_11target_archE906ELNS1_3gpuE6ELNS1_3repE0EEENS1_30default_config_static_selectorELNS0_4arch9wavefront6targetE0EEEvS14_.kd
    .uniform_work_group_size: 1
    .uses_dynamic_stack: false
    .vgpr_count:     0
    .vgpr_spill_count: 0
    .wavefront_size: 32
    .workgroup_processor_mode: 1
  - .args:
      - .offset:         0
        .size:           104
        .value_kind:     by_value
    .group_segment_fixed_size: 0
    .kernarg_segment_align: 8
    .kernarg_segment_size: 104
    .language:       OpenCL C
    .language_version:
      - 2
      - 0
    .max_flat_workgroup_size: 256
    .name:           _ZN7rocprim17ROCPRIM_400000_NS6detail17trampoline_kernelINS0_14default_configENS1_22reduce_config_selectorIN6thrust23THRUST_200600_302600_NS5tupleIblNS6_9null_typeES8_S8_S8_S8_S8_S8_S8_EEEEZNS1_11reduce_implILb1ES3_NS6_12zip_iteratorINS7_INS6_11hip_rocprim26transform_input_iterator_tIbNSD_35transform_pair_of_input_iterators_tIbNS6_6detail15normal_iteratorINS6_10device_ptrIKjEEEESL_NS6_8equal_toIjEEEENSG_9not_fun_tINSD_8identityEEEEENSD_19counting_iterator_tIlEES8_S8_S8_S8_S8_S8_S8_S8_EEEEPS9_S9_NSD_9__find_if7functorIS9_EEEE10hipError_tPvRmT1_T2_T3_mT4_P12ihipStream_tbEUlT_E0_NS1_11comp_targetILNS1_3genE10ELNS1_11target_archE1201ELNS1_3gpuE5ELNS1_3repE0EEENS1_30default_config_static_selectorELNS0_4arch9wavefront6targetE0EEEvS14_
    .private_segment_fixed_size: 0
    .sgpr_count:     0
    .sgpr_spill_count: 0
    .symbol:         _ZN7rocprim17ROCPRIM_400000_NS6detail17trampoline_kernelINS0_14default_configENS1_22reduce_config_selectorIN6thrust23THRUST_200600_302600_NS5tupleIblNS6_9null_typeES8_S8_S8_S8_S8_S8_S8_EEEEZNS1_11reduce_implILb1ES3_NS6_12zip_iteratorINS7_INS6_11hip_rocprim26transform_input_iterator_tIbNSD_35transform_pair_of_input_iterators_tIbNS6_6detail15normal_iteratorINS6_10device_ptrIKjEEEESL_NS6_8equal_toIjEEEENSG_9not_fun_tINSD_8identityEEEEENSD_19counting_iterator_tIlEES8_S8_S8_S8_S8_S8_S8_S8_EEEEPS9_S9_NSD_9__find_if7functorIS9_EEEE10hipError_tPvRmT1_T2_T3_mT4_P12ihipStream_tbEUlT_E0_NS1_11comp_targetILNS1_3genE10ELNS1_11target_archE1201ELNS1_3gpuE5ELNS1_3repE0EEENS1_30default_config_static_selectorELNS0_4arch9wavefront6targetE0EEEvS14_.kd
    .uniform_work_group_size: 1
    .uses_dynamic_stack: false
    .vgpr_count:     0
    .vgpr_spill_count: 0
    .wavefront_size: 32
    .workgroup_processor_mode: 1
  - .args:
      - .offset:         0
        .size:           104
        .value_kind:     by_value
    .group_segment_fixed_size: 0
    .kernarg_segment_align: 8
    .kernarg_segment_size: 104
    .language:       OpenCL C
    .language_version:
      - 2
      - 0
    .max_flat_workgroup_size: 256
    .name:           _ZN7rocprim17ROCPRIM_400000_NS6detail17trampoline_kernelINS0_14default_configENS1_22reduce_config_selectorIN6thrust23THRUST_200600_302600_NS5tupleIblNS6_9null_typeES8_S8_S8_S8_S8_S8_S8_EEEEZNS1_11reduce_implILb1ES3_NS6_12zip_iteratorINS7_INS6_11hip_rocprim26transform_input_iterator_tIbNSD_35transform_pair_of_input_iterators_tIbNS6_6detail15normal_iteratorINS6_10device_ptrIKjEEEESL_NS6_8equal_toIjEEEENSG_9not_fun_tINSD_8identityEEEEENSD_19counting_iterator_tIlEES8_S8_S8_S8_S8_S8_S8_S8_EEEEPS9_S9_NSD_9__find_if7functorIS9_EEEE10hipError_tPvRmT1_T2_T3_mT4_P12ihipStream_tbEUlT_E0_NS1_11comp_targetILNS1_3genE10ELNS1_11target_archE1200ELNS1_3gpuE4ELNS1_3repE0EEENS1_30default_config_static_selectorELNS0_4arch9wavefront6targetE0EEEvS14_
    .private_segment_fixed_size: 0
    .sgpr_count:     0
    .sgpr_spill_count: 0
    .symbol:         _ZN7rocprim17ROCPRIM_400000_NS6detail17trampoline_kernelINS0_14default_configENS1_22reduce_config_selectorIN6thrust23THRUST_200600_302600_NS5tupleIblNS6_9null_typeES8_S8_S8_S8_S8_S8_S8_EEEEZNS1_11reduce_implILb1ES3_NS6_12zip_iteratorINS7_INS6_11hip_rocprim26transform_input_iterator_tIbNSD_35transform_pair_of_input_iterators_tIbNS6_6detail15normal_iteratorINS6_10device_ptrIKjEEEESL_NS6_8equal_toIjEEEENSG_9not_fun_tINSD_8identityEEEEENSD_19counting_iterator_tIlEES8_S8_S8_S8_S8_S8_S8_S8_EEEEPS9_S9_NSD_9__find_if7functorIS9_EEEE10hipError_tPvRmT1_T2_T3_mT4_P12ihipStream_tbEUlT_E0_NS1_11comp_targetILNS1_3genE10ELNS1_11target_archE1200ELNS1_3gpuE4ELNS1_3repE0EEENS1_30default_config_static_selectorELNS0_4arch9wavefront6targetE0EEEvS14_.kd
    .uniform_work_group_size: 1
    .uses_dynamic_stack: false
    .vgpr_count:     0
    .vgpr_spill_count: 0
    .wavefront_size: 32
    .workgroup_processor_mode: 1
  - .args:
      - .offset:         0
        .size:           104
        .value_kind:     by_value
    .group_segment_fixed_size: 0
    .kernarg_segment_align: 8
    .kernarg_segment_size: 104
    .language:       OpenCL C
    .language_version:
      - 2
      - 0
    .max_flat_workgroup_size: 256
    .name:           _ZN7rocprim17ROCPRIM_400000_NS6detail17trampoline_kernelINS0_14default_configENS1_22reduce_config_selectorIN6thrust23THRUST_200600_302600_NS5tupleIblNS6_9null_typeES8_S8_S8_S8_S8_S8_S8_EEEEZNS1_11reduce_implILb1ES3_NS6_12zip_iteratorINS7_INS6_11hip_rocprim26transform_input_iterator_tIbNSD_35transform_pair_of_input_iterators_tIbNS6_6detail15normal_iteratorINS6_10device_ptrIKjEEEESL_NS6_8equal_toIjEEEENSG_9not_fun_tINSD_8identityEEEEENSD_19counting_iterator_tIlEES8_S8_S8_S8_S8_S8_S8_S8_EEEEPS9_S9_NSD_9__find_if7functorIS9_EEEE10hipError_tPvRmT1_T2_T3_mT4_P12ihipStream_tbEUlT_E0_NS1_11comp_targetILNS1_3genE9ELNS1_11target_archE1100ELNS1_3gpuE3ELNS1_3repE0EEENS1_30default_config_static_selectorELNS0_4arch9wavefront6targetE0EEEvS14_
    .private_segment_fixed_size: 0
    .sgpr_count:     0
    .sgpr_spill_count: 0
    .symbol:         _ZN7rocprim17ROCPRIM_400000_NS6detail17trampoline_kernelINS0_14default_configENS1_22reduce_config_selectorIN6thrust23THRUST_200600_302600_NS5tupleIblNS6_9null_typeES8_S8_S8_S8_S8_S8_S8_EEEEZNS1_11reduce_implILb1ES3_NS6_12zip_iteratorINS7_INS6_11hip_rocprim26transform_input_iterator_tIbNSD_35transform_pair_of_input_iterators_tIbNS6_6detail15normal_iteratorINS6_10device_ptrIKjEEEESL_NS6_8equal_toIjEEEENSG_9not_fun_tINSD_8identityEEEEENSD_19counting_iterator_tIlEES8_S8_S8_S8_S8_S8_S8_S8_EEEEPS9_S9_NSD_9__find_if7functorIS9_EEEE10hipError_tPvRmT1_T2_T3_mT4_P12ihipStream_tbEUlT_E0_NS1_11comp_targetILNS1_3genE9ELNS1_11target_archE1100ELNS1_3gpuE3ELNS1_3repE0EEENS1_30default_config_static_selectorELNS0_4arch9wavefront6targetE0EEEvS14_.kd
    .uniform_work_group_size: 1
    .uses_dynamic_stack: false
    .vgpr_count:     0
    .vgpr_spill_count: 0
    .wavefront_size: 32
    .workgroup_processor_mode: 1
  - .args:
      - .offset:         0
        .size:           104
        .value_kind:     by_value
    .group_segment_fixed_size: 256
    .kernarg_segment_align: 8
    .kernarg_segment_size: 104
    .language:       OpenCL C
    .language_version:
      - 2
      - 0
    .max_flat_workgroup_size: 256
    .name:           _ZN7rocprim17ROCPRIM_400000_NS6detail17trampoline_kernelINS0_14default_configENS1_22reduce_config_selectorIN6thrust23THRUST_200600_302600_NS5tupleIblNS6_9null_typeES8_S8_S8_S8_S8_S8_S8_EEEEZNS1_11reduce_implILb1ES3_NS6_12zip_iteratorINS7_INS6_11hip_rocprim26transform_input_iterator_tIbNSD_35transform_pair_of_input_iterators_tIbNS6_6detail15normal_iteratorINS6_10device_ptrIKjEEEESL_NS6_8equal_toIjEEEENSG_9not_fun_tINSD_8identityEEEEENSD_19counting_iterator_tIlEES8_S8_S8_S8_S8_S8_S8_S8_EEEEPS9_S9_NSD_9__find_if7functorIS9_EEEE10hipError_tPvRmT1_T2_T3_mT4_P12ihipStream_tbEUlT_E0_NS1_11comp_targetILNS1_3genE8ELNS1_11target_archE1030ELNS1_3gpuE2ELNS1_3repE0EEENS1_30default_config_static_selectorELNS0_4arch9wavefront6targetE0EEEvS14_
    .private_segment_fixed_size: 0
    .sgpr_count:     30
    .sgpr_spill_count: 0
    .symbol:         _ZN7rocprim17ROCPRIM_400000_NS6detail17trampoline_kernelINS0_14default_configENS1_22reduce_config_selectorIN6thrust23THRUST_200600_302600_NS5tupleIblNS6_9null_typeES8_S8_S8_S8_S8_S8_S8_EEEEZNS1_11reduce_implILb1ES3_NS6_12zip_iteratorINS7_INS6_11hip_rocprim26transform_input_iterator_tIbNSD_35transform_pair_of_input_iterators_tIbNS6_6detail15normal_iteratorINS6_10device_ptrIKjEEEESL_NS6_8equal_toIjEEEENSG_9not_fun_tINSD_8identityEEEEENSD_19counting_iterator_tIlEES8_S8_S8_S8_S8_S8_S8_S8_EEEEPS9_S9_NSD_9__find_if7functorIS9_EEEE10hipError_tPvRmT1_T2_T3_mT4_P12ihipStream_tbEUlT_E0_NS1_11comp_targetILNS1_3genE8ELNS1_11target_archE1030ELNS1_3gpuE2ELNS1_3repE0EEENS1_30default_config_static_selectorELNS0_4arch9wavefront6targetE0EEEvS14_.kd
    .uniform_work_group_size: 1
    .uses_dynamic_stack: false
    .vgpr_count:     13
    .vgpr_spill_count: 0
    .wavefront_size: 32
    .workgroup_processor_mode: 1
  - .args:
      - .offset:         0
        .size:           88
        .value_kind:     by_value
    .group_segment_fixed_size: 0
    .kernarg_segment_align: 8
    .kernarg_segment_size: 88
    .language:       OpenCL C
    .language_version:
      - 2
      - 0
    .max_flat_workgroup_size: 128
    .name:           _ZN7rocprim17ROCPRIM_400000_NS6detail17trampoline_kernelINS0_14default_configENS1_22reduce_config_selectorIN6thrust23THRUST_200600_302600_NS5tupleIblNS6_9null_typeES8_S8_S8_S8_S8_S8_S8_EEEEZNS1_11reduce_implILb1ES3_NS6_12zip_iteratorINS7_INS6_11hip_rocprim26transform_input_iterator_tIbNSD_35transform_pair_of_input_iterators_tIbNS6_6detail15normal_iteratorINS6_10device_ptrIKjEEEESL_NS6_8equal_toIjEEEENSG_9not_fun_tINSD_8identityEEEEENSD_19counting_iterator_tIlEES8_S8_S8_S8_S8_S8_S8_S8_EEEEPS9_S9_NSD_9__find_if7functorIS9_EEEE10hipError_tPvRmT1_T2_T3_mT4_P12ihipStream_tbEUlT_E1_NS1_11comp_targetILNS1_3genE0ELNS1_11target_archE4294967295ELNS1_3gpuE0ELNS1_3repE0EEENS1_30default_config_static_selectorELNS0_4arch9wavefront6targetE0EEEvS14_
    .private_segment_fixed_size: 0
    .sgpr_count:     0
    .sgpr_spill_count: 0
    .symbol:         _ZN7rocprim17ROCPRIM_400000_NS6detail17trampoline_kernelINS0_14default_configENS1_22reduce_config_selectorIN6thrust23THRUST_200600_302600_NS5tupleIblNS6_9null_typeES8_S8_S8_S8_S8_S8_S8_EEEEZNS1_11reduce_implILb1ES3_NS6_12zip_iteratorINS7_INS6_11hip_rocprim26transform_input_iterator_tIbNSD_35transform_pair_of_input_iterators_tIbNS6_6detail15normal_iteratorINS6_10device_ptrIKjEEEESL_NS6_8equal_toIjEEEENSG_9not_fun_tINSD_8identityEEEEENSD_19counting_iterator_tIlEES8_S8_S8_S8_S8_S8_S8_S8_EEEEPS9_S9_NSD_9__find_if7functorIS9_EEEE10hipError_tPvRmT1_T2_T3_mT4_P12ihipStream_tbEUlT_E1_NS1_11comp_targetILNS1_3genE0ELNS1_11target_archE4294967295ELNS1_3gpuE0ELNS1_3repE0EEENS1_30default_config_static_selectorELNS0_4arch9wavefront6targetE0EEEvS14_.kd
    .uniform_work_group_size: 1
    .uses_dynamic_stack: false
    .vgpr_count:     0
    .vgpr_spill_count: 0
    .wavefront_size: 32
    .workgroup_processor_mode: 1
  - .args:
      - .offset:         0
        .size:           88
        .value_kind:     by_value
    .group_segment_fixed_size: 0
    .kernarg_segment_align: 8
    .kernarg_segment_size: 88
    .language:       OpenCL C
    .language_version:
      - 2
      - 0
    .max_flat_workgroup_size: 256
    .name:           _ZN7rocprim17ROCPRIM_400000_NS6detail17trampoline_kernelINS0_14default_configENS1_22reduce_config_selectorIN6thrust23THRUST_200600_302600_NS5tupleIblNS6_9null_typeES8_S8_S8_S8_S8_S8_S8_EEEEZNS1_11reduce_implILb1ES3_NS6_12zip_iteratorINS7_INS6_11hip_rocprim26transform_input_iterator_tIbNSD_35transform_pair_of_input_iterators_tIbNS6_6detail15normal_iteratorINS6_10device_ptrIKjEEEESL_NS6_8equal_toIjEEEENSG_9not_fun_tINSD_8identityEEEEENSD_19counting_iterator_tIlEES8_S8_S8_S8_S8_S8_S8_S8_EEEEPS9_S9_NSD_9__find_if7functorIS9_EEEE10hipError_tPvRmT1_T2_T3_mT4_P12ihipStream_tbEUlT_E1_NS1_11comp_targetILNS1_3genE5ELNS1_11target_archE942ELNS1_3gpuE9ELNS1_3repE0EEENS1_30default_config_static_selectorELNS0_4arch9wavefront6targetE0EEEvS14_
    .private_segment_fixed_size: 0
    .sgpr_count:     0
    .sgpr_spill_count: 0
    .symbol:         _ZN7rocprim17ROCPRIM_400000_NS6detail17trampoline_kernelINS0_14default_configENS1_22reduce_config_selectorIN6thrust23THRUST_200600_302600_NS5tupleIblNS6_9null_typeES8_S8_S8_S8_S8_S8_S8_EEEEZNS1_11reduce_implILb1ES3_NS6_12zip_iteratorINS7_INS6_11hip_rocprim26transform_input_iterator_tIbNSD_35transform_pair_of_input_iterators_tIbNS6_6detail15normal_iteratorINS6_10device_ptrIKjEEEESL_NS6_8equal_toIjEEEENSG_9not_fun_tINSD_8identityEEEEENSD_19counting_iterator_tIlEES8_S8_S8_S8_S8_S8_S8_S8_EEEEPS9_S9_NSD_9__find_if7functorIS9_EEEE10hipError_tPvRmT1_T2_T3_mT4_P12ihipStream_tbEUlT_E1_NS1_11comp_targetILNS1_3genE5ELNS1_11target_archE942ELNS1_3gpuE9ELNS1_3repE0EEENS1_30default_config_static_selectorELNS0_4arch9wavefront6targetE0EEEvS14_.kd
    .uniform_work_group_size: 1
    .uses_dynamic_stack: false
    .vgpr_count:     0
    .vgpr_spill_count: 0
    .wavefront_size: 32
    .workgroup_processor_mode: 1
  - .args:
      - .offset:         0
        .size:           88
        .value_kind:     by_value
    .group_segment_fixed_size: 0
    .kernarg_segment_align: 8
    .kernarg_segment_size: 88
    .language:       OpenCL C
    .language_version:
      - 2
      - 0
    .max_flat_workgroup_size: 256
    .name:           _ZN7rocprim17ROCPRIM_400000_NS6detail17trampoline_kernelINS0_14default_configENS1_22reduce_config_selectorIN6thrust23THRUST_200600_302600_NS5tupleIblNS6_9null_typeES8_S8_S8_S8_S8_S8_S8_EEEEZNS1_11reduce_implILb1ES3_NS6_12zip_iteratorINS7_INS6_11hip_rocprim26transform_input_iterator_tIbNSD_35transform_pair_of_input_iterators_tIbNS6_6detail15normal_iteratorINS6_10device_ptrIKjEEEESL_NS6_8equal_toIjEEEENSG_9not_fun_tINSD_8identityEEEEENSD_19counting_iterator_tIlEES8_S8_S8_S8_S8_S8_S8_S8_EEEEPS9_S9_NSD_9__find_if7functorIS9_EEEE10hipError_tPvRmT1_T2_T3_mT4_P12ihipStream_tbEUlT_E1_NS1_11comp_targetILNS1_3genE4ELNS1_11target_archE910ELNS1_3gpuE8ELNS1_3repE0EEENS1_30default_config_static_selectorELNS0_4arch9wavefront6targetE0EEEvS14_
    .private_segment_fixed_size: 0
    .sgpr_count:     0
    .sgpr_spill_count: 0
    .symbol:         _ZN7rocprim17ROCPRIM_400000_NS6detail17trampoline_kernelINS0_14default_configENS1_22reduce_config_selectorIN6thrust23THRUST_200600_302600_NS5tupleIblNS6_9null_typeES8_S8_S8_S8_S8_S8_S8_EEEEZNS1_11reduce_implILb1ES3_NS6_12zip_iteratorINS7_INS6_11hip_rocprim26transform_input_iterator_tIbNSD_35transform_pair_of_input_iterators_tIbNS6_6detail15normal_iteratorINS6_10device_ptrIKjEEEESL_NS6_8equal_toIjEEEENSG_9not_fun_tINSD_8identityEEEEENSD_19counting_iterator_tIlEES8_S8_S8_S8_S8_S8_S8_S8_EEEEPS9_S9_NSD_9__find_if7functorIS9_EEEE10hipError_tPvRmT1_T2_T3_mT4_P12ihipStream_tbEUlT_E1_NS1_11comp_targetILNS1_3genE4ELNS1_11target_archE910ELNS1_3gpuE8ELNS1_3repE0EEENS1_30default_config_static_selectorELNS0_4arch9wavefront6targetE0EEEvS14_.kd
    .uniform_work_group_size: 1
    .uses_dynamic_stack: false
    .vgpr_count:     0
    .vgpr_spill_count: 0
    .wavefront_size: 32
    .workgroup_processor_mode: 1
  - .args:
      - .offset:         0
        .size:           88
        .value_kind:     by_value
    .group_segment_fixed_size: 0
    .kernarg_segment_align: 8
    .kernarg_segment_size: 88
    .language:       OpenCL C
    .language_version:
      - 2
      - 0
    .max_flat_workgroup_size: 128
    .name:           _ZN7rocprim17ROCPRIM_400000_NS6detail17trampoline_kernelINS0_14default_configENS1_22reduce_config_selectorIN6thrust23THRUST_200600_302600_NS5tupleIblNS6_9null_typeES8_S8_S8_S8_S8_S8_S8_EEEEZNS1_11reduce_implILb1ES3_NS6_12zip_iteratorINS7_INS6_11hip_rocprim26transform_input_iterator_tIbNSD_35transform_pair_of_input_iterators_tIbNS6_6detail15normal_iteratorINS6_10device_ptrIKjEEEESL_NS6_8equal_toIjEEEENSG_9not_fun_tINSD_8identityEEEEENSD_19counting_iterator_tIlEES8_S8_S8_S8_S8_S8_S8_S8_EEEEPS9_S9_NSD_9__find_if7functorIS9_EEEE10hipError_tPvRmT1_T2_T3_mT4_P12ihipStream_tbEUlT_E1_NS1_11comp_targetILNS1_3genE3ELNS1_11target_archE908ELNS1_3gpuE7ELNS1_3repE0EEENS1_30default_config_static_selectorELNS0_4arch9wavefront6targetE0EEEvS14_
    .private_segment_fixed_size: 0
    .sgpr_count:     0
    .sgpr_spill_count: 0
    .symbol:         _ZN7rocprim17ROCPRIM_400000_NS6detail17trampoline_kernelINS0_14default_configENS1_22reduce_config_selectorIN6thrust23THRUST_200600_302600_NS5tupleIblNS6_9null_typeES8_S8_S8_S8_S8_S8_S8_EEEEZNS1_11reduce_implILb1ES3_NS6_12zip_iteratorINS7_INS6_11hip_rocprim26transform_input_iterator_tIbNSD_35transform_pair_of_input_iterators_tIbNS6_6detail15normal_iteratorINS6_10device_ptrIKjEEEESL_NS6_8equal_toIjEEEENSG_9not_fun_tINSD_8identityEEEEENSD_19counting_iterator_tIlEES8_S8_S8_S8_S8_S8_S8_S8_EEEEPS9_S9_NSD_9__find_if7functorIS9_EEEE10hipError_tPvRmT1_T2_T3_mT4_P12ihipStream_tbEUlT_E1_NS1_11comp_targetILNS1_3genE3ELNS1_11target_archE908ELNS1_3gpuE7ELNS1_3repE0EEENS1_30default_config_static_selectorELNS0_4arch9wavefront6targetE0EEEvS14_.kd
    .uniform_work_group_size: 1
    .uses_dynamic_stack: false
    .vgpr_count:     0
    .vgpr_spill_count: 0
    .wavefront_size: 32
    .workgroup_processor_mode: 1
  - .args:
      - .offset:         0
        .size:           88
        .value_kind:     by_value
    .group_segment_fixed_size: 0
    .kernarg_segment_align: 8
    .kernarg_segment_size: 88
    .language:       OpenCL C
    .language_version:
      - 2
      - 0
    .max_flat_workgroup_size: 128
    .name:           _ZN7rocprim17ROCPRIM_400000_NS6detail17trampoline_kernelINS0_14default_configENS1_22reduce_config_selectorIN6thrust23THRUST_200600_302600_NS5tupleIblNS6_9null_typeES8_S8_S8_S8_S8_S8_S8_EEEEZNS1_11reduce_implILb1ES3_NS6_12zip_iteratorINS7_INS6_11hip_rocprim26transform_input_iterator_tIbNSD_35transform_pair_of_input_iterators_tIbNS6_6detail15normal_iteratorINS6_10device_ptrIKjEEEESL_NS6_8equal_toIjEEEENSG_9not_fun_tINSD_8identityEEEEENSD_19counting_iterator_tIlEES8_S8_S8_S8_S8_S8_S8_S8_EEEEPS9_S9_NSD_9__find_if7functorIS9_EEEE10hipError_tPvRmT1_T2_T3_mT4_P12ihipStream_tbEUlT_E1_NS1_11comp_targetILNS1_3genE2ELNS1_11target_archE906ELNS1_3gpuE6ELNS1_3repE0EEENS1_30default_config_static_selectorELNS0_4arch9wavefront6targetE0EEEvS14_
    .private_segment_fixed_size: 0
    .sgpr_count:     0
    .sgpr_spill_count: 0
    .symbol:         _ZN7rocprim17ROCPRIM_400000_NS6detail17trampoline_kernelINS0_14default_configENS1_22reduce_config_selectorIN6thrust23THRUST_200600_302600_NS5tupleIblNS6_9null_typeES8_S8_S8_S8_S8_S8_S8_EEEEZNS1_11reduce_implILb1ES3_NS6_12zip_iteratorINS7_INS6_11hip_rocprim26transform_input_iterator_tIbNSD_35transform_pair_of_input_iterators_tIbNS6_6detail15normal_iteratorINS6_10device_ptrIKjEEEESL_NS6_8equal_toIjEEEENSG_9not_fun_tINSD_8identityEEEEENSD_19counting_iterator_tIlEES8_S8_S8_S8_S8_S8_S8_S8_EEEEPS9_S9_NSD_9__find_if7functorIS9_EEEE10hipError_tPvRmT1_T2_T3_mT4_P12ihipStream_tbEUlT_E1_NS1_11comp_targetILNS1_3genE2ELNS1_11target_archE906ELNS1_3gpuE6ELNS1_3repE0EEENS1_30default_config_static_selectorELNS0_4arch9wavefront6targetE0EEEvS14_.kd
    .uniform_work_group_size: 1
    .uses_dynamic_stack: false
    .vgpr_count:     0
    .vgpr_spill_count: 0
    .wavefront_size: 32
    .workgroup_processor_mode: 1
  - .args:
      - .offset:         0
        .size:           88
        .value_kind:     by_value
    .group_segment_fixed_size: 0
    .kernarg_segment_align: 8
    .kernarg_segment_size: 88
    .language:       OpenCL C
    .language_version:
      - 2
      - 0
    .max_flat_workgroup_size: 256
    .name:           _ZN7rocprim17ROCPRIM_400000_NS6detail17trampoline_kernelINS0_14default_configENS1_22reduce_config_selectorIN6thrust23THRUST_200600_302600_NS5tupleIblNS6_9null_typeES8_S8_S8_S8_S8_S8_S8_EEEEZNS1_11reduce_implILb1ES3_NS6_12zip_iteratorINS7_INS6_11hip_rocprim26transform_input_iterator_tIbNSD_35transform_pair_of_input_iterators_tIbNS6_6detail15normal_iteratorINS6_10device_ptrIKjEEEESL_NS6_8equal_toIjEEEENSG_9not_fun_tINSD_8identityEEEEENSD_19counting_iterator_tIlEES8_S8_S8_S8_S8_S8_S8_S8_EEEEPS9_S9_NSD_9__find_if7functorIS9_EEEE10hipError_tPvRmT1_T2_T3_mT4_P12ihipStream_tbEUlT_E1_NS1_11comp_targetILNS1_3genE10ELNS1_11target_archE1201ELNS1_3gpuE5ELNS1_3repE0EEENS1_30default_config_static_selectorELNS0_4arch9wavefront6targetE0EEEvS14_
    .private_segment_fixed_size: 0
    .sgpr_count:     0
    .sgpr_spill_count: 0
    .symbol:         _ZN7rocprim17ROCPRIM_400000_NS6detail17trampoline_kernelINS0_14default_configENS1_22reduce_config_selectorIN6thrust23THRUST_200600_302600_NS5tupleIblNS6_9null_typeES8_S8_S8_S8_S8_S8_S8_EEEEZNS1_11reduce_implILb1ES3_NS6_12zip_iteratorINS7_INS6_11hip_rocprim26transform_input_iterator_tIbNSD_35transform_pair_of_input_iterators_tIbNS6_6detail15normal_iteratorINS6_10device_ptrIKjEEEESL_NS6_8equal_toIjEEEENSG_9not_fun_tINSD_8identityEEEEENSD_19counting_iterator_tIlEES8_S8_S8_S8_S8_S8_S8_S8_EEEEPS9_S9_NSD_9__find_if7functorIS9_EEEE10hipError_tPvRmT1_T2_T3_mT4_P12ihipStream_tbEUlT_E1_NS1_11comp_targetILNS1_3genE10ELNS1_11target_archE1201ELNS1_3gpuE5ELNS1_3repE0EEENS1_30default_config_static_selectorELNS0_4arch9wavefront6targetE0EEEvS14_.kd
    .uniform_work_group_size: 1
    .uses_dynamic_stack: false
    .vgpr_count:     0
    .vgpr_spill_count: 0
    .wavefront_size: 32
    .workgroup_processor_mode: 1
  - .args:
      - .offset:         0
        .size:           88
        .value_kind:     by_value
    .group_segment_fixed_size: 0
    .kernarg_segment_align: 8
    .kernarg_segment_size: 88
    .language:       OpenCL C
    .language_version:
      - 2
      - 0
    .max_flat_workgroup_size: 256
    .name:           _ZN7rocprim17ROCPRIM_400000_NS6detail17trampoline_kernelINS0_14default_configENS1_22reduce_config_selectorIN6thrust23THRUST_200600_302600_NS5tupleIblNS6_9null_typeES8_S8_S8_S8_S8_S8_S8_EEEEZNS1_11reduce_implILb1ES3_NS6_12zip_iteratorINS7_INS6_11hip_rocprim26transform_input_iterator_tIbNSD_35transform_pair_of_input_iterators_tIbNS6_6detail15normal_iteratorINS6_10device_ptrIKjEEEESL_NS6_8equal_toIjEEEENSG_9not_fun_tINSD_8identityEEEEENSD_19counting_iterator_tIlEES8_S8_S8_S8_S8_S8_S8_S8_EEEEPS9_S9_NSD_9__find_if7functorIS9_EEEE10hipError_tPvRmT1_T2_T3_mT4_P12ihipStream_tbEUlT_E1_NS1_11comp_targetILNS1_3genE10ELNS1_11target_archE1200ELNS1_3gpuE4ELNS1_3repE0EEENS1_30default_config_static_selectorELNS0_4arch9wavefront6targetE0EEEvS14_
    .private_segment_fixed_size: 0
    .sgpr_count:     0
    .sgpr_spill_count: 0
    .symbol:         _ZN7rocprim17ROCPRIM_400000_NS6detail17trampoline_kernelINS0_14default_configENS1_22reduce_config_selectorIN6thrust23THRUST_200600_302600_NS5tupleIblNS6_9null_typeES8_S8_S8_S8_S8_S8_S8_EEEEZNS1_11reduce_implILb1ES3_NS6_12zip_iteratorINS7_INS6_11hip_rocprim26transform_input_iterator_tIbNSD_35transform_pair_of_input_iterators_tIbNS6_6detail15normal_iteratorINS6_10device_ptrIKjEEEESL_NS6_8equal_toIjEEEENSG_9not_fun_tINSD_8identityEEEEENSD_19counting_iterator_tIlEES8_S8_S8_S8_S8_S8_S8_S8_EEEEPS9_S9_NSD_9__find_if7functorIS9_EEEE10hipError_tPvRmT1_T2_T3_mT4_P12ihipStream_tbEUlT_E1_NS1_11comp_targetILNS1_3genE10ELNS1_11target_archE1200ELNS1_3gpuE4ELNS1_3repE0EEENS1_30default_config_static_selectorELNS0_4arch9wavefront6targetE0EEEvS14_.kd
    .uniform_work_group_size: 1
    .uses_dynamic_stack: false
    .vgpr_count:     0
    .vgpr_spill_count: 0
    .wavefront_size: 32
    .workgroup_processor_mode: 1
  - .args:
      - .offset:         0
        .size:           88
        .value_kind:     by_value
    .group_segment_fixed_size: 0
    .kernarg_segment_align: 8
    .kernarg_segment_size: 88
    .language:       OpenCL C
    .language_version:
      - 2
      - 0
    .max_flat_workgroup_size: 256
    .name:           _ZN7rocprim17ROCPRIM_400000_NS6detail17trampoline_kernelINS0_14default_configENS1_22reduce_config_selectorIN6thrust23THRUST_200600_302600_NS5tupleIblNS6_9null_typeES8_S8_S8_S8_S8_S8_S8_EEEEZNS1_11reduce_implILb1ES3_NS6_12zip_iteratorINS7_INS6_11hip_rocprim26transform_input_iterator_tIbNSD_35transform_pair_of_input_iterators_tIbNS6_6detail15normal_iteratorINS6_10device_ptrIKjEEEESL_NS6_8equal_toIjEEEENSG_9not_fun_tINSD_8identityEEEEENSD_19counting_iterator_tIlEES8_S8_S8_S8_S8_S8_S8_S8_EEEEPS9_S9_NSD_9__find_if7functorIS9_EEEE10hipError_tPvRmT1_T2_T3_mT4_P12ihipStream_tbEUlT_E1_NS1_11comp_targetILNS1_3genE9ELNS1_11target_archE1100ELNS1_3gpuE3ELNS1_3repE0EEENS1_30default_config_static_selectorELNS0_4arch9wavefront6targetE0EEEvS14_
    .private_segment_fixed_size: 0
    .sgpr_count:     0
    .sgpr_spill_count: 0
    .symbol:         _ZN7rocprim17ROCPRIM_400000_NS6detail17trampoline_kernelINS0_14default_configENS1_22reduce_config_selectorIN6thrust23THRUST_200600_302600_NS5tupleIblNS6_9null_typeES8_S8_S8_S8_S8_S8_S8_EEEEZNS1_11reduce_implILb1ES3_NS6_12zip_iteratorINS7_INS6_11hip_rocprim26transform_input_iterator_tIbNSD_35transform_pair_of_input_iterators_tIbNS6_6detail15normal_iteratorINS6_10device_ptrIKjEEEESL_NS6_8equal_toIjEEEENSG_9not_fun_tINSD_8identityEEEEENSD_19counting_iterator_tIlEES8_S8_S8_S8_S8_S8_S8_S8_EEEEPS9_S9_NSD_9__find_if7functorIS9_EEEE10hipError_tPvRmT1_T2_T3_mT4_P12ihipStream_tbEUlT_E1_NS1_11comp_targetILNS1_3genE9ELNS1_11target_archE1100ELNS1_3gpuE3ELNS1_3repE0EEENS1_30default_config_static_selectorELNS0_4arch9wavefront6targetE0EEEvS14_.kd
    .uniform_work_group_size: 1
    .uses_dynamic_stack: false
    .vgpr_count:     0
    .vgpr_spill_count: 0
    .wavefront_size: 32
    .workgroup_processor_mode: 1
  - .args:
      - .offset:         0
        .size:           88
        .value_kind:     by_value
    .group_segment_fixed_size: 640
    .kernarg_segment_align: 8
    .kernarg_segment_size: 88
    .language:       OpenCL C
    .language_version:
      - 2
      - 0
    .max_flat_workgroup_size: 256
    .name:           _ZN7rocprim17ROCPRIM_400000_NS6detail17trampoline_kernelINS0_14default_configENS1_22reduce_config_selectorIN6thrust23THRUST_200600_302600_NS5tupleIblNS6_9null_typeES8_S8_S8_S8_S8_S8_S8_EEEEZNS1_11reduce_implILb1ES3_NS6_12zip_iteratorINS7_INS6_11hip_rocprim26transform_input_iterator_tIbNSD_35transform_pair_of_input_iterators_tIbNS6_6detail15normal_iteratorINS6_10device_ptrIKjEEEESL_NS6_8equal_toIjEEEENSG_9not_fun_tINSD_8identityEEEEENSD_19counting_iterator_tIlEES8_S8_S8_S8_S8_S8_S8_S8_EEEEPS9_S9_NSD_9__find_if7functorIS9_EEEE10hipError_tPvRmT1_T2_T3_mT4_P12ihipStream_tbEUlT_E1_NS1_11comp_targetILNS1_3genE8ELNS1_11target_archE1030ELNS1_3gpuE2ELNS1_3repE0EEENS1_30default_config_static_selectorELNS0_4arch9wavefront6targetE0EEEvS14_
    .private_segment_fixed_size: 0
    .sgpr_count:     34
    .sgpr_spill_count: 0
    .symbol:         _ZN7rocprim17ROCPRIM_400000_NS6detail17trampoline_kernelINS0_14default_configENS1_22reduce_config_selectorIN6thrust23THRUST_200600_302600_NS5tupleIblNS6_9null_typeES8_S8_S8_S8_S8_S8_S8_EEEEZNS1_11reduce_implILb1ES3_NS6_12zip_iteratorINS7_INS6_11hip_rocprim26transform_input_iterator_tIbNSD_35transform_pair_of_input_iterators_tIbNS6_6detail15normal_iteratorINS6_10device_ptrIKjEEEESL_NS6_8equal_toIjEEEENSG_9not_fun_tINSD_8identityEEEEENSD_19counting_iterator_tIlEES8_S8_S8_S8_S8_S8_S8_S8_EEEEPS9_S9_NSD_9__find_if7functorIS9_EEEE10hipError_tPvRmT1_T2_T3_mT4_P12ihipStream_tbEUlT_E1_NS1_11comp_targetILNS1_3genE8ELNS1_11target_archE1030ELNS1_3gpuE2ELNS1_3repE0EEENS1_30default_config_static_selectorELNS0_4arch9wavefront6targetE0EEEvS14_.kd
    .uniform_work_group_size: 1
    .uses_dynamic_stack: false
    .vgpr_count:     27
    .vgpr_spill_count: 0
    .wavefront_size: 32
    .workgroup_processor_mode: 1
  - .args:
      - .offset:         0
        .size:           16
        .value_kind:     by_value
      - .offset:         16
        .size:           8
        .value_kind:     by_value
      - .offset:         24
        .size:           8
        .value_kind:     by_value
    .group_segment_fixed_size: 0
    .kernarg_segment_align: 8
    .kernarg_segment_size: 32
    .language:       OpenCL C
    .language_version:
      - 2
      - 0
    .max_flat_workgroup_size: 256
    .name:           _ZN6thrust23THRUST_200600_302600_NS11hip_rocprim14__parallel_for6kernelILj256ENS1_20__uninitialized_fill7functorINS0_10device_ptrItEEtEEmLj1EEEvT0_T1_SA_
    .private_segment_fixed_size: 0
    .sgpr_count:     14
    .sgpr_spill_count: 0
    .symbol:         _ZN6thrust23THRUST_200600_302600_NS11hip_rocprim14__parallel_for6kernelILj256ENS1_20__uninitialized_fill7functorINS0_10device_ptrItEEtEEmLj1EEEvT0_T1_SA_.kd
    .uniform_work_group_size: 1
    .uses_dynamic_stack: false
    .vgpr_count:     4
    .vgpr_spill_count: 0
    .wavefront_size: 32
    .workgroup_processor_mode: 1
  - .args:
      - .offset:         0
        .size:           64
        .value_kind:     by_value
    .group_segment_fixed_size: 0
    .kernarg_segment_align: 8
    .kernarg_segment_size: 64
    .language:       OpenCL C
    .language_version:
      - 2
      - 0
    .max_flat_workgroup_size: 256
    .name:           _ZN7rocprim17ROCPRIM_400000_NS6detail17trampoline_kernelINS0_14default_configENS1_21merge_config_selectorINS0_5tupleIJttEEENS0_10empty_typeEEEZNS1_10merge_implIS3_NS0_12zip_iteratorINS5_IJN6thrust23THRUST_200600_302600_NS6detail15normal_iteratorINSC_10device_ptrIKtEEEESI_EEEEESK_NSA_INS5_IJNSE_INSF_ItEEEESM_EEEEEPS7_SP_SP_NSC_11hip_rocprim7__merge17predicate_wrapperIttNSC_4lessItEEEEEE10hipError_tPvRmT0_T1_T2_T3_T4_T5_mmT6_P12ihipStream_tbEUlT_E_NS1_11comp_targetILNS1_3genE0ELNS1_11target_archE4294967295ELNS1_3gpuE0ELNS1_3repE0EEENS1_30default_config_static_selectorELNS0_4arch9wavefront6targetE0EEEvS10_
    .private_segment_fixed_size: 0
    .sgpr_count:     0
    .sgpr_spill_count: 0
    .symbol:         _ZN7rocprim17ROCPRIM_400000_NS6detail17trampoline_kernelINS0_14default_configENS1_21merge_config_selectorINS0_5tupleIJttEEENS0_10empty_typeEEEZNS1_10merge_implIS3_NS0_12zip_iteratorINS5_IJN6thrust23THRUST_200600_302600_NS6detail15normal_iteratorINSC_10device_ptrIKtEEEESI_EEEEESK_NSA_INS5_IJNSE_INSF_ItEEEESM_EEEEEPS7_SP_SP_NSC_11hip_rocprim7__merge17predicate_wrapperIttNSC_4lessItEEEEEE10hipError_tPvRmT0_T1_T2_T3_T4_T5_mmT6_P12ihipStream_tbEUlT_E_NS1_11comp_targetILNS1_3genE0ELNS1_11target_archE4294967295ELNS1_3gpuE0ELNS1_3repE0EEENS1_30default_config_static_selectorELNS0_4arch9wavefront6targetE0EEEvS10_.kd
    .uniform_work_group_size: 1
    .uses_dynamic_stack: false
    .vgpr_count:     0
    .vgpr_spill_count: 0
    .wavefront_size: 32
    .workgroup_processor_mode: 1
  - .args:
      - .offset:         0
        .size:           64
        .value_kind:     by_value
    .group_segment_fixed_size: 0
    .kernarg_segment_align: 8
    .kernarg_segment_size: 64
    .language:       OpenCL C
    .language_version:
      - 2
      - 0
    .max_flat_workgroup_size: 256
    .name:           _ZN7rocprim17ROCPRIM_400000_NS6detail17trampoline_kernelINS0_14default_configENS1_21merge_config_selectorINS0_5tupleIJttEEENS0_10empty_typeEEEZNS1_10merge_implIS3_NS0_12zip_iteratorINS5_IJN6thrust23THRUST_200600_302600_NS6detail15normal_iteratorINSC_10device_ptrIKtEEEESI_EEEEESK_NSA_INS5_IJNSE_INSF_ItEEEESM_EEEEEPS7_SP_SP_NSC_11hip_rocprim7__merge17predicate_wrapperIttNSC_4lessItEEEEEE10hipError_tPvRmT0_T1_T2_T3_T4_T5_mmT6_P12ihipStream_tbEUlT_E_NS1_11comp_targetILNS1_3genE5ELNS1_11target_archE942ELNS1_3gpuE9ELNS1_3repE0EEENS1_30default_config_static_selectorELNS0_4arch9wavefront6targetE0EEEvS10_
    .private_segment_fixed_size: 0
    .sgpr_count:     0
    .sgpr_spill_count: 0
    .symbol:         _ZN7rocprim17ROCPRIM_400000_NS6detail17trampoline_kernelINS0_14default_configENS1_21merge_config_selectorINS0_5tupleIJttEEENS0_10empty_typeEEEZNS1_10merge_implIS3_NS0_12zip_iteratorINS5_IJN6thrust23THRUST_200600_302600_NS6detail15normal_iteratorINSC_10device_ptrIKtEEEESI_EEEEESK_NSA_INS5_IJNSE_INSF_ItEEEESM_EEEEEPS7_SP_SP_NSC_11hip_rocprim7__merge17predicate_wrapperIttNSC_4lessItEEEEEE10hipError_tPvRmT0_T1_T2_T3_T4_T5_mmT6_P12ihipStream_tbEUlT_E_NS1_11comp_targetILNS1_3genE5ELNS1_11target_archE942ELNS1_3gpuE9ELNS1_3repE0EEENS1_30default_config_static_selectorELNS0_4arch9wavefront6targetE0EEEvS10_.kd
    .uniform_work_group_size: 1
    .uses_dynamic_stack: false
    .vgpr_count:     0
    .vgpr_spill_count: 0
    .wavefront_size: 32
    .workgroup_processor_mode: 1
  - .args:
      - .offset:         0
        .size:           64
        .value_kind:     by_value
    .group_segment_fixed_size: 0
    .kernarg_segment_align: 8
    .kernarg_segment_size: 64
    .language:       OpenCL C
    .language_version:
      - 2
      - 0
    .max_flat_workgroup_size: 256
    .name:           _ZN7rocprim17ROCPRIM_400000_NS6detail17trampoline_kernelINS0_14default_configENS1_21merge_config_selectorINS0_5tupleIJttEEENS0_10empty_typeEEEZNS1_10merge_implIS3_NS0_12zip_iteratorINS5_IJN6thrust23THRUST_200600_302600_NS6detail15normal_iteratorINSC_10device_ptrIKtEEEESI_EEEEESK_NSA_INS5_IJNSE_INSF_ItEEEESM_EEEEEPS7_SP_SP_NSC_11hip_rocprim7__merge17predicate_wrapperIttNSC_4lessItEEEEEE10hipError_tPvRmT0_T1_T2_T3_T4_T5_mmT6_P12ihipStream_tbEUlT_E_NS1_11comp_targetILNS1_3genE4ELNS1_11target_archE910ELNS1_3gpuE8ELNS1_3repE0EEENS1_30default_config_static_selectorELNS0_4arch9wavefront6targetE0EEEvS10_
    .private_segment_fixed_size: 0
    .sgpr_count:     0
    .sgpr_spill_count: 0
    .symbol:         _ZN7rocprim17ROCPRIM_400000_NS6detail17trampoline_kernelINS0_14default_configENS1_21merge_config_selectorINS0_5tupleIJttEEENS0_10empty_typeEEEZNS1_10merge_implIS3_NS0_12zip_iteratorINS5_IJN6thrust23THRUST_200600_302600_NS6detail15normal_iteratorINSC_10device_ptrIKtEEEESI_EEEEESK_NSA_INS5_IJNSE_INSF_ItEEEESM_EEEEEPS7_SP_SP_NSC_11hip_rocprim7__merge17predicate_wrapperIttNSC_4lessItEEEEEE10hipError_tPvRmT0_T1_T2_T3_T4_T5_mmT6_P12ihipStream_tbEUlT_E_NS1_11comp_targetILNS1_3genE4ELNS1_11target_archE910ELNS1_3gpuE8ELNS1_3repE0EEENS1_30default_config_static_selectorELNS0_4arch9wavefront6targetE0EEEvS10_.kd
    .uniform_work_group_size: 1
    .uses_dynamic_stack: false
    .vgpr_count:     0
    .vgpr_spill_count: 0
    .wavefront_size: 32
    .workgroup_processor_mode: 1
  - .args:
      - .offset:         0
        .size:           64
        .value_kind:     by_value
    .group_segment_fixed_size: 0
    .kernarg_segment_align: 8
    .kernarg_segment_size: 64
    .language:       OpenCL C
    .language_version:
      - 2
      - 0
    .max_flat_workgroup_size: 256
    .name:           _ZN7rocprim17ROCPRIM_400000_NS6detail17trampoline_kernelINS0_14default_configENS1_21merge_config_selectorINS0_5tupleIJttEEENS0_10empty_typeEEEZNS1_10merge_implIS3_NS0_12zip_iteratorINS5_IJN6thrust23THRUST_200600_302600_NS6detail15normal_iteratorINSC_10device_ptrIKtEEEESI_EEEEESK_NSA_INS5_IJNSE_INSF_ItEEEESM_EEEEEPS7_SP_SP_NSC_11hip_rocprim7__merge17predicate_wrapperIttNSC_4lessItEEEEEE10hipError_tPvRmT0_T1_T2_T3_T4_T5_mmT6_P12ihipStream_tbEUlT_E_NS1_11comp_targetILNS1_3genE3ELNS1_11target_archE908ELNS1_3gpuE7ELNS1_3repE0EEENS1_30default_config_static_selectorELNS0_4arch9wavefront6targetE0EEEvS10_
    .private_segment_fixed_size: 0
    .sgpr_count:     0
    .sgpr_spill_count: 0
    .symbol:         _ZN7rocprim17ROCPRIM_400000_NS6detail17trampoline_kernelINS0_14default_configENS1_21merge_config_selectorINS0_5tupleIJttEEENS0_10empty_typeEEEZNS1_10merge_implIS3_NS0_12zip_iteratorINS5_IJN6thrust23THRUST_200600_302600_NS6detail15normal_iteratorINSC_10device_ptrIKtEEEESI_EEEEESK_NSA_INS5_IJNSE_INSF_ItEEEESM_EEEEEPS7_SP_SP_NSC_11hip_rocprim7__merge17predicate_wrapperIttNSC_4lessItEEEEEE10hipError_tPvRmT0_T1_T2_T3_T4_T5_mmT6_P12ihipStream_tbEUlT_E_NS1_11comp_targetILNS1_3genE3ELNS1_11target_archE908ELNS1_3gpuE7ELNS1_3repE0EEENS1_30default_config_static_selectorELNS0_4arch9wavefront6targetE0EEEvS10_.kd
    .uniform_work_group_size: 1
    .uses_dynamic_stack: false
    .vgpr_count:     0
    .vgpr_spill_count: 0
    .wavefront_size: 32
    .workgroup_processor_mode: 1
  - .args:
      - .offset:         0
        .size:           64
        .value_kind:     by_value
    .group_segment_fixed_size: 0
    .kernarg_segment_align: 8
    .kernarg_segment_size: 64
    .language:       OpenCL C
    .language_version:
      - 2
      - 0
    .max_flat_workgroup_size: 256
    .name:           _ZN7rocprim17ROCPRIM_400000_NS6detail17trampoline_kernelINS0_14default_configENS1_21merge_config_selectorINS0_5tupleIJttEEENS0_10empty_typeEEEZNS1_10merge_implIS3_NS0_12zip_iteratorINS5_IJN6thrust23THRUST_200600_302600_NS6detail15normal_iteratorINSC_10device_ptrIKtEEEESI_EEEEESK_NSA_INS5_IJNSE_INSF_ItEEEESM_EEEEEPS7_SP_SP_NSC_11hip_rocprim7__merge17predicate_wrapperIttNSC_4lessItEEEEEE10hipError_tPvRmT0_T1_T2_T3_T4_T5_mmT6_P12ihipStream_tbEUlT_E_NS1_11comp_targetILNS1_3genE2ELNS1_11target_archE906ELNS1_3gpuE6ELNS1_3repE0EEENS1_30default_config_static_selectorELNS0_4arch9wavefront6targetE0EEEvS10_
    .private_segment_fixed_size: 0
    .sgpr_count:     0
    .sgpr_spill_count: 0
    .symbol:         _ZN7rocprim17ROCPRIM_400000_NS6detail17trampoline_kernelINS0_14default_configENS1_21merge_config_selectorINS0_5tupleIJttEEENS0_10empty_typeEEEZNS1_10merge_implIS3_NS0_12zip_iteratorINS5_IJN6thrust23THRUST_200600_302600_NS6detail15normal_iteratorINSC_10device_ptrIKtEEEESI_EEEEESK_NSA_INS5_IJNSE_INSF_ItEEEESM_EEEEEPS7_SP_SP_NSC_11hip_rocprim7__merge17predicate_wrapperIttNSC_4lessItEEEEEE10hipError_tPvRmT0_T1_T2_T3_T4_T5_mmT6_P12ihipStream_tbEUlT_E_NS1_11comp_targetILNS1_3genE2ELNS1_11target_archE906ELNS1_3gpuE6ELNS1_3repE0EEENS1_30default_config_static_selectorELNS0_4arch9wavefront6targetE0EEEvS10_.kd
    .uniform_work_group_size: 1
    .uses_dynamic_stack: false
    .vgpr_count:     0
    .vgpr_spill_count: 0
    .wavefront_size: 32
    .workgroup_processor_mode: 1
  - .args:
      - .offset:         0
        .size:           64
        .value_kind:     by_value
    .group_segment_fixed_size: 0
    .kernarg_segment_align: 8
    .kernarg_segment_size: 64
    .language:       OpenCL C
    .language_version:
      - 2
      - 0
    .max_flat_workgroup_size: 1024
    .name:           _ZN7rocprim17ROCPRIM_400000_NS6detail17trampoline_kernelINS0_14default_configENS1_21merge_config_selectorINS0_5tupleIJttEEENS0_10empty_typeEEEZNS1_10merge_implIS3_NS0_12zip_iteratorINS5_IJN6thrust23THRUST_200600_302600_NS6detail15normal_iteratorINSC_10device_ptrIKtEEEESI_EEEEESK_NSA_INS5_IJNSE_INSF_ItEEEESM_EEEEEPS7_SP_SP_NSC_11hip_rocprim7__merge17predicate_wrapperIttNSC_4lessItEEEEEE10hipError_tPvRmT0_T1_T2_T3_T4_T5_mmT6_P12ihipStream_tbEUlT_E_NS1_11comp_targetILNS1_3genE10ELNS1_11target_archE1201ELNS1_3gpuE5ELNS1_3repE0EEENS1_30default_config_static_selectorELNS0_4arch9wavefront6targetE0EEEvS10_
    .private_segment_fixed_size: 0
    .sgpr_count:     0
    .sgpr_spill_count: 0
    .symbol:         _ZN7rocprim17ROCPRIM_400000_NS6detail17trampoline_kernelINS0_14default_configENS1_21merge_config_selectorINS0_5tupleIJttEEENS0_10empty_typeEEEZNS1_10merge_implIS3_NS0_12zip_iteratorINS5_IJN6thrust23THRUST_200600_302600_NS6detail15normal_iteratorINSC_10device_ptrIKtEEEESI_EEEEESK_NSA_INS5_IJNSE_INSF_ItEEEESM_EEEEEPS7_SP_SP_NSC_11hip_rocprim7__merge17predicate_wrapperIttNSC_4lessItEEEEEE10hipError_tPvRmT0_T1_T2_T3_T4_T5_mmT6_P12ihipStream_tbEUlT_E_NS1_11comp_targetILNS1_3genE10ELNS1_11target_archE1201ELNS1_3gpuE5ELNS1_3repE0EEENS1_30default_config_static_selectorELNS0_4arch9wavefront6targetE0EEEvS10_.kd
    .uniform_work_group_size: 1
    .uses_dynamic_stack: false
    .vgpr_count:     0
    .vgpr_spill_count: 0
    .wavefront_size: 32
    .workgroup_processor_mode: 1
  - .args:
      - .offset:         0
        .size:           64
        .value_kind:     by_value
    .group_segment_fixed_size: 0
    .kernarg_segment_align: 8
    .kernarg_segment_size: 64
    .language:       OpenCL C
    .language_version:
      - 2
      - 0
    .max_flat_workgroup_size: 1024
    .name:           _ZN7rocprim17ROCPRIM_400000_NS6detail17trampoline_kernelINS0_14default_configENS1_21merge_config_selectorINS0_5tupleIJttEEENS0_10empty_typeEEEZNS1_10merge_implIS3_NS0_12zip_iteratorINS5_IJN6thrust23THRUST_200600_302600_NS6detail15normal_iteratorINSC_10device_ptrIKtEEEESI_EEEEESK_NSA_INS5_IJNSE_INSF_ItEEEESM_EEEEEPS7_SP_SP_NSC_11hip_rocprim7__merge17predicate_wrapperIttNSC_4lessItEEEEEE10hipError_tPvRmT0_T1_T2_T3_T4_T5_mmT6_P12ihipStream_tbEUlT_E_NS1_11comp_targetILNS1_3genE10ELNS1_11target_archE1200ELNS1_3gpuE4ELNS1_3repE0EEENS1_30default_config_static_selectorELNS0_4arch9wavefront6targetE0EEEvS10_
    .private_segment_fixed_size: 0
    .sgpr_count:     0
    .sgpr_spill_count: 0
    .symbol:         _ZN7rocprim17ROCPRIM_400000_NS6detail17trampoline_kernelINS0_14default_configENS1_21merge_config_selectorINS0_5tupleIJttEEENS0_10empty_typeEEEZNS1_10merge_implIS3_NS0_12zip_iteratorINS5_IJN6thrust23THRUST_200600_302600_NS6detail15normal_iteratorINSC_10device_ptrIKtEEEESI_EEEEESK_NSA_INS5_IJNSE_INSF_ItEEEESM_EEEEEPS7_SP_SP_NSC_11hip_rocprim7__merge17predicate_wrapperIttNSC_4lessItEEEEEE10hipError_tPvRmT0_T1_T2_T3_T4_T5_mmT6_P12ihipStream_tbEUlT_E_NS1_11comp_targetILNS1_3genE10ELNS1_11target_archE1200ELNS1_3gpuE4ELNS1_3repE0EEENS1_30default_config_static_selectorELNS0_4arch9wavefront6targetE0EEEvS10_.kd
    .uniform_work_group_size: 1
    .uses_dynamic_stack: false
    .vgpr_count:     0
    .vgpr_spill_count: 0
    .wavefront_size: 32
    .workgroup_processor_mode: 1
  - .args:
      - .offset:         0
        .size:           64
        .value_kind:     by_value
    .group_segment_fixed_size: 0
    .kernarg_segment_align: 8
    .kernarg_segment_size: 64
    .language:       OpenCL C
    .language_version:
      - 2
      - 0
    .max_flat_workgroup_size: 1024
    .name:           _ZN7rocprim17ROCPRIM_400000_NS6detail17trampoline_kernelINS0_14default_configENS1_21merge_config_selectorINS0_5tupleIJttEEENS0_10empty_typeEEEZNS1_10merge_implIS3_NS0_12zip_iteratorINS5_IJN6thrust23THRUST_200600_302600_NS6detail15normal_iteratorINSC_10device_ptrIKtEEEESI_EEEEESK_NSA_INS5_IJNSE_INSF_ItEEEESM_EEEEEPS7_SP_SP_NSC_11hip_rocprim7__merge17predicate_wrapperIttNSC_4lessItEEEEEE10hipError_tPvRmT0_T1_T2_T3_T4_T5_mmT6_P12ihipStream_tbEUlT_E_NS1_11comp_targetILNS1_3genE9ELNS1_11target_archE1100ELNS1_3gpuE3ELNS1_3repE0EEENS1_30default_config_static_selectorELNS0_4arch9wavefront6targetE0EEEvS10_
    .private_segment_fixed_size: 0
    .sgpr_count:     0
    .sgpr_spill_count: 0
    .symbol:         _ZN7rocprim17ROCPRIM_400000_NS6detail17trampoline_kernelINS0_14default_configENS1_21merge_config_selectorINS0_5tupleIJttEEENS0_10empty_typeEEEZNS1_10merge_implIS3_NS0_12zip_iteratorINS5_IJN6thrust23THRUST_200600_302600_NS6detail15normal_iteratorINSC_10device_ptrIKtEEEESI_EEEEESK_NSA_INS5_IJNSE_INSF_ItEEEESM_EEEEEPS7_SP_SP_NSC_11hip_rocprim7__merge17predicate_wrapperIttNSC_4lessItEEEEEE10hipError_tPvRmT0_T1_T2_T3_T4_T5_mmT6_P12ihipStream_tbEUlT_E_NS1_11comp_targetILNS1_3genE9ELNS1_11target_archE1100ELNS1_3gpuE3ELNS1_3repE0EEENS1_30default_config_static_selectorELNS0_4arch9wavefront6targetE0EEEvS10_.kd
    .uniform_work_group_size: 1
    .uses_dynamic_stack: false
    .vgpr_count:     0
    .vgpr_spill_count: 0
    .wavefront_size: 32
    .workgroup_processor_mode: 1
  - .args:
      - .offset:         0
        .size:           64
        .value_kind:     by_value
      - .offset:         64
        .size:           4
        .value_kind:     hidden_block_count_x
      - .offset:         68
        .size:           4
        .value_kind:     hidden_block_count_y
      - .offset:         72
        .size:           4
        .value_kind:     hidden_block_count_z
      - .offset:         76
        .size:           2
        .value_kind:     hidden_group_size_x
      - .offset:         78
        .size:           2
        .value_kind:     hidden_group_size_y
      - .offset:         80
        .size:           2
        .value_kind:     hidden_group_size_z
      - .offset:         82
        .size:           2
        .value_kind:     hidden_remainder_x
      - .offset:         84
        .size:           2
        .value_kind:     hidden_remainder_y
      - .offset:         86
        .size:           2
        .value_kind:     hidden_remainder_z
      - .offset:         104
        .size:           8
        .value_kind:     hidden_global_offset_x
      - .offset:         112
        .size:           8
        .value_kind:     hidden_global_offset_y
      - .offset:         120
        .size:           8
        .value_kind:     hidden_global_offset_z
      - .offset:         128
        .size:           2
        .value_kind:     hidden_grid_dims
    .group_segment_fixed_size: 0
    .kernarg_segment_align: 8
    .kernarg_segment_size: 320
    .language:       OpenCL C
    .language_version:
      - 2
      - 0
    .max_flat_workgroup_size: 1024
    .name:           _ZN7rocprim17ROCPRIM_400000_NS6detail17trampoline_kernelINS0_14default_configENS1_21merge_config_selectorINS0_5tupleIJttEEENS0_10empty_typeEEEZNS1_10merge_implIS3_NS0_12zip_iteratorINS5_IJN6thrust23THRUST_200600_302600_NS6detail15normal_iteratorINSC_10device_ptrIKtEEEESI_EEEEESK_NSA_INS5_IJNSE_INSF_ItEEEESM_EEEEEPS7_SP_SP_NSC_11hip_rocprim7__merge17predicate_wrapperIttNSC_4lessItEEEEEE10hipError_tPvRmT0_T1_T2_T3_T4_T5_mmT6_P12ihipStream_tbEUlT_E_NS1_11comp_targetILNS1_3genE8ELNS1_11target_archE1030ELNS1_3gpuE2ELNS1_3repE0EEENS1_30default_config_static_selectorELNS0_4arch9wavefront6targetE0EEEvS10_
    .private_segment_fixed_size: 0
    .sgpr_count:     18
    .sgpr_spill_count: 0
    .symbol:         _ZN7rocprim17ROCPRIM_400000_NS6detail17trampoline_kernelINS0_14default_configENS1_21merge_config_selectorINS0_5tupleIJttEEENS0_10empty_typeEEEZNS1_10merge_implIS3_NS0_12zip_iteratorINS5_IJN6thrust23THRUST_200600_302600_NS6detail15normal_iteratorINSC_10device_ptrIKtEEEESI_EEEEESK_NSA_INS5_IJNSE_INSF_ItEEEESM_EEEEEPS7_SP_SP_NSC_11hip_rocprim7__merge17predicate_wrapperIttNSC_4lessItEEEEEE10hipError_tPvRmT0_T1_T2_T3_T4_T5_mmT6_P12ihipStream_tbEUlT_E_NS1_11comp_targetILNS1_3genE8ELNS1_11target_archE1030ELNS1_3gpuE2ELNS1_3repE0EEENS1_30default_config_static_selectorELNS0_4arch9wavefront6targetE0EEEvS10_.kd
    .uniform_work_group_size: 1
    .uses_dynamic_stack: false
    .vgpr_count:     13
    .vgpr_spill_count: 0
    .wavefront_size: 32
    .workgroup_processor_mode: 1
  - .args:
      - .offset:         0
        .size:           112
        .value_kind:     by_value
    .group_segment_fixed_size: 0
    .kernarg_segment_align: 8
    .kernarg_segment_size: 112
    .language:       OpenCL C
    .language_version:
      - 2
      - 0
    .max_flat_workgroup_size: 256
    .name:           _ZN7rocprim17ROCPRIM_400000_NS6detail17trampoline_kernelINS0_14default_configENS1_21merge_config_selectorINS0_5tupleIJttEEENS0_10empty_typeEEEZNS1_10merge_implIS3_NS0_12zip_iteratorINS5_IJN6thrust23THRUST_200600_302600_NS6detail15normal_iteratorINSC_10device_ptrIKtEEEESI_EEEEESK_NSA_INS5_IJNSE_INSF_ItEEEESM_EEEEEPS7_SP_SP_NSC_11hip_rocprim7__merge17predicate_wrapperIttNSC_4lessItEEEEEE10hipError_tPvRmT0_T1_T2_T3_T4_T5_mmT6_P12ihipStream_tbEUlT_E0_NS1_11comp_targetILNS1_3genE0ELNS1_11target_archE4294967295ELNS1_3gpuE0ELNS1_3repE0EEENS1_30default_config_static_selectorELNS0_4arch9wavefront6targetE0EEEvS10_
    .private_segment_fixed_size: 0
    .sgpr_count:     0
    .sgpr_spill_count: 0
    .symbol:         _ZN7rocprim17ROCPRIM_400000_NS6detail17trampoline_kernelINS0_14default_configENS1_21merge_config_selectorINS0_5tupleIJttEEENS0_10empty_typeEEEZNS1_10merge_implIS3_NS0_12zip_iteratorINS5_IJN6thrust23THRUST_200600_302600_NS6detail15normal_iteratorINSC_10device_ptrIKtEEEESI_EEEEESK_NSA_INS5_IJNSE_INSF_ItEEEESM_EEEEEPS7_SP_SP_NSC_11hip_rocprim7__merge17predicate_wrapperIttNSC_4lessItEEEEEE10hipError_tPvRmT0_T1_T2_T3_T4_T5_mmT6_P12ihipStream_tbEUlT_E0_NS1_11comp_targetILNS1_3genE0ELNS1_11target_archE4294967295ELNS1_3gpuE0ELNS1_3repE0EEENS1_30default_config_static_selectorELNS0_4arch9wavefront6targetE0EEEvS10_.kd
    .uniform_work_group_size: 1
    .uses_dynamic_stack: false
    .vgpr_count:     0
    .vgpr_spill_count: 0
    .wavefront_size: 32
    .workgroup_processor_mode: 1
  - .args:
      - .offset:         0
        .size:           112
        .value_kind:     by_value
    .group_segment_fixed_size: 0
    .kernarg_segment_align: 8
    .kernarg_segment_size: 112
    .language:       OpenCL C
    .language_version:
      - 2
      - 0
    .max_flat_workgroup_size: 256
    .name:           _ZN7rocprim17ROCPRIM_400000_NS6detail17trampoline_kernelINS0_14default_configENS1_21merge_config_selectorINS0_5tupleIJttEEENS0_10empty_typeEEEZNS1_10merge_implIS3_NS0_12zip_iteratorINS5_IJN6thrust23THRUST_200600_302600_NS6detail15normal_iteratorINSC_10device_ptrIKtEEEESI_EEEEESK_NSA_INS5_IJNSE_INSF_ItEEEESM_EEEEEPS7_SP_SP_NSC_11hip_rocprim7__merge17predicate_wrapperIttNSC_4lessItEEEEEE10hipError_tPvRmT0_T1_T2_T3_T4_T5_mmT6_P12ihipStream_tbEUlT_E0_NS1_11comp_targetILNS1_3genE5ELNS1_11target_archE942ELNS1_3gpuE9ELNS1_3repE0EEENS1_30default_config_static_selectorELNS0_4arch9wavefront6targetE0EEEvS10_
    .private_segment_fixed_size: 0
    .sgpr_count:     0
    .sgpr_spill_count: 0
    .symbol:         _ZN7rocprim17ROCPRIM_400000_NS6detail17trampoline_kernelINS0_14default_configENS1_21merge_config_selectorINS0_5tupleIJttEEENS0_10empty_typeEEEZNS1_10merge_implIS3_NS0_12zip_iteratorINS5_IJN6thrust23THRUST_200600_302600_NS6detail15normal_iteratorINSC_10device_ptrIKtEEEESI_EEEEESK_NSA_INS5_IJNSE_INSF_ItEEEESM_EEEEEPS7_SP_SP_NSC_11hip_rocprim7__merge17predicate_wrapperIttNSC_4lessItEEEEEE10hipError_tPvRmT0_T1_T2_T3_T4_T5_mmT6_P12ihipStream_tbEUlT_E0_NS1_11comp_targetILNS1_3genE5ELNS1_11target_archE942ELNS1_3gpuE9ELNS1_3repE0EEENS1_30default_config_static_selectorELNS0_4arch9wavefront6targetE0EEEvS10_.kd
    .uniform_work_group_size: 1
    .uses_dynamic_stack: false
    .vgpr_count:     0
    .vgpr_spill_count: 0
    .wavefront_size: 32
    .workgroup_processor_mode: 1
  - .args:
      - .offset:         0
        .size:           112
        .value_kind:     by_value
    .group_segment_fixed_size: 0
    .kernarg_segment_align: 8
    .kernarg_segment_size: 112
    .language:       OpenCL C
    .language_version:
      - 2
      - 0
    .max_flat_workgroup_size: 256
    .name:           _ZN7rocprim17ROCPRIM_400000_NS6detail17trampoline_kernelINS0_14default_configENS1_21merge_config_selectorINS0_5tupleIJttEEENS0_10empty_typeEEEZNS1_10merge_implIS3_NS0_12zip_iteratorINS5_IJN6thrust23THRUST_200600_302600_NS6detail15normal_iteratorINSC_10device_ptrIKtEEEESI_EEEEESK_NSA_INS5_IJNSE_INSF_ItEEEESM_EEEEEPS7_SP_SP_NSC_11hip_rocprim7__merge17predicate_wrapperIttNSC_4lessItEEEEEE10hipError_tPvRmT0_T1_T2_T3_T4_T5_mmT6_P12ihipStream_tbEUlT_E0_NS1_11comp_targetILNS1_3genE4ELNS1_11target_archE910ELNS1_3gpuE8ELNS1_3repE0EEENS1_30default_config_static_selectorELNS0_4arch9wavefront6targetE0EEEvS10_
    .private_segment_fixed_size: 0
    .sgpr_count:     0
    .sgpr_spill_count: 0
    .symbol:         _ZN7rocprim17ROCPRIM_400000_NS6detail17trampoline_kernelINS0_14default_configENS1_21merge_config_selectorINS0_5tupleIJttEEENS0_10empty_typeEEEZNS1_10merge_implIS3_NS0_12zip_iteratorINS5_IJN6thrust23THRUST_200600_302600_NS6detail15normal_iteratorINSC_10device_ptrIKtEEEESI_EEEEESK_NSA_INS5_IJNSE_INSF_ItEEEESM_EEEEEPS7_SP_SP_NSC_11hip_rocprim7__merge17predicate_wrapperIttNSC_4lessItEEEEEE10hipError_tPvRmT0_T1_T2_T3_T4_T5_mmT6_P12ihipStream_tbEUlT_E0_NS1_11comp_targetILNS1_3genE4ELNS1_11target_archE910ELNS1_3gpuE8ELNS1_3repE0EEENS1_30default_config_static_selectorELNS0_4arch9wavefront6targetE0EEEvS10_.kd
    .uniform_work_group_size: 1
    .uses_dynamic_stack: false
    .vgpr_count:     0
    .vgpr_spill_count: 0
    .wavefront_size: 32
    .workgroup_processor_mode: 1
  - .args:
      - .offset:         0
        .size:           112
        .value_kind:     by_value
    .group_segment_fixed_size: 0
    .kernarg_segment_align: 8
    .kernarg_segment_size: 112
    .language:       OpenCL C
    .language_version:
      - 2
      - 0
    .max_flat_workgroup_size: 256
    .name:           _ZN7rocprim17ROCPRIM_400000_NS6detail17trampoline_kernelINS0_14default_configENS1_21merge_config_selectorINS0_5tupleIJttEEENS0_10empty_typeEEEZNS1_10merge_implIS3_NS0_12zip_iteratorINS5_IJN6thrust23THRUST_200600_302600_NS6detail15normal_iteratorINSC_10device_ptrIKtEEEESI_EEEEESK_NSA_INS5_IJNSE_INSF_ItEEEESM_EEEEEPS7_SP_SP_NSC_11hip_rocprim7__merge17predicate_wrapperIttNSC_4lessItEEEEEE10hipError_tPvRmT0_T1_T2_T3_T4_T5_mmT6_P12ihipStream_tbEUlT_E0_NS1_11comp_targetILNS1_3genE3ELNS1_11target_archE908ELNS1_3gpuE7ELNS1_3repE0EEENS1_30default_config_static_selectorELNS0_4arch9wavefront6targetE0EEEvS10_
    .private_segment_fixed_size: 0
    .sgpr_count:     0
    .sgpr_spill_count: 0
    .symbol:         _ZN7rocprim17ROCPRIM_400000_NS6detail17trampoline_kernelINS0_14default_configENS1_21merge_config_selectorINS0_5tupleIJttEEENS0_10empty_typeEEEZNS1_10merge_implIS3_NS0_12zip_iteratorINS5_IJN6thrust23THRUST_200600_302600_NS6detail15normal_iteratorINSC_10device_ptrIKtEEEESI_EEEEESK_NSA_INS5_IJNSE_INSF_ItEEEESM_EEEEEPS7_SP_SP_NSC_11hip_rocprim7__merge17predicate_wrapperIttNSC_4lessItEEEEEE10hipError_tPvRmT0_T1_T2_T3_T4_T5_mmT6_P12ihipStream_tbEUlT_E0_NS1_11comp_targetILNS1_3genE3ELNS1_11target_archE908ELNS1_3gpuE7ELNS1_3repE0EEENS1_30default_config_static_selectorELNS0_4arch9wavefront6targetE0EEEvS10_.kd
    .uniform_work_group_size: 1
    .uses_dynamic_stack: false
    .vgpr_count:     0
    .vgpr_spill_count: 0
    .wavefront_size: 32
    .workgroup_processor_mode: 1
  - .args:
      - .offset:         0
        .size:           112
        .value_kind:     by_value
    .group_segment_fixed_size: 0
    .kernarg_segment_align: 8
    .kernarg_segment_size: 112
    .language:       OpenCL C
    .language_version:
      - 2
      - 0
    .max_flat_workgroup_size: 256
    .name:           _ZN7rocprim17ROCPRIM_400000_NS6detail17trampoline_kernelINS0_14default_configENS1_21merge_config_selectorINS0_5tupleIJttEEENS0_10empty_typeEEEZNS1_10merge_implIS3_NS0_12zip_iteratorINS5_IJN6thrust23THRUST_200600_302600_NS6detail15normal_iteratorINSC_10device_ptrIKtEEEESI_EEEEESK_NSA_INS5_IJNSE_INSF_ItEEEESM_EEEEEPS7_SP_SP_NSC_11hip_rocprim7__merge17predicate_wrapperIttNSC_4lessItEEEEEE10hipError_tPvRmT0_T1_T2_T3_T4_T5_mmT6_P12ihipStream_tbEUlT_E0_NS1_11comp_targetILNS1_3genE2ELNS1_11target_archE906ELNS1_3gpuE6ELNS1_3repE0EEENS1_30default_config_static_selectorELNS0_4arch9wavefront6targetE0EEEvS10_
    .private_segment_fixed_size: 0
    .sgpr_count:     0
    .sgpr_spill_count: 0
    .symbol:         _ZN7rocprim17ROCPRIM_400000_NS6detail17trampoline_kernelINS0_14default_configENS1_21merge_config_selectorINS0_5tupleIJttEEENS0_10empty_typeEEEZNS1_10merge_implIS3_NS0_12zip_iteratorINS5_IJN6thrust23THRUST_200600_302600_NS6detail15normal_iteratorINSC_10device_ptrIKtEEEESI_EEEEESK_NSA_INS5_IJNSE_INSF_ItEEEESM_EEEEEPS7_SP_SP_NSC_11hip_rocprim7__merge17predicate_wrapperIttNSC_4lessItEEEEEE10hipError_tPvRmT0_T1_T2_T3_T4_T5_mmT6_P12ihipStream_tbEUlT_E0_NS1_11comp_targetILNS1_3genE2ELNS1_11target_archE906ELNS1_3gpuE6ELNS1_3repE0EEENS1_30default_config_static_selectorELNS0_4arch9wavefront6targetE0EEEvS10_.kd
    .uniform_work_group_size: 1
    .uses_dynamic_stack: false
    .vgpr_count:     0
    .vgpr_spill_count: 0
    .wavefront_size: 32
    .workgroup_processor_mode: 1
  - .args:
      - .offset:         0
        .size:           112
        .value_kind:     by_value
    .group_segment_fixed_size: 0
    .kernarg_segment_align: 8
    .kernarg_segment_size: 112
    .language:       OpenCL C
    .language_version:
      - 2
      - 0
    .max_flat_workgroup_size: 1024
    .name:           _ZN7rocprim17ROCPRIM_400000_NS6detail17trampoline_kernelINS0_14default_configENS1_21merge_config_selectorINS0_5tupleIJttEEENS0_10empty_typeEEEZNS1_10merge_implIS3_NS0_12zip_iteratorINS5_IJN6thrust23THRUST_200600_302600_NS6detail15normal_iteratorINSC_10device_ptrIKtEEEESI_EEEEESK_NSA_INS5_IJNSE_INSF_ItEEEESM_EEEEEPS7_SP_SP_NSC_11hip_rocprim7__merge17predicate_wrapperIttNSC_4lessItEEEEEE10hipError_tPvRmT0_T1_T2_T3_T4_T5_mmT6_P12ihipStream_tbEUlT_E0_NS1_11comp_targetILNS1_3genE10ELNS1_11target_archE1201ELNS1_3gpuE5ELNS1_3repE0EEENS1_30default_config_static_selectorELNS0_4arch9wavefront6targetE0EEEvS10_
    .private_segment_fixed_size: 0
    .sgpr_count:     0
    .sgpr_spill_count: 0
    .symbol:         _ZN7rocprim17ROCPRIM_400000_NS6detail17trampoline_kernelINS0_14default_configENS1_21merge_config_selectorINS0_5tupleIJttEEENS0_10empty_typeEEEZNS1_10merge_implIS3_NS0_12zip_iteratorINS5_IJN6thrust23THRUST_200600_302600_NS6detail15normal_iteratorINSC_10device_ptrIKtEEEESI_EEEEESK_NSA_INS5_IJNSE_INSF_ItEEEESM_EEEEEPS7_SP_SP_NSC_11hip_rocprim7__merge17predicate_wrapperIttNSC_4lessItEEEEEE10hipError_tPvRmT0_T1_T2_T3_T4_T5_mmT6_P12ihipStream_tbEUlT_E0_NS1_11comp_targetILNS1_3genE10ELNS1_11target_archE1201ELNS1_3gpuE5ELNS1_3repE0EEENS1_30default_config_static_selectorELNS0_4arch9wavefront6targetE0EEEvS10_.kd
    .uniform_work_group_size: 1
    .uses_dynamic_stack: false
    .vgpr_count:     0
    .vgpr_spill_count: 0
    .wavefront_size: 32
    .workgroup_processor_mode: 1
  - .args:
      - .offset:         0
        .size:           112
        .value_kind:     by_value
    .group_segment_fixed_size: 0
    .kernarg_segment_align: 8
    .kernarg_segment_size: 112
    .language:       OpenCL C
    .language_version:
      - 2
      - 0
    .max_flat_workgroup_size: 1024
    .name:           _ZN7rocprim17ROCPRIM_400000_NS6detail17trampoline_kernelINS0_14default_configENS1_21merge_config_selectorINS0_5tupleIJttEEENS0_10empty_typeEEEZNS1_10merge_implIS3_NS0_12zip_iteratorINS5_IJN6thrust23THRUST_200600_302600_NS6detail15normal_iteratorINSC_10device_ptrIKtEEEESI_EEEEESK_NSA_INS5_IJNSE_INSF_ItEEEESM_EEEEEPS7_SP_SP_NSC_11hip_rocprim7__merge17predicate_wrapperIttNSC_4lessItEEEEEE10hipError_tPvRmT0_T1_T2_T3_T4_T5_mmT6_P12ihipStream_tbEUlT_E0_NS1_11comp_targetILNS1_3genE10ELNS1_11target_archE1200ELNS1_3gpuE4ELNS1_3repE0EEENS1_30default_config_static_selectorELNS0_4arch9wavefront6targetE0EEEvS10_
    .private_segment_fixed_size: 0
    .sgpr_count:     0
    .sgpr_spill_count: 0
    .symbol:         _ZN7rocprim17ROCPRIM_400000_NS6detail17trampoline_kernelINS0_14default_configENS1_21merge_config_selectorINS0_5tupleIJttEEENS0_10empty_typeEEEZNS1_10merge_implIS3_NS0_12zip_iteratorINS5_IJN6thrust23THRUST_200600_302600_NS6detail15normal_iteratorINSC_10device_ptrIKtEEEESI_EEEEESK_NSA_INS5_IJNSE_INSF_ItEEEESM_EEEEEPS7_SP_SP_NSC_11hip_rocprim7__merge17predicate_wrapperIttNSC_4lessItEEEEEE10hipError_tPvRmT0_T1_T2_T3_T4_T5_mmT6_P12ihipStream_tbEUlT_E0_NS1_11comp_targetILNS1_3genE10ELNS1_11target_archE1200ELNS1_3gpuE4ELNS1_3repE0EEENS1_30default_config_static_selectorELNS0_4arch9wavefront6targetE0EEEvS10_.kd
    .uniform_work_group_size: 1
    .uses_dynamic_stack: false
    .vgpr_count:     0
    .vgpr_spill_count: 0
    .wavefront_size: 32
    .workgroup_processor_mode: 1
  - .args:
      - .offset:         0
        .size:           112
        .value_kind:     by_value
    .group_segment_fixed_size: 0
    .kernarg_segment_align: 8
    .kernarg_segment_size: 112
    .language:       OpenCL C
    .language_version:
      - 2
      - 0
    .max_flat_workgroup_size: 1024
    .name:           _ZN7rocprim17ROCPRIM_400000_NS6detail17trampoline_kernelINS0_14default_configENS1_21merge_config_selectorINS0_5tupleIJttEEENS0_10empty_typeEEEZNS1_10merge_implIS3_NS0_12zip_iteratorINS5_IJN6thrust23THRUST_200600_302600_NS6detail15normal_iteratorINSC_10device_ptrIKtEEEESI_EEEEESK_NSA_INS5_IJNSE_INSF_ItEEEESM_EEEEEPS7_SP_SP_NSC_11hip_rocprim7__merge17predicate_wrapperIttNSC_4lessItEEEEEE10hipError_tPvRmT0_T1_T2_T3_T4_T5_mmT6_P12ihipStream_tbEUlT_E0_NS1_11comp_targetILNS1_3genE9ELNS1_11target_archE1100ELNS1_3gpuE3ELNS1_3repE0EEENS1_30default_config_static_selectorELNS0_4arch9wavefront6targetE0EEEvS10_
    .private_segment_fixed_size: 0
    .sgpr_count:     0
    .sgpr_spill_count: 0
    .symbol:         _ZN7rocprim17ROCPRIM_400000_NS6detail17trampoline_kernelINS0_14default_configENS1_21merge_config_selectorINS0_5tupleIJttEEENS0_10empty_typeEEEZNS1_10merge_implIS3_NS0_12zip_iteratorINS5_IJN6thrust23THRUST_200600_302600_NS6detail15normal_iteratorINSC_10device_ptrIKtEEEESI_EEEEESK_NSA_INS5_IJNSE_INSF_ItEEEESM_EEEEEPS7_SP_SP_NSC_11hip_rocprim7__merge17predicate_wrapperIttNSC_4lessItEEEEEE10hipError_tPvRmT0_T1_T2_T3_T4_T5_mmT6_P12ihipStream_tbEUlT_E0_NS1_11comp_targetILNS1_3genE9ELNS1_11target_archE1100ELNS1_3gpuE3ELNS1_3repE0EEENS1_30default_config_static_selectorELNS0_4arch9wavefront6targetE0EEEvS10_.kd
    .uniform_work_group_size: 1
    .uses_dynamic_stack: false
    .vgpr_count:     0
    .vgpr_spill_count: 0
    .wavefront_size: 32
    .workgroup_processor_mode: 1
  - .args:
      - .offset:         0
        .size:           112
        .value_kind:     by_value
    .group_segment_fixed_size: 33792
    .kernarg_segment_align: 8
    .kernarg_segment_size: 112
    .language:       OpenCL C
    .language_version:
      - 2
      - 0
    .max_flat_workgroup_size: 1024
    .name:           _ZN7rocprim17ROCPRIM_400000_NS6detail17trampoline_kernelINS0_14default_configENS1_21merge_config_selectorINS0_5tupleIJttEEENS0_10empty_typeEEEZNS1_10merge_implIS3_NS0_12zip_iteratorINS5_IJN6thrust23THRUST_200600_302600_NS6detail15normal_iteratorINSC_10device_ptrIKtEEEESI_EEEEESK_NSA_INS5_IJNSE_INSF_ItEEEESM_EEEEEPS7_SP_SP_NSC_11hip_rocprim7__merge17predicate_wrapperIttNSC_4lessItEEEEEE10hipError_tPvRmT0_T1_T2_T3_T4_T5_mmT6_P12ihipStream_tbEUlT_E0_NS1_11comp_targetILNS1_3genE8ELNS1_11target_archE1030ELNS1_3gpuE2ELNS1_3repE0EEENS1_30default_config_static_selectorELNS0_4arch9wavefront6targetE0EEEvS10_
    .private_segment_fixed_size: 0
    .sgpr_count:     28
    .sgpr_spill_count: 0
    .symbol:         _ZN7rocprim17ROCPRIM_400000_NS6detail17trampoline_kernelINS0_14default_configENS1_21merge_config_selectorINS0_5tupleIJttEEENS0_10empty_typeEEEZNS1_10merge_implIS3_NS0_12zip_iteratorINS5_IJN6thrust23THRUST_200600_302600_NS6detail15normal_iteratorINSC_10device_ptrIKtEEEESI_EEEEESK_NSA_INS5_IJNSE_INSF_ItEEEESM_EEEEEPS7_SP_SP_NSC_11hip_rocprim7__merge17predicate_wrapperIttNSC_4lessItEEEEEE10hipError_tPvRmT0_T1_T2_T3_T4_T5_mmT6_P12ihipStream_tbEUlT_E0_NS1_11comp_targetILNS1_3genE8ELNS1_11target_archE1030ELNS1_3gpuE2ELNS1_3repE0EEENS1_30default_config_static_selectorELNS0_4arch9wavefront6targetE0EEEvS10_.kd
    .uniform_work_group_size: 1
    .uses_dynamic_stack: false
    .vgpr_count:     37
    .vgpr_spill_count: 0
    .wavefront_size: 32
    .workgroup_processor_mode: 1
  - .args:
      - .offset:         0
        .size:           104
        .value_kind:     by_value
    .group_segment_fixed_size: 0
    .kernarg_segment_align: 8
    .kernarg_segment_size: 104
    .language:       OpenCL C
    .language_version:
      - 2
      - 0
    .max_flat_workgroup_size: 128
    .name:           _ZN7rocprim17ROCPRIM_400000_NS6detail17trampoline_kernelINS0_14default_configENS1_22reduce_config_selectorIN6thrust23THRUST_200600_302600_NS5tupleIblNS6_9null_typeES8_S8_S8_S8_S8_S8_S8_EEEEZNS1_11reduce_implILb1ES3_NS6_12zip_iteratorINS7_INS6_11hip_rocprim26transform_input_iterator_tIbNSD_35transform_pair_of_input_iterators_tIbNS6_6detail15normal_iteratorINS6_10device_ptrIKtEEEESL_NS6_8equal_toItEEEENSG_9not_fun_tINSD_8identityEEEEENSD_19counting_iterator_tIlEES8_S8_S8_S8_S8_S8_S8_S8_EEEEPS9_S9_NSD_9__find_if7functorIS9_EEEE10hipError_tPvRmT1_T2_T3_mT4_P12ihipStream_tbEUlT_E0_NS1_11comp_targetILNS1_3genE0ELNS1_11target_archE4294967295ELNS1_3gpuE0ELNS1_3repE0EEENS1_30default_config_static_selectorELNS0_4arch9wavefront6targetE0EEEvS14_
    .private_segment_fixed_size: 0
    .sgpr_count:     0
    .sgpr_spill_count: 0
    .symbol:         _ZN7rocprim17ROCPRIM_400000_NS6detail17trampoline_kernelINS0_14default_configENS1_22reduce_config_selectorIN6thrust23THRUST_200600_302600_NS5tupleIblNS6_9null_typeES8_S8_S8_S8_S8_S8_S8_EEEEZNS1_11reduce_implILb1ES3_NS6_12zip_iteratorINS7_INS6_11hip_rocprim26transform_input_iterator_tIbNSD_35transform_pair_of_input_iterators_tIbNS6_6detail15normal_iteratorINS6_10device_ptrIKtEEEESL_NS6_8equal_toItEEEENSG_9not_fun_tINSD_8identityEEEEENSD_19counting_iterator_tIlEES8_S8_S8_S8_S8_S8_S8_S8_EEEEPS9_S9_NSD_9__find_if7functorIS9_EEEE10hipError_tPvRmT1_T2_T3_mT4_P12ihipStream_tbEUlT_E0_NS1_11comp_targetILNS1_3genE0ELNS1_11target_archE4294967295ELNS1_3gpuE0ELNS1_3repE0EEENS1_30default_config_static_selectorELNS0_4arch9wavefront6targetE0EEEvS14_.kd
    .uniform_work_group_size: 1
    .uses_dynamic_stack: false
    .vgpr_count:     0
    .vgpr_spill_count: 0
    .wavefront_size: 32
    .workgroup_processor_mode: 1
  - .args:
      - .offset:         0
        .size:           104
        .value_kind:     by_value
    .group_segment_fixed_size: 0
    .kernarg_segment_align: 8
    .kernarg_segment_size: 104
    .language:       OpenCL C
    .language_version:
      - 2
      - 0
    .max_flat_workgroup_size: 256
    .name:           _ZN7rocprim17ROCPRIM_400000_NS6detail17trampoline_kernelINS0_14default_configENS1_22reduce_config_selectorIN6thrust23THRUST_200600_302600_NS5tupleIblNS6_9null_typeES8_S8_S8_S8_S8_S8_S8_EEEEZNS1_11reduce_implILb1ES3_NS6_12zip_iteratorINS7_INS6_11hip_rocprim26transform_input_iterator_tIbNSD_35transform_pair_of_input_iterators_tIbNS6_6detail15normal_iteratorINS6_10device_ptrIKtEEEESL_NS6_8equal_toItEEEENSG_9not_fun_tINSD_8identityEEEEENSD_19counting_iterator_tIlEES8_S8_S8_S8_S8_S8_S8_S8_EEEEPS9_S9_NSD_9__find_if7functorIS9_EEEE10hipError_tPvRmT1_T2_T3_mT4_P12ihipStream_tbEUlT_E0_NS1_11comp_targetILNS1_3genE5ELNS1_11target_archE942ELNS1_3gpuE9ELNS1_3repE0EEENS1_30default_config_static_selectorELNS0_4arch9wavefront6targetE0EEEvS14_
    .private_segment_fixed_size: 0
    .sgpr_count:     0
    .sgpr_spill_count: 0
    .symbol:         _ZN7rocprim17ROCPRIM_400000_NS6detail17trampoline_kernelINS0_14default_configENS1_22reduce_config_selectorIN6thrust23THRUST_200600_302600_NS5tupleIblNS6_9null_typeES8_S8_S8_S8_S8_S8_S8_EEEEZNS1_11reduce_implILb1ES3_NS6_12zip_iteratorINS7_INS6_11hip_rocprim26transform_input_iterator_tIbNSD_35transform_pair_of_input_iterators_tIbNS6_6detail15normal_iteratorINS6_10device_ptrIKtEEEESL_NS6_8equal_toItEEEENSG_9not_fun_tINSD_8identityEEEEENSD_19counting_iterator_tIlEES8_S8_S8_S8_S8_S8_S8_S8_EEEEPS9_S9_NSD_9__find_if7functorIS9_EEEE10hipError_tPvRmT1_T2_T3_mT4_P12ihipStream_tbEUlT_E0_NS1_11comp_targetILNS1_3genE5ELNS1_11target_archE942ELNS1_3gpuE9ELNS1_3repE0EEENS1_30default_config_static_selectorELNS0_4arch9wavefront6targetE0EEEvS14_.kd
    .uniform_work_group_size: 1
    .uses_dynamic_stack: false
    .vgpr_count:     0
    .vgpr_spill_count: 0
    .wavefront_size: 32
    .workgroup_processor_mode: 1
  - .args:
      - .offset:         0
        .size:           104
        .value_kind:     by_value
    .group_segment_fixed_size: 0
    .kernarg_segment_align: 8
    .kernarg_segment_size: 104
    .language:       OpenCL C
    .language_version:
      - 2
      - 0
    .max_flat_workgroup_size: 256
    .name:           _ZN7rocprim17ROCPRIM_400000_NS6detail17trampoline_kernelINS0_14default_configENS1_22reduce_config_selectorIN6thrust23THRUST_200600_302600_NS5tupleIblNS6_9null_typeES8_S8_S8_S8_S8_S8_S8_EEEEZNS1_11reduce_implILb1ES3_NS6_12zip_iteratorINS7_INS6_11hip_rocprim26transform_input_iterator_tIbNSD_35transform_pair_of_input_iterators_tIbNS6_6detail15normal_iteratorINS6_10device_ptrIKtEEEESL_NS6_8equal_toItEEEENSG_9not_fun_tINSD_8identityEEEEENSD_19counting_iterator_tIlEES8_S8_S8_S8_S8_S8_S8_S8_EEEEPS9_S9_NSD_9__find_if7functorIS9_EEEE10hipError_tPvRmT1_T2_T3_mT4_P12ihipStream_tbEUlT_E0_NS1_11comp_targetILNS1_3genE4ELNS1_11target_archE910ELNS1_3gpuE8ELNS1_3repE0EEENS1_30default_config_static_selectorELNS0_4arch9wavefront6targetE0EEEvS14_
    .private_segment_fixed_size: 0
    .sgpr_count:     0
    .sgpr_spill_count: 0
    .symbol:         _ZN7rocprim17ROCPRIM_400000_NS6detail17trampoline_kernelINS0_14default_configENS1_22reduce_config_selectorIN6thrust23THRUST_200600_302600_NS5tupleIblNS6_9null_typeES8_S8_S8_S8_S8_S8_S8_EEEEZNS1_11reduce_implILb1ES3_NS6_12zip_iteratorINS7_INS6_11hip_rocprim26transform_input_iterator_tIbNSD_35transform_pair_of_input_iterators_tIbNS6_6detail15normal_iteratorINS6_10device_ptrIKtEEEESL_NS6_8equal_toItEEEENSG_9not_fun_tINSD_8identityEEEEENSD_19counting_iterator_tIlEES8_S8_S8_S8_S8_S8_S8_S8_EEEEPS9_S9_NSD_9__find_if7functorIS9_EEEE10hipError_tPvRmT1_T2_T3_mT4_P12ihipStream_tbEUlT_E0_NS1_11comp_targetILNS1_3genE4ELNS1_11target_archE910ELNS1_3gpuE8ELNS1_3repE0EEENS1_30default_config_static_selectorELNS0_4arch9wavefront6targetE0EEEvS14_.kd
    .uniform_work_group_size: 1
    .uses_dynamic_stack: false
    .vgpr_count:     0
    .vgpr_spill_count: 0
    .wavefront_size: 32
    .workgroup_processor_mode: 1
  - .args:
      - .offset:         0
        .size:           104
        .value_kind:     by_value
    .group_segment_fixed_size: 0
    .kernarg_segment_align: 8
    .kernarg_segment_size: 104
    .language:       OpenCL C
    .language_version:
      - 2
      - 0
    .max_flat_workgroup_size: 128
    .name:           _ZN7rocprim17ROCPRIM_400000_NS6detail17trampoline_kernelINS0_14default_configENS1_22reduce_config_selectorIN6thrust23THRUST_200600_302600_NS5tupleIblNS6_9null_typeES8_S8_S8_S8_S8_S8_S8_EEEEZNS1_11reduce_implILb1ES3_NS6_12zip_iteratorINS7_INS6_11hip_rocprim26transform_input_iterator_tIbNSD_35transform_pair_of_input_iterators_tIbNS6_6detail15normal_iteratorINS6_10device_ptrIKtEEEESL_NS6_8equal_toItEEEENSG_9not_fun_tINSD_8identityEEEEENSD_19counting_iterator_tIlEES8_S8_S8_S8_S8_S8_S8_S8_EEEEPS9_S9_NSD_9__find_if7functorIS9_EEEE10hipError_tPvRmT1_T2_T3_mT4_P12ihipStream_tbEUlT_E0_NS1_11comp_targetILNS1_3genE3ELNS1_11target_archE908ELNS1_3gpuE7ELNS1_3repE0EEENS1_30default_config_static_selectorELNS0_4arch9wavefront6targetE0EEEvS14_
    .private_segment_fixed_size: 0
    .sgpr_count:     0
    .sgpr_spill_count: 0
    .symbol:         _ZN7rocprim17ROCPRIM_400000_NS6detail17trampoline_kernelINS0_14default_configENS1_22reduce_config_selectorIN6thrust23THRUST_200600_302600_NS5tupleIblNS6_9null_typeES8_S8_S8_S8_S8_S8_S8_EEEEZNS1_11reduce_implILb1ES3_NS6_12zip_iteratorINS7_INS6_11hip_rocprim26transform_input_iterator_tIbNSD_35transform_pair_of_input_iterators_tIbNS6_6detail15normal_iteratorINS6_10device_ptrIKtEEEESL_NS6_8equal_toItEEEENSG_9not_fun_tINSD_8identityEEEEENSD_19counting_iterator_tIlEES8_S8_S8_S8_S8_S8_S8_S8_EEEEPS9_S9_NSD_9__find_if7functorIS9_EEEE10hipError_tPvRmT1_T2_T3_mT4_P12ihipStream_tbEUlT_E0_NS1_11comp_targetILNS1_3genE3ELNS1_11target_archE908ELNS1_3gpuE7ELNS1_3repE0EEENS1_30default_config_static_selectorELNS0_4arch9wavefront6targetE0EEEvS14_.kd
    .uniform_work_group_size: 1
    .uses_dynamic_stack: false
    .vgpr_count:     0
    .vgpr_spill_count: 0
    .wavefront_size: 32
    .workgroup_processor_mode: 1
  - .args:
      - .offset:         0
        .size:           104
        .value_kind:     by_value
    .group_segment_fixed_size: 0
    .kernarg_segment_align: 8
    .kernarg_segment_size: 104
    .language:       OpenCL C
    .language_version:
      - 2
      - 0
    .max_flat_workgroup_size: 128
    .name:           _ZN7rocprim17ROCPRIM_400000_NS6detail17trampoline_kernelINS0_14default_configENS1_22reduce_config_selectorIN6thrust23THRUST_200600_302600_NS5tupleIblNS6_9null_typeES8_S8_S8_S8_S8_S8_S8_EEEEZNS1_11reduce_implILb1ES3_NS6_12zip_iteratorINS7_INS6_11hip_rocprim26transform_input_iterator_tIbNSD_35transform_pair_of_input_iterators_tIbNS6_6detail15normal_iteratorINS6_10device_ptrIKtEEEESL_NS6_8equal_toItEEEENSG_9not_fun_tINSD_8identityEEEEENSD_19counting_iterator_tIlEES8_S8_S8_S8_S8_S8_S8_S8_EEEEPS9_S9_NSD_9__find_if7functorIS9_EEEE10hipError_tPvRmT1_T2_T3_mT4_P12ihipStream_tbEUlT_E0_NS1_11comp_targetILNS1_3genE2ELNS1_11target_archE906ELNS1_3gpuE6ELNS1_3repE0EEENS1_30default_config_static_selectorELNS0_4arch9wavefront6targetE0EEEvS14_
    .private_segment_fixed_size: 0
    .sgpr_count:     0
    .sgpr_spill_count: 0
    .symbol:         _ZN7rocprim17ROCPRIM_400000_NS6detail17trampoline_kernelINS0_14default_configENS1_22reduce_config_selectorIN6thrust23THRUST_200600_302600_NS5tupleIblNS6_9null_typeES8_S8_S8_S8_S8_S8_S8_EEEEZNS1_11reduce_implILb1ES3_NS6_12zip_iteratorINS7_INS6_11hip_rocprim26transform_input_iterator_tIbNSD_35transform_pair_of_input_iterators_tIbNS6_6detail15normal_iteratorINS6_10device_ptrIKtEEEESL_NS6_8equal_toItEEEENSG_9not_fun_tINSD_8identityEEEEENSD_19counting_iterator_tIlEES8_S8_S8_S8_S8_S8_S8_S8_EEEEPS9_S9_NSD_9__find_if7functorIS9_EEEE10hipError_tPvRmT1_T2_T3_mT4_P12ihipStream_tbEUlT_E0_NS1_11comp_targetILNS1_3genE2ELNS1_11target_archE906ELNS1_3gpuE6ELNS1_3repE0EEENS1_30default_config_static_selectorELNS0_4arch9wavefront6targetE0EEEvS14_.kd
    .uniform_work_group_size: 1
    .uses_dynamic_stack: false
    .vgpr_count:     0
    .vgpr_spill_count: 0
    .wavefront_size: 32
    .workgroup_processor_mode: 1
  - .args:
      - .offset:         0
        .size:           104
        .value_kind:     by_value
    .group_segment_fixed_size: 0
    .kernarg_segment_align: 8
    .kernarg_segment_size: 104
    .language:       OpenCL C
    .language_version:
      - 2
      - 0
    .max_flat_workgroup_size: 256
    .name:           _ZN7rocprim17ROCPRIM_400000_NS6detail17trampoline_kernelINS0_14default_configENS1_22reduce_config_selectorIN6thrust23THRUST_200600_302600_NS5tupleIblNS6_9null_typeES8_S8_S8_S8_S8_S8_S8_EEEEZNS1_11reduce_implILb1ES3_NS6_12zip_iteratorINS7_INS6_11hip_rocprim26transform_input_iterator_tIbNSD_35transform_pair_of_input_iterators_tIbNS6_6detail15normal_iteratorINS6_10device_ptrIKtEEEESL_NS6_8equal_toItEEEENSG_9not_fun_tINSD_8identityEEEEENSD_19counting_iterator_tIlEES8_S8_S8_S8_S8_S8_S8_S8_EEEEPS9_S9_NSD_9__find_if7functorIS9_EEEE10hipError_tPvRmT1_T2_T3_mT4_P12ihipStream_tbEUlT_E0_NS1_11comp_targetILNS1_3genE10ELNS1_11target_archE1201ELNS1_3gpuE5ELNS1_3repE0EEENS1_30default_config_static_selectorELNS0_4arch9wavefront6targetE0EEEvS14_
    .private_segment_fixed_size: 0
    .sgpr_count:     0
    .sgpr_spill_count: 0
    .symbol:         _ZN7rocprim17ROCPRIM_400000_NS6detail17trampoline_kernelINS0_14default_configENS1_22reduce_config_selectorIN6thrust23THRUST_200600_302600_NS5tupleIblNS6_9null_typeES8_S8_S8_S8_S8_S8_S8_EEEEZNS1_11reduce_implILb1ES3_NS6_12zip_iteratorINS7_INS6_11hip_rocprim26transform_input_iterator_tIbNSD_35transform_pair_of_input_iterators_tIbNS6_6detail15normal_iteratorINS6_10device_ptrIKtEEEESL_NS6_8equal_toItEEEENSG_9not_fun_tINSD_8identityEEEEENSD_19counting_iterator_tIlEES8_S8_S8_S8_S8_S8_S8_S8_EEEEPS9_S9_NSD_9__find_if7functorIS9_EEEE10hipError_tPvRmT1_T2_T3_mT4_P12ihipStream_tbEUlT_E0_NS1_11comp_targetILNS1_3genE10ELNS1_11target_archE1201ELNS1_3gpuE5ELNS1_3repE0EEENS1_30default_config_static_selectorELNS0_4arch9wavefront6targetE0EEEvS14_.kd
    .uniform_work_group_size: 1
    .uses_dynamic_stack: false
    .vgpr_count:     0
    .vgpr_spill_count: 0
    .wavefront_size: 32
    .workgroup_processor_mode: 1
  - .args:
      - .offset:         0
        .size:           104
        .value_kind:     by_value
    .group_segment_fixed_size: 0
    .kernarg_segment_align: 8
    .kernarg_segment_size: 104
    .language:       OpenCL C
    .language_version:
      - 2
      - 0
    .max_flat_workgroup_size: 256
    .name:           _ZN7rocprim17ROCPRIM_400000_NS6detail17trampoline_kernelINS0_14default_configENS1_22reduce_config_selectorIN6thrust23THRUST_200600_302600_NS5tupleIblNS6_9null_typeES8_S8_S8_S8_S8_S8_S8_EEEEZNS1_11reduce_implILb1ES3_NS6_12zip_iteratorINS7_INS6_11hip_rocprim26transform_input_iterator_tIbNSD_35transform_pair_of_input_iterators_tIbNS6_6detail15normal_iteratorINS6_10device_ptrIKtEEEESL_NS6_8equal_toItEEEENSG_9not_fun_tINSD_8identityEEEEENSD_19counting_iterator_tIlEES8_S8_S8_S8_S8_S8_S8_S8_EEEEPS9_S9_NSD_9__find_if7functorIS9_EEEE10hipError_tPvRmT1_T2_T3_mT4_P12ihipStream_tbEUlT_E0_NS1_11comp_targetILNS1_3genE10ELNS1_11target_archE1200ELNS1_3gpuE4ELNS1_3repE0EEENS1_30default_config_static_selectorELNS0_4arch9wavefront6targetE0EEEvS14_
    .private_segment_fixed_size: 0
    .sgpr_count:     0
    .sgpr_spill_count: 0
    .symbol:         _ZN7rocprim17ROCPRIM_400000_NS6detail17trampoline_kernelINS0_14default_configENS1_22reduce_config_selectorIN6thrust23THRUST_200600_302600_NS5tupleIblNS6_9null_typeES8_S8_S8_S8_S8_S8_S8_EEEEZNS1_11reduce_implILb1ES3_NS6_12zip_iteratorINS7_INS6_11hip_rocprim26transform_input_iterator_tIbNSD_35transform_pair_of_input_iterators_tIbNS6_6detail15normal_iteratorINS6_10device_ptrIKtEEEESL_NS6_8equal_toItEEEENSG_9not_fun_tINSD_8identityEEEEENSD_19counting_iterator_tIlEES8_S8_S8_S8_S8_S8_S8_S8_EEEEPS9_S9_NSD_9__find_if7functorIS9_EEEE10hipError_tPvRmT1_T2_T3_mT4_P12ihipStream_tbEUlT_E0_NS1_11comp_targetILNS1_3genE10ELNS1_11target_archE1200ELNS1_3gpuE4ELNS1_3repE0EEENS1_30default_config_static_selectorELNS0_4arch9wavefront6targetE0EEEvS14_.kd
    .uniform_work_group_size: 1
    .uses_dynamic_stack: false
    .vgpr_count:     0
    .vgpr_spill_count: 0
    .wavefront_size: 32
    .workgroup_processor_mode: 1
  - .args:
      - .offset:         0
        .size:           104
        .value_kind:     by_value
    .group_segment_fixed_size: 0
    .kernarg_segment_align: 8
    .kernarg_segment_size: 104
    .language:       OpenCL C
    .language_version:
      - 2
      - 0
    .max_flat_workgroup_size: 256
    .name:           _ZN7rocprim17ROCPRIM_400000_NS6detail17trampoline_kernelINS0_14default_configENS1_22reduce_config_selectorIN6thrust23THRUST_200600_302600_NS5tupleIblNS6_9null_typeES8_S8_S8_S8_S8_S8_S8_EEEEZNS1_11reduce_implILb1ES3_NS6_12zip_iteratorINS7_INS6_11hip_rocprim26transform_input_iterator_tIbNSD_35transform_pair_of_input_iterators_tIbNS6_6detail15normal_iteratorINS6_10device_ptrIKtEEEESL_NS6_8equal_toItEEEENSG_9not_fun_tINSD_8identityEEEEENSD_19counting_iterator_tIlEES8_S8_S8_S8_S8_S8_S8_S8_EEEEPS9_S9_NSD_9__find_if7functorIS9_EEEE10hipError_tPvRmT1_T2_T3_mT4_P12ihipStream_tbEUlT_E0_NS1_11comp_targetILNS1_3genE9ELNS1_11target_archE1100ELNS1_3gpuE3ELNS1_3repE0EEENS1_30default_config_static_selectorELNS0_4arch9wavefront6targetE0EEEvS14_
    .private_segment_fixed_size: 0
    .sgpr_count:     0
    .sgpr_spill_count: 0
    .symbol:         _ZN7rocprim17ROCPRIM_400000_NS6detail17trampoline_kernelINS0_14default_configENS1_22reduce_config_selectorIN6thrust23THRUST_200600_302600_NS5tupleIblNS6_9null_typeES8_S8_S8_S8_S8_S8_S8_EEEEZNS1_11reduce_implILb1ES3_NS6_12zip_iteratorINS7_INS6_11hip_rocprim26transform_input_iterator_tIbNSD_35transform_pair_of_input_iterators_tIbNS6_6detail15normal_iteratorINS6_10device_ptrIKtEEEESL_NS6_8equal_toItEEEENSG_9not_fun_tINSD_8identityEEEEENSD_19counting_iterator_tIlEES8_S8_S8_S8_S8_S8_S8_S8_EEEEPS9_S9_NSD_9__find_if7functorIS9_EEEE10hipError_tPvRmT1_T2_T3_mT4_P12ihipStream_tbEUlT_E0_NS1_11comp_targetILNS1_3genE9ELNS1_11target_archE1100ELNS1_3gpuE3ELNS1_3repE0EEENS1_30default_config_static_selectorELNS0_4arch9wavefront6targetE0EEEvS14_.kd
    .uniform_work_group_size: 1
    .uses_dynamic_stack: false
    .vgpr_count:     0
    .vgpr_spill_count: 0
    .wavefront_size: 32
    .workgroup_processor_mode: 1
  - .args:
      - .offset:         0
        .size:           104
        .value_kind:     by_value
    .group_segment_fixed_size: 256
    .kernarg_segment_align: 8
    .kernarg_segment_size: 104
    .language:       OpenCL C
    .language_version:
      - 2
      - 0
    .max_flat_workgroup_size: 256
    .name:           _ZN7rocprim17ROCPRIM_400000_NS6detail17trampoline_kernelINS0_14default_configENS1_22reduce_config_selectorIN6thrust23THRUST_200600_302600_NS5tupleIblNS6_9null_typeES8_S8_S8_S8_S8_S8_S8_EEEEZNS1_11reduce_implILb1ES3_NS6_12zip_iteratorINS7_INS6_11hip_rocprim26transform_input_iterator_tIbNSD_35transform_pair_of_input_iterators_tIbNS6_6detail15normal_iteratorINS6_10device_ptrIKtEEEESL_NS6_8equal_toItEEEENSG_9not_fun_tINSD_8identityEEEEENSD_19counting_iterator_tIlEES8_S8_S8_S8_S8_S8_S8_S8_EEEEPS9_S9_NSD_9__find_if7functorIS9_EEEE10hipError_tPvRmT1_T2_T3_mT4_P12ihipStream_tbEUlT_E0_NS1_11comp_targetILNS1_3genE8ELNS1_11target_archE1030ELNS1_3gpuE2ELNS1_3repE0EEENS1_30default_config_static_selectorELNS0_4arch9wavefront6targetE0EEEvS14_
    .private_segment_fixed_size: 0
    .sgpr_count:     30
    .sgpr_spill_count: 0
    .symbol:         _ZN7rocprim17ROCPRIM_400000_NS6detail17trampoline_kernelINS0_14default_configENS1_22reduce_config_selectorIN6thrust23THRUST_200600_302600_NS5tupleIblNS6_9null_typeES8_S8_S8_S8_S8_S8_S8_EEEEZNS1_11reduce_implILb1ES3_NS6_12zip_iteratorINS7_INS6_11hip_rocprim26transform_input_iterator_tIbNSD_35transform_pair_of_input_iterators_tIbNS6_6detail15normal_iteratorINS6_10device_ptrIKtEEEESL_NS6_8equal_toItEEEENSG_9not_fun_tINSD_8identityEEEEENSD_19counting_iterator_tIlEES8_S8_S8_S8_S8_S8_S8_S8_EEEEPS9_S9_NSD_9__find_if7functorIS9_EEEE10hipError_tPvRmT1_T2_T3_mT4_P12ihipStream_tbEUlT_E0_NS1_11comp_targetILNS1_3genE8ELNS1_11target_archE1030ELNS1_3gpuE2ELNS1_3repE0EEENS1_30default_config_static_selectorELNS0_4arch9wavefront6targetE0EEEvS14_.kd
    .uniform_work_group_size: 1
    .uses_dynamic_stack: false
    .vgpr_count:     13
    .vgpr_spill_count: 0
    .wavefront_size: 32
    .workgroup_processor_mode: 1
  - .args:
      - .offset:         0
        .size:           88
        .value_kind:     by_value
    .group_segment_fixed_size: 0
    .kernarg_segment_align: 8
    .kernarg_segment_size: 88
    .language:       OpenCL C
    .language_version:
      - 2
      - 0
    .max_flat_workgroup_size: 128
    .name:           _ZN7rocprim17ROCPRIM_400000_NS6detail17trampoline_kernelINS0_14default_configENS1_22reduce_config_selectorIN6thrust23THRUST_200600_302600_NS5tupleIblNS6_9null_typeES8_S8_S8_S8_S8_S8_S8_EEEEZNS1_11reduce_implILb1ES3_NS6_12zip_iteratorINS7_INS6_11hip_rocprim26transform_input_iterator_tIbNSD_35transform_pair_of_input_iterators_tIbNS6_6detail15normal_iteratorINS6_10device_ptrIKtEEEESL_NS6_8equal_toItEEEENSG_9not_fun_tINSD_8identityEEEEENSD_19counting_iterator_tIlEES8_S8_S8_S8_S8_S8_S8_S8_EEEEPS9_S9_NSD_9__find_if7functorIS9_EEEE10hipError_tPvRmT1_T2_T3_mT4_P12ihipStream_tbEUlT_E1_NS1_11comp_targetILNS1_3genE0ELNS1_11target_archE4294967295ELNS1_3gpuE0ELNS1_3repE0EEENS1_30default_config_static_selectorELNS0_4arch9wavefront6targetE0EEEvS14_
    .private_segment_fixed_size: 0
    .sgpr_count:     0
    .sgpr_spill_count: 0
    .symbol:         _ZN7rocprim17ROCPRIM_400000_NS6detail17trampoline_kernelINS0_14default_configENS1_22reduce_config_selectorIN6thrust23THRUST_200600_302600_NS5tupleIblNS6_9null_typeES8_S8_S8_S8_S8_S8_S8_EEEEZNS1_11reduce_implILb1ES3_NS6_12zip_iteratorINS7_INS6_11hip_rocprim26transform_input_iterator_tIbNSD_35transform_pair_of_input_iterators_tIbNS6_6detail15normal_iteratorINS6_10device_ptrIKtEEEESL_NS6_8equal_toItEEEENSG_9not_fun_tINSD_8identityEEEEENSD_19counting_iterator_tIlEES8_S8_S8_S8_S8_S8_S8_S8_EEEEPS9_S9_NSD_9__find_if7functorIS9_EEEE10hipError_tPvRmT1_T2_T3_mT4_P12ihipStream_tbEUlT_E1_NS1_11comp_targetILNS1_3genE0ELNS1_11target_archE4294967295ELNS1_3gpuE0ELNS1_3repE0EEENS1_30default_config_static_selectorELNS0_4arch9wavefront6targetE0EEEvS14_.kd
    .uniform_work_group_size: 1
    .uses_dynamic_stack: false
    .vgpr_count:     0
    .vgpr_spill_count: 0
    .wavefront_size: 32
    .workgroup_processor_mode: 1
  - .args:
      - .offset:         0
        .size:           88
        .value_kind:     by_value
    .group_segment_fixed_size: 0
    .kernarg_segment_align: 8
    .kernarg_segment_size: 88
    .language:       OpenCL C
    .language_version:
      - 2
      - 0
    .max_flat_workgroup_size: 256
    .name:           _ZN7rocprim17ROCPRIM_400000_NS6detail17trampoline_kernelINS0_14default_configENS1_22reduce_config_selectorIN6thrust23THRUST_200600_302600_NS5tupleIblNS6_9null_typeES8_S8_S8_S8_S8_S8_S8_EEEEZNS1_11reduce_implILb1ES3_NS6_12zip_iteratorINS7_INS6_11hip_rocprim26transform_input_iterator_tIbNSD_35transform_pair_of_input_iterators_tIbNS6_6detail15normal_iteratorINS6_10device_ptrIKtEEEESL_NS6_8equal_toItEEEENSG_9not_fun_tINSD_8identityEEEEENSD_19counting_iterator_tIlEES8_S8_S8_S8_S8_S8_S8_S8_EEEEPS9_S9_NSD_9__find_if7functorIS9_EEEE10hipError_tPvRmT1_T2_T3_mT4_P12ihipStream_tbEUlT_E1_NS1_11comp_targetILNS1_3genE5ELNS1_11target_archE942ELNS1_3gpuE9ELNS1_3repE0EEENS1_30default_config_static_selectorELNS0_4arch9wavefront6targetE0EEEvS14_
    .private_segment_fixed_size: 0
    .sgpr_count:     0
    .sgpr_spill_count: 0
    .symbol:         _ZN7rocprim17ROCPRIM_400000_NS6detail17trampoline_kernelINS0_14default_configENS1_22reduce_config_selectorIN6thrust23THRUST_200600_302600_NS5tupleIblNS6_9null_typeES8_S8_S8_S8_S8_S8_S8_EEEEZNS1_11reduce_implILb1ES3_NS6_12zip_iteratorINS7_INS6_11hip_rocprim26transform_input_iterator_tIbNSD_35transform_pair_of_input_iterators_tIbNS6_6detail15normal_iteratorINS6_10device_ptrIKtEEEESL_NS6_8equal_toItEEEENSG_9not_fun_tINSD_8identityEEEEENSD_19counting_iterator_tIlEES8_S8_S8_S8_S8_S8_S8_S8_EEEEPS9_S9_NSD_9__find_if7functorIS9_EEEE10hipError_tPvRmT1_T2_T3_mT4_P12ihipStream_tbEUlT_E1_NS1_11comp_targetILNS1_3genE5ELNS1_11target_archE942ELNS1_3gpuE9ELNS1_3repE0EEENS1_30default_config_static_selectorELNS0_4arch9wavefront6targetE0EEEvS14_.kd
    .uniform_work_group_size: 1
    .uses_dynamic_stack: false
    .vgpr_count:     0
    .vgpr_spill_count: 0
    .wavefront_size: 32
    .workgroup_processor_mode: 1
  - .args:
      - .offset:         0
        .size:           88
        .value_kind:     by_value
    .group_segment_fixed_size: 0
    .kernarg_segment_align: 8
    .kernarg_segment_size: 88
    .language:       OpenCL C
    .language_version:
      - 2
      - 0
    .max_flat_workgroup_size: 256
    .name:           _ZN7rocprim17ROCPRIM_400000_NS6detail17trampoline_kernelINS0_14default_configENS1_22reduce_config_selectorIN6thrust23THRUST_200600_302600_NS5tupleIblNS6_9null_typeES8_S8_S8_S8_S8_S8_S8_EEEEZNS1_11reduce_implILb1ES3_NS6_12zip_iteratorINS7_INS6_11hip_rocprim26transform_input_iterator_tIbNSD_35transform_pair_of_input_iterators_tIbNS6_6detail15normal_iteratorINS6_10device_ptrIKtEEEESL_NS6_8equal_toItEEEENSG_9not_fun_tINSD_8identityEEEEENSD_19counting_iterator_tIlEES8_S8_S8_S8_S8_S8_S8_S8_EEEEPS9_S9_NSD_9__find_if7functorIS9_EEEE10hipError_tPvRmT1_T2_T3_mT4_P12ihipStream_tbEUlT_E1_NS1_11comp_targetILNS1_3genE4ELNS1_11target_archE910ELNS1_3gpuE8ELNS1_3repE0EEENS1_30default_config_static_selectorELNS0_4arch9wavefront6targetE0EEEvS14_
    .private_segment_fixed_size: 0
    .sgpr_count:     0
    .sgpr_spill_count: 0
    .symbol:         _ZN7rocprim17ROCPRIM_400000_NS6detail17trampoline_kernelINS0_14default_configENS1_22reduce_config_selectorIN6thrust23THRUST_200600_302600_NS5tupleIblNS6_9null_typeES8_S8_S8_S8_S8_S8_S8_EEEEZNS1_11reduce_implILb1ES3_NS6_12zip_iteratorINS7_INS6_11hip_rocprim26transform_input_iterator_tIbNSD_35transform_pair_of_input_iterators_tIbNS6_6detail15normal_iteratorINS6_10device_ptrIKtEEEESL_NS6_8equal_toItEEEENSG_9not_fun_tINSD_8identityEEEEENSD_19counting_iterator_tIlEES8_S8_S8_S8_S8_S8_S8_S8_EEEEPS9_S9_NSD_9__find_if7functorIS9_EEEE10hipError_tPvRmT1_T2_T3_mT4_P12ihipStream_tbEUlT_E1_NS1_11comp_targetILNS1_3genE4ELNS1_11target_archE910ELNS1_3gpuE8ELNS1_3repE0EEENS1_30default_config_static_selectorELNS0_4arch9wavefront6targetE0EEEvS14_.kd
    .uniform_work_group_size: 1
    .uses_dynamic_stack: false
    .vgpr_count:     0
    .vgpr_spill_count: 0
    .wavefront_size: 32
    .workgroup_processor_mode: 1
  - .args:
      - .offset:         0
        .size:           88
        .value_kind:     by_value
    .group_segment_fixed_size: 0
    .kernarg_segment_align: 8
    .kernarg_segment_size: 88
    .language:       OpenCL C
    .language_version:
      - 2
      - 0
    .max_flat_workgroup_size: 128
    .name:           _ZN7rocprim17ROCPRIM_400000_NS6detail17trampoline_kernelINS0_14default_configENS1_22reduce_config_selectorIN6thrust23THRUST_200600_302600_NS5tupleIblNS6_9null_typeES8_S8_S8_S8_S8_S8_S8_EEEEZNS1_11reduce_implILb1ES3_NS6_12zip_iteratorINS7_INS6_11hip_rocprim26transform_input_iterator_tIbNSD_35transform_pair_of_input_iterators_tIbNS6_6detail15normal_iteratorINS6_10device_ptrIKtEEEESL_NS6_8equal_toItEEEENSG_9not_fun_tINSD_8identityEEEEENSD_19counting_iterator_tIlEES8_S8_S8_S8_S8_S8_S8_S8_EEEEPS9_S9_NSD_9__find_if7functorIS9_EEEE10hipError_tPvRmT1_T2_T3_mT4_P12ihipStream_tbEUlT_E1_NS1_11comp_targetILNS1_3genE3ELNS1_11target_archE908ELNS1_3gpuE7ELNS1_3repE0EEENS1_30default_config_static_selectorELNS0_4arch9wavefront6targetE0EEEvS14_
    .private_segment_fixed_size: 0
    .sgpr_count:     0
    .sgpr_spill_count: 0
    .symbol:         _ZN7rocprim17ROCPRIM_400000_NS6detail17trampoline_kernelINS0_14default_configENS1_22reduce_config_selectorIN6thrust23THRUST_200600_302600_NS5tupleIblNS6_9null_typeES8_S8_S8_S8_S8_S8_S8_EEEEZNS1_11reduce_implILb1ES3_NS6_12zip_iteratorINS7_INS6_11hip_rocprim26transform_input_iterator_tIbNSD_35transform_pair_of_input_iterators_tIbNS6_6detail15normal_iteratorINS6_10device_ptrIKtEEEESL_NS6_8equal_toItEEEENSG_9not_fun_tINSD_8identityEEEEENSD_19counting_iterator_tIlEES8_S8_S8_S8_S8_S8_S8_S8_EEEEPS9_S9_NSD_9__find_if7functorIS9_EEEE10hipError_tPvRmT1_T2_T3_mT4_P12ihipStream_tbEUlT_E1_NS1_11comp_targetILNS1_3genE3ELNS1_11target_archE908ELNS1_3gpuE7ELNS1_3repE0EEENS1_30default_config_static_selectorELNS0_4arch9wavefront6targetE0EEEvS14_.kd
    .uniform_work_group_size: 1
    .uses_dynamic_stack: false
    .vgpr_count:     0
    .vgpr_spill_count: 0
    .wavefront_size: 32
    .workgroup_processor_mode: 1
  - .args:
      - .offset:         0
        .size:           88
        .value_kind:     by_value
    .group_segment_fixed_size: 0
    .kernarg_segment_align: 8
    .kernarg_segment_size: 88
    .language:       OpenCL C
    .language_version:
      - 2
      - 0
    .max_flat_workgroup_size: 128
    .name:           _ZN7rocprim17ROCPRIM_400000_NS6detail17trampoline_kernelINS0_14default_configENS1_22reduce_config_selectorIN6thrust23THRUST_200600_302600_NS5tupleIblNS6_9null_typeES8_S8_S8_S8_S8_S8_S8_EEEEZNS1_11reduce_implILb1ES3_NS6_12zip_iteratorINS7_INS6_11hip_rocprim26transform_input_iterator_tIbNSD_35transform_pair_of_input_iterators_tIbNS6_6detail15normal_iteratorINS6_10device_ptrIKtEEEESL_NS6_8equal_toItEEEENSG_9not_fun_tINSD_8identityEEEEENSD_19counting_iterator_tIlEES8_S8_S8_S8_S8_S8_S8_S8_EEEEPS9_S9_NSD_9__find_if7functorIS9_EEEE10hipError_tPvRmT1_T2_T3_mT4_P12ihipStream_tbEUlT_E1_NS1_11comp_targetILNS1_3genE2ELNS1_11target_archE906ELNS1_3gpuE6ELNS1_3repE0EEENS1_30default_config_static_selectorELNS0_4arch9wavefront6targetE0EEEvS14_
    .private_segment_fixed_size: 0
    .sgpr_count:     0
    .sgpr_spill_count: 0
    .symbol:         _ZN7rocprim17ROCPRIM_400000_NS6detail17trampoline_kernelINS0_14default_configENS1_22reduce_config_selectorIN6thrust23THRUST_200600_302600_NS5tupleIblNS6_9null_typeES8_S8_S8_S8_S8_S8_S8_EEEEZNS1_11reduce_implILb1ES3_NS6_12zip_iteratorINS7_INS6_11hip_rocprim26transform_input_iterator_tIbNSD_35transform_pair_of_input_iterators_tIbNS6_6detail15normal_iteratorINS6_10device_ptrIKtEEEESL_NS6_8equal_toItEEEENSG_9not_fun_tINSD_8identityEEEEENSD_19counting_iterator_tIlEES8_S8_S8_S8_S8_S8_S8_S8_EEEEPS9_S9_NSD_9__find_if7functorIS9_EEEE10hipError_tPvRmT1_T2_T3_mT4_P12ihipStream_tbEUlT_E1_NS1_11comp_targetILNS1_3genE2ELNS1_11target_archE906ELNS1_3gpuE6ELNS1_3repE0EEENS1_30default_config_static_selectorELNS0_4arch9wavefront6targetE0EEEvS14_.kd
    .uniform_work_group_size: 1
    .uses_dynamic_stack: false
    .vgpr_count:     0
    .vgpr_spill_count: 0
    .wavefront_size: 32
    .workgroup_processor_mode: 1
  - .args:
      - .offset:         0
        .size:           88
        .value_kind:     by_value
    .group_segment_fixed_size: 0
    .kernarg_segment_align: 8
    .kernarg_segment_size: 88
    .language:       OpenCL C
    .language_version:
      - 2
      - 0
    .max_flat_workgroup_size: 256
    .name:           _ZN7rocprim17ROCPRIM_400000_NS6detail17trampoline_kernelINS0_14default_configENS1_22reduce_config_selectorIN6thrust23THRUST_200600_302600_NS5tupleIblNS6_9null_typeES8_S8_S8_S8_S8_S8_S8_EEEEZNS1_11reduce_implILb1ES3_NS6_12zip_iteratorINS7_INS6_11hip_rocprim26transform_input_iterator_tIbNSD_35transform_pair_of_input_iterators_tIbNS6_6detail15normal_iteratorINS6_10device_ptrIKtEEEESL_NS6_8equal_toItEEEENSG_9not_fun_tINSD_8identityEEEEENSD_19counting_iterator_tIlEES8_S8_S8_S8_S8_S8_S8_S8_EEEEPS9_S9_NSD_9__find_if7functorIS9_EEEE10hipError_tPvRmT1_T2_T3_mT4_P12ihipStream_tbEUlT_E1_NS1_11comp_targetILNS1_3genE10ELNS1_11target_archE1201ELNS1_3gpuE5ELNS1_3repE0EEENS1_30default_config_static_selectorELNS0_4arch9wavefront6targetE0EEEvS14_
    .private_segment_fixed_size: 0
    .sgpr_count:     0
    .sgpr_spill_count: 0
    .symbol:         _ZN7rocprim17ROCPRIM_400000_NS6detail17trampoline_kernelINS0_14default_configENS1_22reduce_config_selectorIN6thrust23THRUST_200600_302600_NS5tupleIblNS6_9null_typeES8_S8_S8_S8_S8_S8_S8_EEEEZNS1_11reduce_implILb1ES3_NS6_12zip_iteratorINS7_INS6_11hip_rocprim26transform_input_iterator_tIbNSD_35transform_pair_of_input_iterators_tIbNS6_6detail15normal_iteratorINS6_10device_ptrIKtEEEESL_NS6_8equal_toItEEEENSG_9not_fun_tINSD_8identityEEEEENSD_19counting_iterator_tIlEES8_S8_S8_S8_S8_S8_S8_S8_EEEEPS9_S9_NSD_9__find_if7functorIS9_EEEE10hipError_tPvRmT1_T2_T3_mT4_P12ihipStream_tbEUlT_E1_NS1_11comp_targetILNS1_3genE10ELNS1_11target_archE1201ELNS1_3gpuE5ELNS1_3repE0EEENS1_30default_config_static_selectorELNS0_4arch9wavefront6targetE0EEEvS14_.kd
    .uniform_work_group_size: 1
    .uses_dynamic_stack: false
    .vgpr_count:     0
    .vgpr_spill_count: 0
    .wavefront_size: 32
    .workgroup_processor_mode: 1
  - .args:
      - .offset:         0
        .size:           88
        .value_kind:     by_value
    .group_segment_fixed_size: 0
    .kernarg_segment_align: 8
    .kernarg_segment_size: 88
    .language:       OpenCL C
    .language_version:
      - 2
      - 0
    .max_flat_workgroup_size: 256
    .name:           _ZN7rocprim17ROCPRIM_400000_NS6detail17trampoline_kernelINS0_14default_configENS1_22reduce_config_selectorIN6thrust23THRUST_200600_302600_NS5tupleIblNS6_9null_typeES8_S8_S8_S8_S8_S8_S8_EEEEZNS1_11reduce_implILb1ES3_NS6_12zip_iteratorINS7_INS6_11hip_rocprim26transform_input_iterator_tIbNSD_35transform_pair_of_input_iterators_tIbNS6_6detail15normal_iteratorINS6_10device_ptrIKtEEEESL_NS6_8equal_toItEEEENSG_9not_fun_tINSD_8identityEEEEENSD_19counting_iterator_tIlEES8_S8_S8_S8_S8_S8_S8_S8_EEEEPS9_S9_NSD_9__find_if7functorIS9_EEEE10hipError_tPvRmT1_T2_T3_mT4_P12ihipStream_tbEUlT_E1_NS1_11comp_targetILNS1_3genE10ELNS1_11target_archE1200ELNS1_3gpuE4ELNS1_3repE0EEENS1_30default_config_static_selectorELNS0_4arch9wavefront6targetE0EEEvS14_
    .private_segment_fixed_size: 0
    .sgpr_count:     0
    .sgpr_spill_count: 0
    .symbol:         _ZN7rocprim17ROCPRIM_400000_NS6detail17trampoline_kernelINS0_14default_configENS1_22reduce_config_selectorIN6thrust23THRUST_200600_302600_NS5tupleIblNS6_9null_typeES8_S8_S8_S8_S8_S8_S8_EEEEZNS1_11reduce_implILb1ES3_NS6_12zip_iteratorINS7_INS6_11hip_rocprim26transform_input_iterator_tIbNSD_35transform_pair_of_input_iterators_tIbNS6_6detail15normal_iteratorINS6_10device_ptrIKtEEEESL_NS6_8equal_toItEEEENSG_9not_fun_tINSD_8identityEEEEENSD_19counting_iterator_tIlEES8_S8_S8_S8_S8_S8_S8_S8_EEEEPS9_S9_NSD_9__find_if7functorIS9_EEEE10hipError_tPvRmT1_T2_T3_mT4_P12ihipStream_tbEUlT_E1_NS1_11comp_targetILNS1_3genE10ELNS1_11target_archE1200ELNS1_3gpuE4ELNS1_3repE0EEENS1_30default_config_static_selectorELNS0_4arch9wavefront6targetE0EEEvS14_.kd
    .uniform_work_group_size: 1
    .uses_dynamic_stack: false
    .vgpr_count:     0
    .vgpr_spill_count: 0
    .wavefront_size: 32
    .workgroup_processor_mode: 1
  - .args:
      - .offset:         0
        .size:           88
        .value_kind:     by_value
    .group_segment_fixed_size: 0
    .kernarg_segment_align: 8
    .kernarg_segment_size: 88
    .language:       OpenCL C
    .language_version:
      - 2
      - 0
    .max_flat_workgroup_size: 256
    .name:           _ZN7rocprim17ROCPRIM_400000_NS6detail17trampoline_kernelINS0_14default_configENS1_22reduce_config_selectorIN6thrust23THRUST_200600_302600_NS5tupleIblNS6_9null_typeES8_S8_S8_S8_S8_S8_S8_EEEEZNS1_11reduce_implILb1ES3_NS6_12zip_iteratorINS7_INS6_11hip_rocprim26transform_input_iterator_tIbNSD_35transform_pair_of_input_iterators_tIbNS6_6detail15normal_iteratorINS6_10device_ptrIKtEEEESL_NS6_8equal_toItEEEENSG_9not_fun_tINSD_8identityEEEEENSD_19counting_iterator_tIlEES8_S8_S8_S8_S8_S8_S8_S8_EEEEPS9_S9_NSD_9__find_if7functorIS9_EEEE10hipError_tPvRmT1_T2_T3_mT4_P12ihipStream_tbEUlT_E1_NS1_11comp_targetILNS1_3genE9ELNS1_11target_archE1100ELNS1_3gpuE3ELNS1_3repE0EEENS1_30default_config_static_selectorELNS0_4arch9wavefront6targetE0EEEvS14_
    .private_segment_fixed_size: 0
    .sgpr_count:     0
    .sgpr_spill_count: 0
    .symbol:         _ZN7rocprim17ROCPRIM_400000_NS6detail17trampoline_kernelINS0_14default_configENS1_22reduce_config_selectorIN6thrust23THRUST_200600_302600_NS5tupleIblNS6_9null_typeES8_S8_S8_S8_S8_S8_S8_EEEEZNS1_11reduce_implILb1ES3_NS6_12zip_iteratorINS7_INS6_11hip_rocprim26transform_input_iterator_tIbNSD_35transform_pair_of_input_iterators_tIbNS6_6detail15normal_iteratorINS6_10device_ptrIKtEEEESL_NS6_8equal_toItEEEENSG_9not_fun_tINSD_8identityEEEEENSD_19counting_iterator_tIlEES8_S8_S8_S8_S8_S8_S8_S8_EEEEPS9_S9_NSD_9__find_if7functorIS9_EEEE10hipError_tPvRmT1_T2_T3_mT4_P12ihipStream_tbEUlT_E1_NS1_11comp_targetILNS1_3genE9ELNS1_11target_archE1100ELNS1_3gpuE3ELNS1_3repE0EEENS1_30default_config_static_selectorELNS0_4arch9wavefront6targetE0EEEvS14_.kd
    .uniform_work_group_size: 1
    .uses_dynamic_stack: false
    .vgpr_count:     0
    .vgpr_spill_count: 0
    .wavefront_size: 32
    .workgroup_processor_mode: 1
  - .args:
      - .offset:         0
        .size:           88
        .value_kind:     by_value
    .group_segment_fixed_size: 640
    .kernarg_segment_align: 8
    .kernarg_segment_size: 88
    .language:       OpenCL C
    .language_version:
      - 2
      - 0
    .max_flat_workgroup_size: 256
    .name:           _ZN7rocprim17ROCPRIM_400000_NS6detail17trampoline_kernelINS0_14default_configENS1_22reduce_config_selectorIN6thrust23THRUST_200600_302600_NS5tupleIblNS6_9null_typeES8_S8_S8_S8_S8_S8_S8_EEEEZNS1_11reduce_implILb1ES3_NS6_12zip_iteratorINS7_INS6_11hip_rocprim26transform_input_iterator_tIbNSD_35transform_pair_of_input_iterators_tIbNS6_6detail15normal_iteratorINS6_10device_ptrIKtEEEESL_NS6_8equal_toItEEEENSG_9not_fun_tINSD_8identityEEEEENSD_19counting_iterator_tIlEES8_S8_S8_S8_S8_S8_S8_S8_EEEEPS9_S9_NSD_9__find_if7functorIS9_EEEE10hipError_tPvRmT1_T2_T3_mT4_P12ihipStream_tbEUlT_E1_NS1_11comp_targetILNS1_3genE8ELNS1_11target_archE1030ELNS1_3gpuE2ELNS1_3repE0EEENS1_30default_config_static_selectorELNS0_4arch9wavefront6targetE0EEEvS14_
    .private_segment_fixed_size: 0
    .sgpr_count:     34
    .sgpr_spill_count: 0
    .symbol:         _ZN7rocprim17ROCPRIM_400000_NS6detail17trampoline_kernelINS0_14default_configENS1_22reduce_config_selectorIN6thrust23THRUST_200600_302600_NS5tupleIblNS6_9null_typeES8_S8_S8_S8_S8_S8_S8_EEEEZNS1_11reduce_implILb1ES3_NS6_12zip_iteratorINS7_INS6_11hip_rocprim26transform_input_iterator_tIbNSD_35transform_pair_of_input_iterators_tIbNS6_6detail15normal_iteratorINS6_10device_ptrIKtEEEESL_NS6_8equal_toItEEEENSG_9not_fun_tINSD_8identityEEEEENSD_19counting_iterator_tIlEES8_S8_S8_S8_S8_S8_S8_S8_EEEEPS9_S9_NSD_9__find_if7functorIS9_EEEE10hipError_tPvRmT1_T2_T3_mT4_P12ihipStream_tbEUlT_E1_NS1_11comp_targetILNS1_3genE8ELNS1_11target_archE1030ELNS1_3gpuE2ELNS1_3repE0EEENS1_30default_config_static_selectorELNS0_4arch9wavefront6targetE0EEEvS14_.kd
    .uniform_work_group_size: 1
    .uses_dynamic_stack: false
    .vgpr_count:     27
    .vgpr_spill_count: 0
    .wavefront_size: 32
    .workgroup_processor_mode: 1
  - .args:
      - .offset:         0
        .size:           16
        .value_kind:     by_value
      - .offset:         16
        .size:           8
        .value_kind:     by_value
      - .offset:         24
        .size:           8
        .value_kind:     by_value
    .group_segment_fixed_size: 0
    .kernarg_segment_align: 8
    .kernarg_segment_size: 32
    .language:       OpenCL C
    .language_version:
      - 2
      - 0
    .max_flat_workgroup_size: 256
    .name:           _ZN6thrust23THRUST_200600_302600_NS11hip_rocprim14__parallel_for6kernelILj256ENS1_20__uninitialized_fill7functorINS0_10device_ptrIxEExEEmLj1EEEvT0_T1_SA_
    .private_segment_fixed_size: 0
    .sgpr_count:     18
    .sgpr_spill_count: 0
    .symbol:         _ZN6thrust23THRUST_200600_302600_NS11hip_rocprim14__parallel_for6kernelILj256ENS1_20__uninitialized_fill7functorINS0_10device_ptrIxEExEEmLj1EEEvT0_T1_SA_.kd
    .uniform_work_group_size: 1
    .uses_dynamic_stack: false
    .vgpr_count:     5
    .vgpr_spill_count: 0
    .wavefront_size: 32
    .workgroup_processor_mode: 1
  - .args:
      - .offset:         0
        .size:           64
        .value_kind:     by_value
    .group_segment_fixed_size: 0
    .kernarg_segment_align: 8
    .kernarg_segment_size: 64
    .language:       OpenCL C
    .language_version:
      - 2
      - 0
    .max_flat_workgroup_size: 512
    .name:           _ZN7rocprim17ROCPRIM_400000_NS6detail17trampoline_kernelINS0_14default_configENS1_21merge_config_selectorINS0_5tupleIJxxEEENS0_10empty_typeEEEZNS1_10merge_implIS3_NS0_12zip_iteratorINS5_IJN6thrust23THRUST_200600_302600_NS6detail15normal_iteratorINSC_10device_ptrIKxEEEESI_EEEEESK_NSA_INS5_IJNSE_INSF_IxEEEESM_EEEEEPS7_SP_SP_NSC_11hip_rocprim7__merge17predicate_wrapperIxxNSC_4lessIxEEEEEE10hipError_tPvRmT0_T1_T2_T3_T4_T5_mmT6_P12ihipStream_tbEUlT_E_NS1_11comp_targetILNS1_3genE0ELNS1_11target_archE4294967295ELNS1_3gpuE0ELNS1_3repE0EEENS1_30default_config_static_selectorELNS0_4arch9wavefront6targetE0EEEvS10_
    .private_segment_fixed_size: 0
    .sgpr_count:     0
    .sgpr_spill_count: 0
    .symbol:         _ZN7rocprim17ROCPRIM_400000_NS6detail17trampoline_kernelINS0_14default_configENS1_21merge_config_selectorINS0_5tupleIJxxEEENS0_10empty_typeEEEZNS1_10merge_implIS3_NS0_12zip_iteratorINS5_IJN6thrust23THRUST_200600_302600_NS6detail15normal_iteratorINSC_10device_ptrIKxEEEESI_EEEEESK_NSA_INS5_IJNSE_INSF_IxEEEESM_EEEEEPS7_SP_SP_NSC_11hip_rocprim7__merge17predicate_wrapperIxxNSC_4lessIxEEEEEE10hipError_tPvRmT0_T1_T2_T3_T4_T5_mmT6_P12ihipStream_tbEUlT_E_NS1_11comp_targetILNS1_3genE0ELNS1_11target_archE4294967295ELNS1_3gpuE0ELNS1_3repE0EEENS1_30default_config_static_selectorELNS0_4arch9wavefront6targetE0EEEvS10_.kd
    .uniform_work_group_size: 1
    .uses_dynamic_stack: false
    .vgpr_count:     0
    .vgpr_spill_count: 0
    .wavefront_size: 32
    .workgroup_processor_mode: 1
  - .args:
      - .offset:         0
        .size:           64
        .value_kind:     by_value
    .group_segment_fixed_size: 0
    .kernarg_segment_align: 8
    .kernarg_segment_size: 64
    .language:       OpenCL C
    .language_version:
      - 2
      - 0
    .max_flat_workgroup_size: 256
    .name:           _ZN7rocprim17ROCPRIM_400000_NS6detail17trampoline_kernelINS0_14default_configENS1_21merge_config_selectorINS0_5tupleIJxxEEENS0_10empty_typeEEEZNS1_10merge_implIS3_NS0_12zip_iteratorINS5_IJN6thrust23THRUST_200600_302600_NS6detail15normal_iteratorINSC_10device_ptrIKxEEEESI_EEEEESK_NSA_INS5_IJNSE_INSF_IxEEEESM_EEEEEPS7_SP_SP_NSC_11hip_rocprim7__merge17predicate_wrapperIxxNSC_4lessIxEEEEEE10hipError_tPvRmT0_T1_T2_T3_T4_T5_mmT6_P12ihipStream_tbEUlT_E_NS1_11comp_targetILNS1_3genE5ELNS1_11target_archE942ELNS1_3gpuE9ELNS1_3repE0EEENS1_30default_config_static_selectorELNS0_4arch9wavefront6targetE0EEEvS10_
    .private_segment_fixed_size: 0
    .sgpr_count:     0
    .sgpr_spill_count: 0
    .symbol:         _ZN7rocprim17ROCPRIM_400000_NS6detail17trampoline_kernelINS0_14default_configENS1_21merge_config_selectorINS0_5tupleIJxxEEENS0_10empty_typeEEEZNS1_10merge_implIS3_NS0_12zip_iteratorINS5_IJN6thrust23THRUST_200600_302600_NS6detail15normal_iteratorINSC_10device_ptrIKxEEEESI_EEEEESK_NSA_INS5_IJNSE_INSF_IxEEEESM_EEEEEPS7_SP_SP_NSC_11hip_rocprim7__merge17predicate_wrapperIxxNSC_4lessIxEEEEEE10hipError_tPvRmT0_T1_T2_T3_T4_T5_mmT6_P12ihipStream_tbEUlT_E_NS1_11comp_targetILNS1_3genE5ELNS1_11target_archE942ELNS1_3gpuE9ELNS1_3repE0EEENS1_30default_config_static_selectorELNS0_4arch9wavefront6targetE0EEEvS10_.kd
    .uniform_work_group_size: 1
    .uses_dynamic_stack: false
    .vgpr_count:     0
    .vgpr_spill_count: 0
    .wavefront_size: 32
    .workgroup_processor_mode: 1
  - .args:
      - .offset:         0
        .size:           64
        .value_kind:     by_value
    .group_segment_fixed_size: 0
    .kernarg_segment_align: 8
    .kernarg_segment_size: 64
    .language:       OpenCL C
    .language_version:
      - 2
      - 0
    .max_flat_workgroup_size: 512
    .name:           _ZN7rocprim17ROCPRIM_400000_NS6detail17trampoline_kernelINS0_14default_configENS1_21merge_config_selectorINS0_5tupleIJxxEEENS0_10empty_typeEEEZNS1_10merge_implIS3_NS0_12zip_iteratorINS5_IJN6thrust23THRUST_200600_302600_NS6detail15normal_iteratorINSC_10device_ptrIKxEEEESI_EEEEESK_NSA_INS5_IJNSE_INSF_IxEEEESM_EEEEEPS7_SP_SP_NSC_11hip_rocprim7__merge17predicate_wrapperIxxNSC_4lessIxEEEEEE10hipError_tPvRmT0_T1_T2_T3_T4_T5_mmT6_P12ihipStream_tbEUlT_E_NS1_11comp_targetILNS1_3genE4ELNS1_11target_archE910ELNS1_3gpuE8ELNS1_3repE0EEENS1_30default_config_static_selectorELNS0_4arch9wavefront6targetE0EEEvS10_
    .private_segment_fixed_size: 0
    .sgpr_count:     0
    .sgpr_spill_count: 0
    .symbol:         _ZN7rocprim17ROCPRIM_400000_NS6detail17trampoline_kernelINS0_14default_configENS1_21merge_config_selectorINS0_5tupleIJxxEEENS0_10empty_typeEEEZNS1_10merge_implIS3_NS0_12zip_iteratorINS5_IJN6thrust23THRUST_200600_302600_NS6detail15normal_iteratorINSC_10device_ptrIKxEEEESI_EEEEESK_NSA_INS5_IJNSE_INSF_IxEEEESM_EEEEEPS7_SP_SP_NSC_11hip_rocprim7__merge17predicate_wrapperIxxNSC_4lessIxEEEEEE10hipError_tPvRmT0_T1_T2_T3_T4_T5_mmT6_P12ihipStream_tbEUlT_E_NS1_11comp_targetILNS1_3genE4ELNS1_11target_archE910ELNS1_3gpuE8ELNS1_3repE0EEENS1_30default_config_static_selectorELNS0_4arch9wavefront6targetE0EEEvS10_.kd
    .uniform_work_group_size: 1
    .uses_dynamic_stack: false
    .vgpr_count:     0
    .vgpr_spill_count: 0
    .wavefront_size: 32
    .workgroup_processor_mode: 1
  - .args:
      - .offset:         0
        .size:           64
        .value_kind:     by_value
    .group_segment_fixed_size: 0
    .kernarg_segment_align: 8
    .kernarg_segment_size: 64
    .language:       OpenCL C
    .language_version:
      - 2
      - 0
    .max_flat_workgroup_size: 512
    .name:           _ZN7rocprim17ROCPRIM_400000_NS6detail17trampoline_kernelINS0_14default_configENS1_21merge_config_selectorINS0_5tupleIJxxEEENS0_10empty_typeEEEZNS1_10merge_implIS3_NS0_12zip_iteratorINS5_IJN6thrust23THRUST_200600_302600_NS6detail15normal_iteratorINSC_10device_ptrIKxEEEESI_EEEEESK_NSA_INS5_IJNSE_INSF_IxEEEESM_EEEEEPS7_SP_SP_NSC_11hip_rocprim7__merge17predicate_wrapperIxxNSC_4lessIxEEEEEE10hipError_tPvRmT0_T1_T2_T3_T4_T5_mmT6_P12ihipStream_tbEUlT_E_NS1_11comp_targetILNS1_3genE3ELNS1_11target_archE908ELNS1_3gpuE7ELNS1_3repE0EEENS1_30default_config_static_selectorELNS0_4arch9wavefront6targetE0EEEvS10_
    .private_segment_fixed_size: 0
    .sgpr_count:     0
    .sgpr_spill_count: 0
    .symbol:         _ZN7rocprim17ROCPRIM_400000_NS6detail17trampoline_kernelINS0_14default_configENS1_21merge_config_selectorINS0_5tupleIJxxEEENS0_10empty_typeEEEZNS1_10merge_implIS3_NS0_12zip_iteratorINS5_IJN6thrust23THRUST_200600_302600_NS6detail15normal_iteratorINSC_10device_ptrIKxEEEESI_EEEEESK_NSA_INS5_IJNSE_INSF_IxEEEESM_EEEEEPS7_SP_SP_NSC_11hip_rocprim7__merge17predicate_wrapperIxxNSC_4lessIxEEEEEE10hipError_tPvRmT0_T1_T2_T3_T4_T5_mmT6_P12ihipStream_tbEUlT_E_NS1_11comp_targetILNS1_3genE3ELNS1_11target_archE908ELNS1_3gpuE7ELNS1_3repE0EEENS1_30default_config_static_selectorELNS0_4arch9wavefront6targetE0EEEvS10_.kd
    .uniform_work_group_size: 1
    .uses_dynamic_stack: false
    .vgpr_count:     0
    .vgpr_spill_count: 0
    .wavefront_size: 32
    .workgroup_processor_mode: 1
  - .args:
      - .offset:         0
        .size:           64
        .value_kind:     by_value
    .group_segment_fixed_size: 0
    .kernarg_segment_align: 8
    .kernarg_segment_size: 64
    .language:       OpenCL C
    .language_version:
      - 2
      - 0
    .max_flat_workgroup_size: 512
    .name:           _ZN7rocprim17ROCPRIM_400000_NS6detail17trampoline_kernelINS0_14default_configENS1_21merge_config_selectorINS0_5tupleIJxxEEENS0_10empty_typeEEEZNS1_10merge_implIS3_NS0_12zip_iteratorINS5_IJN6thrust23THRUST_200600_302600_NS6detail15normal_iteratorINSC_10device_ptrIKxEEEESI_EEEEESK_NSA_INS5_IJNSE_INSF_IxEEEESM_EEEEEPS7_SP_SP_NSC_11hip_rocprim7__merge17predicate_wrapperIxxNSC_4lessIxEEEEEE10hipError_tPvRmT0_T1_T2_T3_T4_T5_mmT6_P12ihipStream_tbEUlT_E_NS1_11comp_targetILNS1_3genE2ELNS1_11target_archE906ELNS1_3gpuE6ELNS1_3repE0EEENS1_30default_config_static_selectorELNS0_4arch9wavefront6targetE0EEEvS10_
    .private_segment_fixed_size: 0
    .sgpr_count:     0
    .sgpr_spill_count: 0
    .symbol:         _ZN7rocprim17ROCPRIM_400000_NS6detail17trampoline_kernelINS0_14default_configENS1_21merge_config_selectorINS0_5tupleIJxxEEENS0_10empty_typeEEEZNS1_10merge_implIS3_NS0_12zip_iteratorINS5_IJN6thrust23THRUST_200600_302600_NS6detail15normal_iteratorINSC_10device_ptrIKxEEEESI_EEEEESK_NSA_INS5_IJNSE_INSF_IxEEEESM_EEEEEPS7_SP_SP_NSC_11hip_rocprim7__merge17predicate_wrapperIxxNSC_4lessIxEEEEEE10hipError_tPvRmT0_T1_T2_T3_T4_T5_mmT6_P12ihipStream_tbEUlT_E_NS1_11comp_targetILNS1_3genE2ELNS1_11target_archE906ELNS1_3gpuE6ELNS1_3repE0EEENS1_30default_config_static_selectorELNS0_4arch9wavefront6targetE0EEEvS10_.kd
    .uniform_work_group_size: 1
    .uses_dynamic_stack: false
    .vgpr_count:     0
    .vgpr_spill_count: 0
    .wavefront_size: 32
    .workgroup_processor_mode: 1
  - .args:
      - .offset:         0
        .size:           64
        .value_kind:     by_value
    .group_segment_fixed_size: 0
    .kernarg_segment_align: 8
    .kernarg_segment_size: 64
    .language:       OpenCL C
    .language_version:
      - 2
      - 0
    .max_flat_workgroup_size: 512
    .name:           _ZN7rocprim17ROCPRIM_400000_NS6detail17trampoline_kernelINS0_14default_configENS1_21merge_config_selectorINS0_5tupleIJxxEEENS0_10empty_typeEEEZNS1_10merge_implIS3_NS0_12zip_iteratorINS5_IJN6thrust23THRUST_200600_302600_NS6detail15normal_iteratorINSC_10device_ptrIKxEEEESI_EEEEESK_NSA_INS5_IJNSE_INSF_IxEEEESM_EEEEEPS7_SP_SP_NSC_11hip_rocprim7__merge17predicate_wrapperIxxNSC_4lessIxEEEEEE10hipError_tPvRmT0_T1_T2_T3_T4_T5_mmT6_P12ihipStream_tbEUlT_E_NS1_11comp_targetILNS1_3genE10ELNS1_11target_archE1201ELNS1_3gpuE5ELNS1_3repE0EEENS1_30default_config_static_selectorELNS0_4arch9wavefront6targetE0EEEvS10_
    .private_segment_fixed_size: 0
    .sgpr_count:     0
    .sgpr_spill_count: 0
    .symbol:         _ZN7rocprim17ROCPRIM_400000_NS6detail17trampoline_kernelINS0_14default_configENS1_21merge_config_selectorINS0_5tupleIJxxEEENS0_10empty_typeEEEZNS1_10merge_implIS3_NS0_12zip_iteratorINS5_IJN6thrust23THRUST_200600_302600_NS6detail15normal_iteratorINSC_10device_ptrIKxEEEESI_EEEEESK_NSA_INS5_IJNSE_INSF_IxEEEESM_EEEEEPS7_SP_SP_NSC_11hip_rocprim7__merge17predicate_wrapperIxxNSC_4lessIxEEEEEE10hipError_tPvRmT0_T1_T2_T3_T4_T5_mmT6_P12ihipStream_tbEUlT_E_NS1_11comp_targetILNS1_3genE10ELNS1_11target_archE1201ELNS1_3gpuE5ELNS1_3repE0EEENS1_30default_config_static_selectorELNS0_4arch9wavefront6targetE0EEEvS10_.kd
    .uniform_work_group_size: 1
    .uses_dynamic_stack: false
    .vgpr_count:     0
    .vgpr_spill_count: 0
    .wavefront_size: 32
    .workgroup_processor_mode: 1
  - .args:
      - .offset:         0
        .size:           64
        .value_kind:     by_value
    .group_segment_fixed_size: 0
    .kernarg_segment_align: 8
    .kernarg_segment_size: 64
    .language:       OpenCL C
    .language_version:
      - 2
      - 0
    .max_flat_workgroup_size: 256
    .name:           _ZN7rocprim17ROCPRIM_400000_NS6detail17trampoline_kernelINS0_14default_configENS1_21merge_config_selectorINS0_5tupleIJxxEEENS0_10empty_typeEEEZNS1_10merge_implIS3_NS0_12zip_iteratorINS5_IJN6thrust23THRUST_200600_302600_NS6detail15normal_iteratorINSC_10device_ptrIKxEEEESI_EEEEESK_NSA_INS5_IJNSE_INSF_IxEEEESM_EEEEEPS7_SP_SP_NSC_11hip_rocprim7__merge17predicate_wrapperIxxNSC_4lessIxEEEEEE10hipError_tPvRmT0_T1_T2_T3_T4_T5_mmT6_P12ihipStream_tbEUlT_E_NS1_11comp_targetILNS1_3genE10ELNS1_11target_archE1200ELNS1_3gpuE4ELNS1_3repE0EEENS1_30default_config_static_selectorELNS0_4arch9wavefront6targetE0EEEvS10_
    .private_segment_fixed_size: 0
    .sgpr_count:     0
    .sgpr_spill_count: 0
    .symbol:         _ZN7rocprim17ROCPRIM_400000_NS6detail17trampoline_kernelINS0_14default_configENS1_21merge_config_selectorINS0_5tupleIJxxEEENS0_10empty_typeEEEZNS1_10merge_implIS3_NS0_12zip_iteratorINS5_IJN6thrust23THRUST_200600_302600_NS6detail15normal_iteratorINSC_10device_ptrIKxEEEESI_EEEEESK_NSA_INS5_IJNSE_INSF_IxEEEESM_EEEEEPS7_SP_SP_NSC_11hip_rocprim7__merge17predicate_wrapperIxxNSC_4lessIxEEEEEE10hipError_tPvRmT0_T1_T2_T3_T4_T5_mmT6_P12ihipStream_tbEUlT_E_NS1_11comp_targetILNS1_3genE10ELNS1_11target_archE1200ELNS1_3gpuE4ELNS1_3repE0EEENS1_30default_config_static_selectorELNS0_4arch9wavefront6targetE0EEEvS10_.kd
    .uniform_work_group_size: 1
    .uses_dynamic_stack: false
    .vgpr_count:     0
    .vgpr_spill_count: 0
    .wavefront_size: 32
    .workgroup_processor_mode: 1
  - .args:
      - .offset:         0
        .size:           64
        .value_kind:     by_value
    .group_segment_fixed_size: 0
    .kernarg_segment_align: 8
    .kernarg_segment_size: 64
    .language:       OpenCL C
    .language_version:
      - 2
      - 0
    .max_flat_workgroup_size: 1024
    .name:           _ZN7rocprim17ROCPRIM_400000_NS6detail17trampoline_kernelINS0_14default_configENS1_21merge_config_selectorINS0_5tupleIJxxEEENS0_10empty_typeEEEZNS1_10merge_implIS3_NS0_12zip_iteratorINS5_IJN6thrust23THRUST_200600_302600_NS6detail15normal_iteratorINSC_10device_ptrIKxEEEESI_EEEEESK_NSA_INS5_IJNSE_INSF_IxEEEESM_EEEEEPS7_SP_SP_NSC_11hip_rocprim7__merge17predicate_wrapperIxxNSC_4lessIxEEEEEE10hipError_tPvRmT0_T1_T2_T3_T4_T5_mmT6_P12ihipStream_tbEUlT_E_NS1_11comp_targetILNS1_3genE9ELNS1_11target_archE1100ELNS1_3gpuE3ELNS1_3repE0EEENS1_30default_config_static_selectorELNS0_4arch9wavefront6targetE0EEEvS10_
    .private_segment_fixed_size: 0
    .sgpr_count:     0
    .sgpr_spill_count: 0
    .symbol:         _ZN7rocprim17ROCPRIM_400000_NS6detail17trampoline_kernelINS0_14default_configENS1_21merge_config_selectorINS0_5tupleIJxxEEENS0_10empty_typeEEEZNS1_10merge_implIS3_NS0_12zip_iteratorINS5_IJN6thrust23THRUST_200600_302600_NS6detail15normal_iteratorINSC_10device_ptrIKxEEEESI_EEEEESK_NSA_INS5_IJNSE_INSF_IxEEEESM_EEEEEPS7_SP_SP_NSC_11hip_rocprim7__merge17predicate_wrapperIxxNSC_4lessIxEEEEEE10hipError_tPvRmT0_T1_T2_T3_T4_T5_mmT6_P12ihipStream_tbEUlT_E_NS1_11comp_targetILNS1_3genE9ELNS1_11target_archE1100ELNS1_3gpuE3ELNS1_3repE0EEENS1_30default_config_static_selectorELNS0_4arch9wavefront6targetE0EEEvS10_.kd
    .uniform_work_group_size: 1
    .uses_dynamic_stack: false
    .vgpr_count:     0
    .vgpr_spill_count: 0
    .wavefront_size: 32
    .workgroup_processor_mode: 1
  - .args:
      - .offset:         0
        .size:           64
        .value_kind:     by_value
      - .offset:         64
        .size:           4
        .value_kind:     hidden_block_count_x
      - .offset:         68
        .size:           4
        .value_kind:     hidden_block_count_y
      - .offset:         72
        .size:           4
        .value_kind:     hidden_block_count_z
      - .offset:         76
        .size:           2
        .value_kind:     hidden_group_size_x
      - .offset:         78
        .size:           2
        .value_kind:     hidden_group_size_y
      - .offset:         80
        .size:           2
        .value_kind:     hidden_group_size_z
      - .offset:         82
        .size:           2
        .value_kind:     hidden_remainder_x
      - .offset:         84
        .size:           2
        .value_kind:     hidden_remainder_y
      - .offset:         86
        .size:           2
        .value_kind:     hidden_remainder_z
      - .offset:         104
        .size:           8
        .value_kind:     hidden_global_offset_x
      - .offset:         112
        .size:           8
        .value_kind:     hidden_global_offset_y
      - .offset:         120
        .size:           8
        .value_kind:     hidden_global_offset_z
      - .offset:         128
        .size:           2
        .value_kind:     hidden_grid_dims
    .group_segment_fixed_size: 0
    .kernarg_segment_align: 8
    .kernarg_segment_size: 320
    .language:       OpenCL C
    .language_version:
      - 2
      - 0
    .max_flat_workgroup_size: 256
    .name:           _ZN7rocprim17ROCPRIM_400000_NS6detail17trampoline_kernelINS0_14default_configENS1_21merge_config_selectorINS0_5tupleIJxxEEENS0_10empty_typeEEEZNS1_10merge_implIS3_NS0_12zip_iteratorINS5_IJN6thrust23THRUST_200600_302600_NS6detail15normal_iteratorINSC_10device_ptrIKxEEEESI_EEEEESK_NSA_INS5_IJNSE_INSF_IxEEEESM_EEEEEPS7_SP_SP_NSC_11hip_rocprim7__merge17predicate_wrapperIxxNSC_4lessIxEEEEEE10hipError_tPvRmT0_T1_T2_T3_T4_T5_mmT6_P12ihipStream_tbEUlT_E_NS1_11comp_targetILNS1_3genE8ELNS1_11target_archE1030ELNS1_3gpuE2ELNS1_3repE0EEENS1_30default_config_static_selectorELNS0_4arch9wavefront6targetE0EEEvS10_
    .private_segment_fixed_size: 0
    .sgpr_count:     18
    .sgpr_spill_count: 0
    .symbol:         _ZN7rocprim17ROCPRIM_400000_NS6detail17trampoline_kernelINS0_14default_configENS1_21merge_config_selectorINS0_5tupleIJxxEEENS0_10empty_typeEEEZNS1_10merge_implIS3_NS0_12zip_iteratorINS5_IJN6thrust23THRUST_200600_302600_NS6detail15normal_iteratorINSC_10device_ptrIKxEEEESI_EEEEESK_NSA_INS5_IJNSE_INSF_IxEEEESM_EEEEEPS7_SP_SP_NSC_11hip_rocprim7__merge17predicate_wrapperIxxNSC_4lessIxEEEEEE10hipError_tPvRmT0_T1_T2_T3_T4_T5_mmT6_P12ihipStream_tbEUlT_E_NS1_11comp_targetILNS1_3genE8ELNS1_11target_archE1030ELNS1_3gpuE2ELNS1_3repE0EEENS1_30default_config_static_selectorELNS0_4arch9wavefront6targetE0EEEvS10_.kd
    .uniform_work_group_size: 1
    .uses_dynamic_stack: false
    .vgpr_count:     14
    .vgpr_spill_count: 0
    .wavefront_size: 32
    .workgroup_processor_mode: 1
  - .args:
      - .offset:         0
        .size:           112
        .value_kind:     by_value
    .group_segment_fixed_size: 0
    .kernarg_segment_align: 8
    .kernarg_segment_size: 112
    .language:       OpenCL C
    .language_version:
      - 2
      - 0
    .max_flat_workgroup_size: 512
    .name:           _ZN7rocprim17ROCPRIM_400000_NS6detail17trampoline_kernelINS0_14default_configENS1_21merge_config_selectorINS0_5tupleIJxxEEENS0_10empty_typeEEEZNS1_10merge_implIS3_NS0_12zip_iteratorINS5_IJN6thrust23THRUST_200600_302600_NS6detail15normal_iteratorINSC_10device_ptrIKxEEEESI_EEEEESK_NSA_INS5_IJNSE_INSF_IxEEEESM_EEEEEPS7_SP_SP_NSC_11hip_rocprim7__merge17predicate_wrapperIxxNSC_4lessIxEEEEEE10hipError_tPvRmT0_T1_T2_T3_T4_T5_mmT6_P12ihipStream_tbEUlT_E0_NS1_11comp_targetILNS1_3genE0ELNS1_11target_archE4294967295ELNS1_3gpuE0ELNS1_3repE0EEENS1_30default_config_static_selectorELNS0_4arch9wavefront6targetE0EEEvS10_
    .private_segment_fixed_size: 0
    .sgpr_count:     0
    .sgpr_spill_count: 0
    .symbol:         _ZN7rocprim17ROCPRIM_400000_NS6detail17trampoline_kernelINS0_14default_configENS1_21merge_config_selectorINS0_5tupleIJxxEEENS0_10empty_typeEEEZNS1_10merge_implIS3_NS0_12zip_iteratorINS5_IJN6thrust23THRUST_200600_302600_NS6detail15normal_iteratorINSC_10device_ptrIKxEEEESI_EEEEESK_NSA_INS5_IJNSE_INSF_IxEEEESM_EEEEEPS7_SP_SP_NSC_11hip_rocprim7__merge17predicate_wrapperIxxNSC_4lessIxEEEEEE10hipError_tPvRmT0_T1_T2_T3_T4_T5_mmT6_P12ihipStream_tbEUlT_E0_NS1_11comp_targetILNS1_3genE0ELNS1_11target_archE4294967295ELNS1_3gpuE0ELNS1_3repE0EEENS1_30default_config_static_selectorELNS0_4arch9wavefront6targetE0EEEvS10_.kd
    .uniform_work_group_size: 1
    .uses_dynamic_stack: false
    .vgpr_count:     0
    .vgpr_spill_count: 0
    .wavefront_size: 32
    .workgroup_processor_mode: 1
  - .args:
      - .offset:         0
        .size:           112
        .value_kind:     by_value
    .group_segment_fixed_size: 0
    .kernarg_segment_align: 8
    .kernarg_segment_size: 112
    .language:       OpenCL C
    .language_version:
      - 2
      - 0
    .max_flat_workgroup_size: 256
    .name:           _ZN7rocprim17ROCPRIM_400000_NS6detail17trampoline_kernelINS0_14default_configENS1_21merge_config_selectorINS0_5tupleIJxxEEENS0_10empty_typeEEEZNS1_10merge_implIS3_NS0_12zip_iteratorINS5_IJN6thrust23THRUST_200600_302600_NS6detail15normal_iteratorINSC_10device_ptrIKxEEEESI_EEEEESK_NSA_INS5_IJNSE_INSF_IxEEEESM_EEEEEPS7_SP_SP_NSC_11hip_rocprim7__merge17predicate_wrapperIxxNSC_4lessIxEEEEEE10hipError_tPvRmT0_T1_T2_T3_T4_T5_mmT6_P12ihipStream_tbEUlT_E0_NS1_11comp_targetILNS1_3genE5ELNS1_11target_archE942ELNS1_3gpuE9ELNS1_3repE0EEENS1_30default_config_static_selectorELNS0_4arch9wavefront6targetE0EEEvS10_
    .private_segment_fixed_size: 0
    .sgpr_count:     0
    .sgpr_spill_count: 0
    .symbol:         _ZN7rocprim17ROCPRIM_400000_NS6detail17trampoline_kernelINS0_14default_configENS1_21merge_config_selectorINS0_5tupleIJxxEEENS0_10empty_typeEEEZNS1_10merge_implIS3_NS0_12zip_iteratorINS5_IJN6thrust23THRUST_200600_302600_NS6detail15normal_iteratorINSC_10device_ptrIKxEEEESI_EEEEESK_NSA_INS5_IJNSE_INSF_IxEEEESM_EEEEEPS7_SP_SP_NSC_11hip_rocprim7__merge17predicate_wrapperIxxNSC_4lessIxEEEEEE10hipError_tPvRmT0_T1_T2_T3_T4_T5_mmT6_P12ihipStream_tbEUlT_E0_NS1_11comp_targetILNS1_3genE5ELNS1_11target_archE942ELNS1_3gpuE9ELNS1_3repE0EEENS1_30default_config_static_selectorELNS0_4arch9wavefront6targetE0EEEvS10_.kd
    .uniform_work_group_size: 1
    .uses_dynamic_stack: false
    .vgpr_count:     0
    .vgpr_spill_count: 0
    .wavefront_size: 32
    .workgroup_processor_mode: 1
  - .args:
      - .offset:         0
        .size:           112
        .value_kind:     by_value
    .group_segment_fixed_size: 0
    .kernarg_segment_align: 8
    .kernarg_segment_size: 112
    .language:       OpenCL C
    .language_version:
      - 2
      - 0
    .max_flat_workgroup_size: 512
    .name:           _ZN7rocprim17ROCPRIM_400000_NS6detail17trampoline_kernelINS0_14default_configENS1_21merge_config_selectorINS0_5tupleIJxxEEENS0_10empty_typeEEEZNS1_10merge_implIS3_NS0_12zip_iteratorINS5_IJN6thrust23THRUST_200600_302600_NS6detail15normal_iteratorINSC_10device_ptrIKxEEEESI_EEEEESK_NSA_INS5_IJNSE_INSF_IxEEEESM_EEEEEPS7_SP_SP_NSC_11hip_rocprim7__merge17predicate_wrapperIxxNSC_4lessIxEEEEEE10hipError_tPvRmT0_T1_T2_T3_T4_T5_mmT6_P12ihipStream_tbEUlT_E0_NS1_11comp_targetILNS1_3genE4ELNS1_11target_archE910ELNS1_3gpuE8ELNS1_3repE0EEENS1_30default_config_static_selectorELNS0_4arch9wavefront6targetE0EEEvS10_
    .private_segment_fixed_size: 0
    .sgpr_count:     0
    .sgpr_spill_count: 0
    .symbol:         _ZN7rocprim17ROCPRIM_400000_NS6detail17trampoline_kernelINS0_14default_configENS1_21merge_config_selectorINS0_5tupleIJxxEEENS0_10empty_typeEEEZNS1_10merge_implIS3_NS0_12zip_iteratorINS5_IJN6thrust23THRUST_200600_302600_NS6detail15normal_iteratorINSC_10device_ptrIKxEEEESI_EEEEESK_NSA_INS5_IJNSE_INSF_IxEEEESM_EEEEEPS7_SP_SP_NSC_11hip_rocprim7__merge17predicate_wrapperIxxNSC_4lessIxEEEEEE10hipError_tPvRmT0_T1_T2_T3_T4_T5_mmT6_P12ihipStream_tbEUlT_E0_NS1_11comp_targetILNS1_3genE4ELNS1_11target_archE910ELNS1_3gpuE8ELNS1_3repE0EEENS1_30default_config_static_selectorELNS0_4arch9wavefront6targetE0EEEvS10_.kd
    .uniform_work_group_size: 1
    .uses_dynamic_stack: false
    .vgpr_count:     0
    .vgpr_spill_count: 0
    .wavefront_size: 32
    .workgroup_processor_mode: 1
  - .args:
      - .offset:         0
        .size:           112
        .value_kind:     by_value
    .group_segment_fixed_size: 0
    .kernarg_segment_align: 8
    .kernarg_segment_size: 112
    .language:       OpenCL C
    .language_version:
      - 2
      - 0
    .max_flat_workgroup_size: 512
    .name:           _ZN7rocprim17ROCPRIM_400000_NS6detail17trampoline_kernelINS0_14default_configENS1_21merge_config_selectorINS0_5tupleIJxxEEENS0_10empty_typeEEEZNS1_10merge_implIS3_NS0_12zip_iteratorINS5_IJN6thrust23THRUST_200600_302600_NS6detail15normal_iteratorINSC_10device_ptrIKxEEEESI_EEEEESK_NSA_INS5_IJNSE_INSF_IxEEEESM_EEEEEPS7_SP_SP_NSC_11hip_rocprim7__merge17predicate_wrapperIxxNSC_4lessIxEEEEEE10hipError_tPvRmT0_T1_T2_T3_T4_T5_mmT6_P12ihipStream_tbEUlT_E0_NS1_11comp_targetILNS1_3genE3ELNS1_11target_archE908ELNS1_3gpuE7ELNS1_3repE0EEENS1_30default_config_static_selectorELNS0_4arch9wavefront6targetE0EEEvS10_
    .private_segment_fixed_size: 0
    .sgpr_count:     0
    .sgpr_spill_count: 0
    .symbol:         _ZN7rocprim17ROCPRIM_400000_NS6detail17trampoline_kernelINS0_14default_configENS1_21merge_config_selectorINS0_5tupleIJxxEEENS0_10empty_typeEEEZNS1_10merge_implIS3_NS0_12zip_iteratorINS5_IJN6thrust23THRUST_200600_302600_NS6detail15normal_iteratorINSC_10device_ptrIKxEEEESI_EEEEESK_NSA_INS5_IJNSE_INSF_IxEEEESM_EEEEEPS7_SP_SP_NSC_11hip_rocprim7__merge17predicate_wrapperIxxNSC_4lessIxEEEEEE10hipError_tPvRmT0_T1_T2_T3_T4_T5_mmT6_P12ihipStream_tbEUlT_E0_NS1_11comp_targetILNS1_3genE3ELNS1_11target_archE908ELNS1_3gpuE7ELNS1_3repE0EEENS1_30default_config_static_selectorELNS0_4arch9wavefront6targetE0EEEvS10_.kd
    .uniform_work_group_size: 1
    .uses_dynamic_stack: false
    .vgpr_count:     0
    .vgpr_spill_count: 0
    .wavefront_size: 32
    .workgroup_processor_mode: 1
  - .args:
      - .offset:         0
        .size:           112
        .value_kind:     by_value
    .group_segment_fixed_size: 0
    .kernarg_segment_align: 8
    .kernarg_segment_size: 112
    .language:       OpenCL C
    .language_version:
      - 2
      - 0
    .max_flat_workgroup_size: 512
    .name:           _ZN7rocprim17ROCPRIM_400000_NS6detail17trampoline_kernelINS0_14default_configENS1_21merge_config_selectorINS0_5tupleIJxxEEENS0_10empty_typeEEEZNS1_10merge_implIS3_NS0_12zip_iteratorINS5_IJN6thrust23THRUST_200600_302600_NS6detail15normal_iteratorINSC_10device_ptrIKxEEEESI_EEEEESK_NSA_INS5_IJNSE_INSF_IxEEEESM_EEEEEPS7_SP_SP_NSC_11hip_rocprim7__merge17predicate_wrapperIxxNSC_4lessIxEEEEEE10hipError_tPvRmT0_T1_T2_T3_T4_T5_mmT6_P12ihipStream_tbEUlT_E0_NS1_11comp_targetILNS1_3genE2ELNS1_11target_archE906ELNS1_3gpuE6ELNS1_3repE0EEENS1_30default_config_static_selectorELNS0_4arch9wavefront6targetE0EEEvS10_
    .private_segment_fixed_size: 0
    .sgpr_count:     0
    .sgpr_spill_count: 0
    .symbol:         _ZN7rocprim17ROCPRIM_400000_NS6detail17trampoline_kernelINS0_14default_configENS1_21merge_config_selectorINS0_5tupleIJxxEEENS0_10empty_typeEEEZNS1_10merge_implIS3_NS0_12zip_iteratorINS5_IJN6thrust23THRUST_200600_302600_NS6detail15normal_iteratorINSC_10device_ptrIKxEEEESI_EEEEESK_NSA_INS5_IJNSE_INSF_IxEEEESM_EEEEEPS7_SP_SP_NSC_11hip_rocprim7__merge17predicate_wrapperIxxNSC_4lessIxEEEEEE10hipError_tPvRmT0_T1_T2_T3_T4_T5_mmT6_P12ihipStream_tbEUlT_E0_NS1_11comp_targetILNS1_3genE2ELNS1_11target_archE906ELNS1_3gpuE6ELNS1_3repE0EEENS1_30default_config_static_selectorELNS0_4arch9wavefront6targetE0EEEvS10_.kd
    .uniform_work_group_size: 1
    .uses_dynamic_stack: false
    .vgpr_count:     0
    .vgpr_spill_count: 0
    .wavefront_size: 32
    .workgroup_processor_mode: 1
  - .args:
      - .offset:         0
        .size:           112
        .value_kind:     by_value
    .group_segment_fixed_size: 0
    .kernarg_segment_align: 8
    .kernarg_segment_size: 112
    .language:       OpenCL C
    .language_version:
      - 2
      - 0
    .max_flat_workgroup_size: 512
    .name:           _ZN7rocprim17ROCPRIM_400000_NS6detail17trampoline_kernelINS0_14default_configENS1_21merge_config_selectorINS0_5tupleIJxxEEENS0_10empty_typeEEEZNS1_10merge_implIS3_NS0_12zip_iteratorINS5_IJN6thrust23THRUST_200600_302600_NS6detail15normal_iteratorINSC_10device_ptrIKxEEEESI_EEEEESK_NSA_INS5_IJNSE_INSF_IxEEEESM_EEEEEPS7_SP_SP_NSC_11hip_rocprim7__merge17predicate_wrapperIxxNSC_4lessIxEEEEEE10hipError_tPvRmT0_T1_T2_T3_T4_T5_mmT6_P12ihipStream_tbEUlT_E0_NS1_11comp_targetILNS1_3genE10ELNS1_11target_archE1201ELNS1_3gpuE5ELNS1_3repE0EEENS1_30default_config_static_selectorELNS0_4arch9wavefront6targetE0EEEvS10_
    .private_segment_fixed_size: 0
    .sgpr_count:     0
    .sgpr_spill_count: 0
    .symbol:         _ZN7rocprim17ROCPRIM_400000_NS6detail17trampoline_kernelINS0_14default_configENS1_21merge_config_selectorINS0_5tupleIJxxEEENS0_10empty_typeEEEZNS1_10merge_implIS3_NS0_12zip_iteratorINS5_IJN6thrust23THRUST_200600_302600_NS6detail15normal_iteratorINSC_10device_ptrIKxEEEESI_EEEEESK_NSA_INS5_IJNSE_INSF_IxEEEESM_EEEEEPS7_SP_SP_NSC_11hip_rocprim7__merge17predicate_wrapperIxxNSC_4lessIxEEEEEE10hipError_tPvRmT0_T1_T2_T3_T4_T5_mmT6_P12ihipStream_tbEUlT_E0_NS1_11comp_targetILNS1_3genE10ELNS1_11target_archE1201ELNS1_3gpuE5ELNS1_3repE0EEENS1_30default_config_static_selectorELNS0_4arch9wavefront6targetE0EEEvS10_.kd
    .uniform_work_group_size: 1
    .uses_dynamic_stack: false
    .vgpr_count:     0
    .vgpr_spill_count: 0
    .wavefront_size: 32
    .workgroup_processor_mode: 1
  - .args:
      - .offset:         0
        .size:           112
        .value_kind:     by_value
    .group_segment_fixed_size: 0
    .kernarg_segment_align: 8
    .kernarg_segment_size: 112
    .language:       OpenCL C
    .language_version:
      - 2
      - 0
    .max_flat_workgroup_size: 256
    .name:           _ZN7rocprim17ROCPRIM_400000_NS6detail17trampoline_kernelINS0_14default_configENS1_21merge_config_selectorINS0_5tupleIJxxEEENS0_10empty_typeEEEZNS1_10merge_implIS3_NS0_12zip_iteratorINS5_IJN6thrust23THRUST_200600_302600_NS6detail15normal_iteratorINSC_10device_ptrIKxEEEESI_EEEEESK_NSA_INS5_IJNSE_INSF_IxEEEESM_EEEEEPS7_SP_SP_NSC_11hip_rocprim7__merge17predicate_wrapperIxxNSC_4lessIxEEEEEE10hipError_tPvRmT0_T1_T2_T3_T4_T5_mmT6_P12ihipStream_tbEUlT_E0_NS1_11comp_targetILNS1_3genE10ELNS1_11target_archE1200ELNS1_3gpuE4ELNS1_3repE0EEENS1_30default_config_static_selectorELNS0_4arch9wavefront6targetE0EEEvS10_
    .private_segment_fixed_size: 0
    .sgpr_count:     0
    .sgpr_spill_count: 0
    .symbol:         _ZN7rocprim17ROCPRIM_400000_NS6detail17trampoline_kernelINS0_14default_configENS1_21merge_config_selectorINS0_5tupleIJxxEEENS0_10empty_typeEEEZNS1_10merge_implIS3_NS0_12zip_iteratorINS5_IJN6thrust23THRUST_200600_302600_NS6detail15normal_iteratorINSC_10device_ptrIKxEEEESI_EEEEESK_NSA_INS5_IJNSE_INSF_IxEEEESM_EEEEEPS7_SP_SP_NSC_11hip_rocprim7__merge17predicate_wrapperIxxNSC_4lessIxEEEEEE10hipError_tPvRmT0_T1_T2_T3_T4_T5_mmT6_P12ihipStream_tbEUlT_E0_NS1_11comp_targetILNS1_3genE10ELNS1_11target_archE1200ELNS1_3gpuE4ELNS1_3repE0EEENS1_30default_config_static_selectorELNS0_4arch9wavefront6targetE0EEEvS10_.kd
    .uniform_work_group_size: 1
    .uses_dynamic_stack: false
    .vgpr_count:     0
    .vgpr_spill_count: 0
    .wavefront_size: 32
    .workgroup_processor_mode: 1
  - .args:
      - .offset:         0
        .size:           112
        .value_kind:     by_value
    .group_segment_fixed_size: 0
    .kernarg_segment_align: 8
    .kernarg_segment_size: 112
    .language:       OpenCL C
    .language_version:
      - 2
      - 0
    .max_flat_workgroup_size: 1024
    .name:           _ZN7rocprim17ROCPRIM_400000_NS6detail17trampoline_kernelINS0_14default_configENS1_21merge_config_selectorINS0_5tupleIJxxEEENS0_10empty_typeEEEZNS1_10merge_implIS3_NS0_12zip_iteratorINS5_IJN6thrust23THRUST_200600_302600_NS6detail15normal_iteratorINSC_10device_ptrIKxEEEESI_EEEEESK_NSA_INS5_IJNSE_INSF_IxEEEESM_EEEEEPS7_SP_SP_NSC_11hip_rocprim7__merge17predicate_wrapperIxxNSC_4lessIxEEEEEE10hipError_tPvRmT0_T1_T2_T3_T4_T5_mmT6_P12ihipStream_tbEUlT_E0_NS1_11comp_targetILNS1_3genE9ELNS1_11target_archE1100ELNS1_3gpuE3ELNS1_3repE0EEENS1_30default_config_static_selectorELNS0_4arch9wavefront6targetE0EEEvS10_
    .private_segment_fixed_size: 0
    .sgpr_count:     0
    .sgpr_spill_count: 0
    .symbol:         _ZN7rocprim17ROCPRIM_400000_NS6detail17trampoline_kernelINS0_14default_configENS1_21merge_config_selectorINS0_5tupleIJxxEEENS0_10empty_typeEEEZNS1_10merge_implIS3_NS0_12zip_iteratorINS5_IJN6thrust23THRUST_200600_302600_NS6detail15normal_iteratorINSC_10device_ptrIKxEEEESI_EEEEESK_NSA_INS5_IJNSE_INSF_IxEEEESM_EEEEEPS7_SP_SP_NSC_11hip_rocprim7__merge17predicate_wrapperIxxNSC_4lessIxEEEEEE10hipError_tPvRmT0_T1_T2_T3_T4_T5_mmT6_P12ihipStream_tbEUlT_E0_NS1_11comp_targetILNS1_3genE9ELNS1_11target_archE1100ELNS1_3gpuE3ELNS1_3repE0EEENS1_30default_config_static_selectorELNS0_4arch9wavefront6targetE0EEEvS10_.kd
    .uniform_work_group_size: 1
    .uses_dynamic_stack: false
    .vgpr_count:     0
    .vgpr_spill_count: 0
    .wavefront_size: 32
    .workgroup_processor_mode: 1
  - .args:
      - .offset:         0
        .size:           112
        .value_kind:     by_value
    .group_segment_fixed_size: 33792
    .kernarg_segment_align: 8
    .kernarg_segment_size: 112
    .language:       OpenCL C
    .language_version:
      - 2
      - 0
    .max_flat_workgroup_size: 256
    .name:           _ZN7rocprim17ROCPRIM_400000_NS6detail17trampoline_kernelINS0_14default_configENS1_21merge_config_selectorINS0_5tupleIJxxEEENS0_10empty_typeEEEZNS1_10merge_implIS3_NS0_12zip_iteratorINS5_IJN6thrust23THRUST_200600_302600_NS6detail15normal_iteratorINSC_10device_ptrIKxEEEESI_EEEEESK_NSA_INS5_IJNSE_INSF_IxEEEESM_EEEEEPS7_SP_SP_NSC_11hip_rocprim7__merge17predicate_wrapperIxxNSC_4lessIxEEEEEE10hipError_tPvRmT0_T1_T2_T3_T4_T5_mmT6_P12ihipStream_tbEUlT_E0_NS1_11comp_targetILNS1_3genE8ELNS1_11target_archE1030ELNS1_3gpuE2ELNS1_3repE0EEENS1_30default_config_static_selectorELNS0_4arch9wavefront6targetE0EEEvS10_
    .private_segment_fixed_size: 0
    .sgpr_count:     28
    .sgpr_spill_count: 0
    .symbol:         _ZN7rocprim17ROCPRIM_400000_NS6detail17trampoline_kernelINS0_14default_configENS1_21merge_config_selectorINS0_5tupleIJxxEEENS0_10empty_typeEEEZNS1_10merge_implIS3_NS0_12zip_iteratorINS5_IJN6thrust23THRUST_200600_302600_NS6detail15normal_iteratorINSC_10device_ptrIKxEEEESI_EEEEESK_NSA_INS5_IJNSE_INSF_IxEEEESM_EEEEEPS7_SP_SP_NSC_11hip_rocprim7__merge17predicate_wrapperIxxNSC_4lessIxEEEEEE10hipError_tPvRmT0_T1_T2_T3_T4_T5_mmT6_P12ihipStream_tbEUlT_E0_NS1_11comp_targetILNS1_3genE8ELNS1_11target_archE1030ELNS1_3gpuE2ELNS1_3repE0EEENS1_30default_config_static_selectorELNS0_4arch9wavefront6targetE0EEEvS10_.kd
    .uniform_work_group_size: 1
    .uses_dynamic_stack: false
    .vgpr_count:     63
    .vgpr_spill_count: 0
    .wavefront_size: 32
    .workgroup_processor_mode: 1
  - .args:
      - .offset:         0
        .size:           104
        .value_kind:     by_value
    .group_segment_fixed_size: 0
    .kernarg_segment_align: 8
    .kernarg_segment_size: 104
    .language:       OpenCL C
    .language_version:
      - 2
      - 0
    .max_flat_workgroup_size: 128
    .name:           _ZN7rocprim17ROCPRIM_400000_NS6detail17trampoline_kernelINS0_14default_configENS1_22reduce_config_selectorIN6thrust23THRUST_200600_302600_NS5tupleIblNS6_9null_typeES8_S8_S8_S8_S8_S8_S8_EEEEZNS1_11reduce_implILb1ES3_NS6_12zip_iteratorINS7_INS6_11hip_rocprim26transform_input_iterator_tIbNSD_35transform_pair_of_input_iterators_tIbNS6_6detail15normal_iteratorINS6_10device_ptrIKxEEEESL_NS6_8equal_toIxEEEENSG_9not_fun_tINSD_8identityEEEEENSD_19counting_iterator_tIlEES8_S8_S8_S8_S8_S8_S8_S8_EEEEPS9_S9_NSD_9__find_if7functorIS9_EEEE10hipError_tPvRmT1_T2_T3_mT4_P12ihipStream_tbEUlT_E0_NS1_11comp_targetILNS1_3genE0ELNS1_11target_archE4294967295ELNS1_3gpuE0ELNS1_3repE0EEENS1_30default_config_static_selectorELNS0_4arch9wavefront6targetE0EEEvS14_
    .private_segment_fixed_size: 0
    .sgpr_count:     0
    .sgpr_spill_count: 0
    .symbol:         _ZN7rocprim17ROCPRIM_400000_NS6detail17trampoline_kernelINS0_14default_configENS1_22reduce_config_selectorIN6thrust23THRUST_200600_302600_NS5tupleIblNS6_9null_typeES8_S8_S8_S8_S8_S8_S8_EEEEZNS1_11reduce_implILb1ES3_NS6_12zip_iteratorINS7_INS6_11hip_rocprim26transform_input_iterator_tIbNSD_35transform_pair_of_input_iterators_tIbNS6_6detail15normal_iteratorINS6_10device_ptrIKxEEEESL_NS6_8equal_toIxEEEENSG_9not_fun_tINSD_8identityEEEEENSD_19counting_iterator_tIlEES8_S8_S8_S8_S8_S8_S8_S8_EEEEPS9_S9_NSD_9__find_if7functorIS9_EEEE10hipError_tPvRmT1_T2_T3_mT4_P12ihipStream_tbEUlT_E0_NS1_11comp_targetILNS1_3genE0ELNS1_11target_archE4294967295ELNS1_3gpuE0ELNS1_3repE0EEENS1_30default_config_static_selectorELNS0_4arch9wavefront6targetE0EEEvS14_.kd
    .uniform_work_group_size: 1
    .uses_dynamic_stack: false
    .vgpr_count:     0
    .vgpr_spill_count: 0
    .wavefront_size: 32
    .workgroup_processor_mode: 1
  - .args:
      - .offset:         0
        .size:           104
        .value_kind:     by_value
    .group_segment_fixed_size: 0
    .kernarg_segment_align: 8
    .kernarg_segment_size: 104
    .language:       OpenCL C
    .language_version:
      - 2
      - 0
    .max_flat_workgroup_size: 256
    .name:           _ZN7rocprim17ROCPRIM_400000_NS6detail17trampoline_kernelINS0_14default_configENS1_22reduce_config_selectorIN6thrust23THRUST_200600_302600_NS5tupleIblNS6_9null_typeES8_S8_S8_S8_S8_S8_S8_EEEEZNS1_11reduce_implILb1ES3_NS6_12zip_iteratorINS7_INS6_11hip_rocprim26transform_input_iterator_tIbNSD_35transform_pair_of_input_iterators_tIbNS6_6detail15normal_iteratorINS6_10device_ptrIKxEEEESL_NS6_8equal_toIxEEEENSG_9not_fun_tINSD_8identityEEEEENSD_19counting_iterator_tIlEES8_S8_S8_S8_S8_S8_S8_S8_EEEEPS9_S9_NSD_9__find_if7functorIS9_EEEE10hipError_tPvRmT1_T2_T3_mT4_P12ihipStream_tbEUlT_E0_NS1_11comp_targetILNS1_3genE5ELNS1_11target_archE942ELNS1_3gpuE9ELNS1_3repE0EEENS1_30default_config_static_selectorELNS0_4arch9wavefront6targetE0EEEvS14_
    .private_segment_fixed_size: 0
    .sgpr_count:     0
    .sgpr_spill_count: 0
    .symbol:         _ZN7rocprim17ROCPRIM_400000_NS6detail17trampoline_kernelINS0_14default_configENS1_22reduce_config_selectorIN6thrust23THRUST_200600_302600_NS5tupleIblNS6_9null_typeES8_S8_S8_S8_S8_S8_S8_EEEEZNS1_11reduce_implILb1ES3_NS6_12zip_iteratorINS7_INS6_11hip_rocprim26transform_input_iterator_tIbNSD_35transform_pair_of_input_iterators_tIbNS6_6detail15normal_iteratorINS6_10device_ptrIKxEEEESL_NS6_8equal_toIxEEEENSG_9not_fun_tINSD_8identityEEEEENSD_19counting_iterator_tIlEES8_S8_S8_S8_S8_S8_S8_S8_EEEEPS9_S9_NSD_9__find_if7functorIS9_EEEE10hipError_tPvRmT1_T2_T3_mT4_P12ihipStream_tbEUlT_E0_NS1_11comp_targetILNS1_3genE5ELNS1_11target_archE942ELNS1_3gpuE9ELNS1_3repE0EEENS1_30default_config_static_selectorELNS0_4arch9wavefront6targetE0EEEvS14_.kd
    .uniform_work_group_size: 1
    .uses_dynamic_stack: false
    .vgpr_count:     0
    .vgpr_spill_count: 0
    .wavefront_size: 32
    .workgroup_processor_mode: 1
  - .args:
      - .offset:         0
        .size:           104
        .value_kind:     by_value
    .group_segment_fixed_size: 0
    .kernarg_segment_align: 8
    .kernarg_segment_size: 104
    .language:       OpenCL C
    .language_version:
      - 2
      - 0
    .max_flat_workgroup_size: 256
    .name:           _ZN7rocprim17ROCPRIM_400000_NS6detail17trampoline_kernelINS0_14default_configENS1_22reduce_config_selectorIN6thrust23THRUST_200600_302600_NS5tupleIblNS6_9null_typeES8_S8_S8_S8_S8_S8_S8_EEEEZNS1_11reduce_implILb1ES3_NS6_12zip_iteratorINS7_INS6_11hip_rocprim26transform_input_iterator_tIbNSD_35transform_pair_of_input_iterators_tIbNS6_6detail15normal_iteratorINS6_10device_ptrIKxEEEESL_NS6_8equal_toIxEEEENSG_9not_fun_tINSD_8identityEEEEENSD_19counting_iterator_tIlEES8_S8_S8_S8_S8_S8_S8_S8_EEEEPS9_S9_NSD_9__find_if7functorIS9_EEEE10hipError_tPvRmT1_T2_T3_mT4_P12ihipStream_tbEUlT_E0_NS1_11comp_targetILNS1_3genE4ELNS1_11target_archE910ELNS1_3gpuE8ELNS1_3repE0EEENS1_30default_config_static_selectorELNS0_4arch9wavefront6targetE0EEEvS14_
    .private_segment_fixed_size: 0
    .sgpr_count:     0
    .sgpr_spill_count: 0
    .symbol:         _ZN7rocprim17ROCPRIM_400000_NS6detail17trampoline_kernelINS0_14default_configENS1_22reduce_config_selectorIN6thrust23THRUST_200600_302600_NS5tupleIblNS6_9null_typeES8_S8_S8_S8_S8_S8_S8_EEEEZNS1_11reduce_implILb1ES3_NS6_12zip_iteratorINS7_INS6_11hip_rocprim26transform_input_iterator_tIbNSD_35transform_pair_of_input_iterators_tIbNS6_6detail15normal_iteratorINS6_10device_ptrIKxEEEESL_NS6_8equal_toIxEEEENSG_9not_fun_tINSD_8identityEEEEENSD_19counting_iterator_tIlEES8_S8_S8_S8_S8_S8_S8_S8_EEEEPS9_S9_NSD_9__find_if7functorIS9_EEEE10hipError_tPvRmT1_T2_T3_mT4_P12ihipStream_tbEUlT_E0_NS1_11comp_targetILNS1_3genE4ELNS1_11target_archE910ELNS1_3gpuE8ELNS1_3repE0EEENS1_30default_config_static_selectorELNS0_4arch9wavefront6targetE0EEEvS14_.kd
    .uniform_work_group_size: 1
    .uses_dynamic_stack: false
    .vgpr_count:     0
    .vgpr_spill_count: 0
    .wavefront_size: 32
    .workgroup_processor_mode: 1
  - .args:
      - .offset:         0
        .size:           104
        .value_kind:     by_value
    .group_segment_fixed_size: 0
    .kernarg_segment_align: 8
    .kernarg_segment_size: 104
    .language:       OpenCL C
    .language_version:
      - 2
      - 0
    .max_flat_workgroup_size: 128
    .name:           _ZN7rocprim17ROCPRIM_400000_NS6detail17trampoline_kernelINS0_14default_configENS1_22reduce_config_selectorIN6thrust23THRUST_200600_302600_NS5tupleIblNS6_9null_typeES8_S8_S8_S8_S8_S8_S8_EEEEZNS1_11reduce_implILb1ES3_NS6_12zip_iteratorINS7_INS6_11hip_rocprim26transform_input_iterator_tIbNSD_35transform_pair_of_input_iterators_tIbNS6_6detail15normal_iteratorINS6_10device_ptrIKxEEEESL_NS6_8equal_toIxEEEENSG_9not_fun_tINSD_8identityEEEEENSD_19counting_iterator_tIlEES8_S8_S8_S8_S8_S8_S8_S8_EEEEPS9_S9_NSD_9__find_if7functorIS9_EEEE10hipError_tPvRmT1_T2_T3_mT4_P12ihipStream_tbEUlT_E0_NS1_11comp_targetILNS1_3genE3ELNS1_11target_archE908ELNS1_3gpuE7ELNS1_3repE0EEENS1_30default_config_static_selectorELNS0_4arch9wavefront6targetE0EEEvS14_
    .private_segment_fixed_size: 0
    .sgpr_count:     0
    .sgpr_spill_count: 0
    .symbol:         _ZN7rocprim17ROCPRIM_400000_NS6detail17trampoline_kernelINS0_14default_configENS1_22reduce_config_selectorIN6thrust23THRUST_200600_302600_NS5tupleIblNS6_9null_typeES8_S8_S8_S8_S8_S8_S8_EEEEZNS1_11reduce_implILb1ES3_NS6_12zip_iteratorINS7_INS6_11hip_rocprim26transform_input_iterator_tIbNSD_35transform_pair_of_input_iterators_tIbNS6_6detail15normal_iteratorINS6_10device_ptrIKxEEEESL_NS6_8equal_toIxEEEENSG_9not_fun_tINSD_8identityEEEEENSD_19counting_iterator_tIlEES8_S8_S8_S8_S8_S8_S8_S8_EEEEPS9_S9_NSD_9__find_if7functorIS9_EEEE10hipError_tPvRmT1_T2_T3_mT4_P12ihipStream_tbEUlT_E0_NS1_11comp_targetILNS1_3genE3ELNS1_11target_archE908ELNS1_3gpuE7ELNS1_3repE0EEENS1_30default_config_static_selectorELNS0_4arch9wavefront6targetE0EEEvS14_.kd
    .uniform_work_group_size: 1
    .uses_dynamic_stack: false
    .vgpr_count:     0
    .vgpr_spill_count: 0
    .wavefront_size: 32
    .workgroup_processor_mode: 1
  - .args:
      - .offset:         0
        .size:           104
        .value_kind:     by_value
    .group_segment_fixed_size: 0
    .kernarg_segment_align: 8
    .kernarg_segment_size: 104
    .language:       OpenCL C
    .language_version:
      - 2
      - 0
    .max_flat_workgroup_size: 128
    .name:           _ZN7rocprim17ROCPRIM_400000_NS6detail17trampoline_kernelINS0_14default_configENS1_22reduce_config_selectorIN6thrust23THRUST_200600_302600_NS5tupleIblNS6_9null_typeES8_S8_S8_S8_S8_S8_S8_EEEEZNS1_11reduce_implILb1ES3_NS6_12zip_iteratorINS7_INS6_11hip_rocprim26transform_input_iterator_tIbNSD_35transform_pair_of_input_iterators_tIbNS6_6detail15normal_iteratorINS6_10device_ptrIKxEEEESL_NS6_8equal_toIxEEEENSG_9not_fun_tINSD_8identityEEEEENSD_19counting_iterator_tIlEES8_S8_S8_S8_S8_S8_S8_S8_EEEEPS9_S9_NSD_9__find_if7functorIS9_EEEE10hipError_tPvRmT1_T2_T3_mT4_P12ihipStream_tbEUlT_E0_NS1_11comp_targetILNS1_3genE2ELNS1_11target_archE906ELNS1_3gpuE6ELNS1_3repE0EEENS1_30default_config_static_selectorELNS0_4arch9wavefront6targetE0EEEvS14_
    .private_segment_fixed_size: 0
    .sgpr_count:     0
    .sgpr_spill_count: 0
    .symbol:         _ZN7rocprim17ROCPRIM_400000_NS6detail17trampoline_kernelINS0_14default_configENS1_22reduce_config_selectorIN6thrust23THRUST_200600_302600_NS5tupleIblNS6_9null_typeES8_S8_S8_S8_S8_S8_S8_EEEEZNS1_11reduce_implILb1ES3_NS6_12zip_iteratorINS7_INS6_11hip_rocprim26transform_input_iterator_tIbNSD_35transform_pair_of_input_iterators_tIbNS6_6detail15normal_iteratorINS6_10device_ptrIKxEEEESL_NS6_8equal_toIxEEEENSG_9not_fun_tINSD_8identityEEEEENSD_19counting_iterator_tIlEES8_S8_S8_S8_S8_S8_S8_S8_EEEEPS9_S9_NSD_9__find_if7functorIS9_EEEE10hipError_tPvRmT1_T2_T3_mT4_P12ihipStream_tbEUlT_E0_NS1_11comp_targetILNS1_3genE2ELNS1_11target_archE906ELNS1_3gpuE6ELNS1_3repE0EEENS1_30default_config_static_selectorELNS0_4arch9wavefront6targetE0EEEvS14_.kd
    .uniform_work_group_size: 1
    .uses_dynamic_stack: false
    .vgpr_count:     0
    .vgpr_spill_count: 0
    .wavefront_size: 32
    .workgroup_processor_mode: 1
  - .args:
      - .offset:         0
        .size:           104
        .value_kind:     by_value
    .group_segment_fixed_size: 0
    .kernarg_segment_align: 8
    .kernarg_segment_size: 104
    .language:       OpenCL C
    .language_version:
      - 2
      - 0
    .max_flat_workgroup_size: 256
    .name:           _ZN7rocprim17ROCPRIM_400000_NS6detail17trampoline_kernelINS0_14default_configENS1_22reduce_config_selectorIN6thrust23THRUST_200600_302600_NS5tupleIblNS6_9null_typeES8_S8_S8_S8_S8_S8_S8_EEEEZNS1_11reduce_implILb1ES3_NS6_12zip_iteratorINS7_INS6_11hip_rocprim26transform_input_iterator_tIbNSD_35transform_pair_of_input_iterators_tIbNS6_6detail15normal_iteratorINS6_10device_ptrIKxEEEESL_NS6_8equal_toIxEEEENSG_9not_fun_tINSD_8identityEEEEENSD_19counting_iterator_tIlEES8_S8_S8_S8_S8_S8_S8_S8_EEEEPS9_S9_NSD_9__find_if7functorIS9_EEEE10hipError_tPvRmT1_T2_T3_mT4_P12ihipStream_tbEUlT_E0_NS1_11comp_targetILNS1_3genE10ELNS1_11target_archE1201ELNS1_3gpuE5ELNS1_3repE0EEENS1_30default_config_static_selectorELNS0_4arch9wavefront6targetE0EEEvS14_
    .private_segment_fixed_size: 0
    .sgpr_count:     0
    .sgpr_spill_count: 0
    .symbol:         _ZN7rocprim17ROCPRIM_400000_NS6detail17trampoline_kernelINS0_14default_configENS1_22reduce_config_selectorIN6thrust23THRUST_200600_302600_NS5tupleIblNS6_9null_typeES8_S8_S8_S8_S8_S8_S8_EEEEZNS1_11reduce_implILb1ES3_NS6_12zip_iteratorINS7_INS6_11hip_rocprim26transform_input_iterator_tIbNSD_35transform_pair_of_input_iterators_tIbNS6_6detail15normal_iteratorINS6_10device_ptrIKxEEEESL_NS6_8equal_toIxEEEENSG_9not_fun_tINSD_8identityEEEEENSD_19counting_iterator_tIlEES8_S8_S8_S8_S8_S8_S8_S8_EEEEPS9_S9_NSD_9__find_if7functorIS9_EEEE10hipError_tPvRmT1_T2_T3_mT4_P12ihipStream_tbEUlT_E0_NS1_11comp_targetILNS1_3genE10ELNS1_11target_archE1201ELNS1_3gpuE5ELNS1_3repE0EEENS1_30default_config_static_selectorELNS0_4arch9wavefront6targetE0EEEvS14_.kd
    .uniform_work_group_size: 1
    .uses_dynamic_stack: false
    .vgpr_count:     0
    .vgpr_spill_count: 0
    .wavefront_size: 32
    .workgroup_processor_mode: 1
  - .args:
      - .offset:         0
        .size:           104
        .value_kind:     by_value
    .group_segment_fixed_size: 0
    .kernarg_segment_align: 8
    .kernarg_segment_size: 104
    .language:       OpenCL C
    .language_version:
      - 2
      - 0
    .max_flat_workgroup_size: 256
    .name:           _ZN7rocprim17ROCPRIM_400000_NS6detail17trampoline_kernelINS0_14default_configENS1_22reduce_config_selectorIN6thrust23THRUST_200600_302600_NS5tupleIblNS6_9null_typeES8_S8_S8_S8_S8_S8_S8_EEEEZNS1_11reduce_implILb1ES3_NS6_12zip_iteratorINS7_INS6_11hip_rocprim26transform_input_iterator_tIbNSD_35transform_pair_of_input_iterators_tIbNS6_6detail15normal_iteratorINS6_10device_ptrIKxEEEESL_NS6_8equal_toIxEEEENSG_9not_fun_tINSD_8identityEEEEENSD_19counting_iterator_tIlEES8_S8_S8_S8_S8_S8_S8_S8_EEEEPS9_S9_NSD_9__find_if7functorIS9_EEEE10hipError_tPvRmT1_T2_T3_mT4_P12ihipStream_tbEUlT_E0_NS1_11comp_targetILNS1_3genE10ELNS1_11target_archE1200ELNS1_3gpuE4ELNS1_3repE0EEENS1_30default_config_static_selectorELNS0_4arch9wavefront6targetE0EEEvS14_
    .private_segment_fixed_size: 0
    .sgpr_count:     0
    .sgpr_spill_count: 0
    .symbol:         _ZN7rocprim17ROCPRIM_400000_NS6detail17trampoline_kernelINS0_14default_configENS1_22reduce_config_selectorIN6thrust23THRUST_200600_302600_NS5tupleIblNS6_9null_typeES8_S8_S8_S8_S8_S8_S8_EEEEZNS1_11reduce_implILb1ES3_NS6_12zip_iteratorINS7_INS6_11hip_rocprim26transform_input_iterator_tIbNSD_35transform_pair_of_input_iterators_tIbNS6_6detail15normal_iteratorINS6_10device_ptrIKxEEEESL_NS6_8equal_toIxEEEENSG_9not_fun_tINSD_8identityEEEEENSD_19counting_iterator_tIlEES8_S8_S8_S8_S8_S8_S8_S8_EEEEPS9_S9_NSD_9__find_if7functorIS9_EEEE10hipError_tPvRmT1_T2_T3_mT4_P12ihipStream_tbEUlT_E0_NS1_11comp_targetILNS1_3genE10ELNS1_11target_archE1200ELNS1_3gpuE4ELNS1_3repE0EEENS1_30default_config_static_selectorELNS0_4arch9wavefront6targetE0EEEvS14_.kd
    .uniform_work_group_size: 1
    .uses_dynamic_stack: false
    .vgpr_count:     0
    .vgpr_spill_count: 0
    .wavefront_size: 32
    .workgroup_processor_mode: 1
  - .args:
      - .offset:         0
        .size:           104
        .value_kind:     by_value
    .group_segment_fixed_size: 0
    .kernarg_segment_align: 8
    .kernarg_segment_size: 104
    .language:       OpenCL C
    .language_version:
      - 2
      - 0
    .max_flat_workgroup_size: 256
    .name:           _ZN7rocprim17ROCPRIM_400000_NS6detail17trampoline_kernelINS0_14default_configENS1_22reduce_config_selectorIN6thrust23THRUST_200600_302600_NS5tupleIblNS6_9null_typeES8_S8_S8_S8_S8_S8_S8_EEEEZNS1_11reduce_implILb1ES3_NS6_12zip_iteratorINS7_INS6_11hip_rocprim26transform_input_iterator_tIbNSD_35transform_pair_of_input_iterators_tIbNS6_6detail15normal_iteratorINS6_10device_ptrIKxEEEESL_NS6_8equal_toIxEEEENSG_9not_fun_tINSD_8identityEEEEENSD_19counting_iterator_tIlEES8_S8_S8_S8_S8_S8_S8_S8_EEEEPS9_S9_NSD_9__find_if7functorIS9_EEEE10hipError_tPvRmT1_T2_T3_mT4_P12ihipStream_tbEUlT_E0_NS1_11comp_targetILNS1_3genE9ELNS1_11target_archE1100ELNS1_3gpuE3ELNS1_3repE0EEENS1_30default_config_static_selectorELNS0_4arch9wavefront6targetE0EEEvS14_
    .private_segment_fixed_size: 0
    .sgpr_count:     0
    .sgpr_spill_count: 0
    .symbol:         _ZN7rocprim17ROCPRIM_400000_NS6detail17trampoline_kernelINS0_14default_configENS1_22reduce_config_selectorIN6thrust23THRUST_200600_302600_NS5tupleIblNS6_9null_typeES8_S8_S8_S8_S8_S8_S8_EEEEZNS1_11reduce_implILb1ES3_NS6_12zip_iteratorINS7_INS6_11hip_rocprim26transform_input_iterator_tIbNSD_35transform_pair_of_input_iterators_tIbNS6_6detail15normal_iteratorINS6_10device_ptrIKxEEEESL_NS6_8equal_toIxEEEENSG_9not_fun_tINSD_8identityEEEEENSD_19counting_iterator_tIlEES8_S8_S8_S8_S8_S8_S8_S8_EEEEPS9_S9_NSD_9__find_if7functorIS9_EEEE10hipError_tPvRmT1_T2_T3_mT4_P12ihipStream_tbEUlT_E0_NS1_11comp_targetILNS1_3genE9ELNS1_11target_archE1100ELNS1_3gpuE3ELNS1_3repE0EEENS1_30default_config_static_selectorELNS0_4arch9wavefront6targetE0EEEvS14_.kd
    .uniform_work_group_size: 1
    .uses_dynamic_stack: false
    .vgpr_count:     0
    .vgpr_spill_count: 0
    .wavefront_size: 32
    .workgroup_processor_mode: 1
  - .args:
      - .offset:         0
        .size:           104
        .value_kind:     by_value
    .group_segment_fixed_size: 256
    .kernarg_segment_align: 8
    .kernarg_segment_size: 104
    .language:       OpenCL C
    .language_version:
      - 2
      - 0
    .max_flat_workgroup_size: 256
    .name:           _ZN7rocprim17ROCPRIM_400000_NS6detail17trampoline_kernelINS0_14default_configENS1_22reduce_config_selectorIN6thrust23THRUST_200600_302600_NS5tupleIblNS6_9null_typeES8_S8_S8_S8_S8_S8_S8_EEEEZNS1_11reduce_implILb1ES3_NS6_12zip_iteratorINS7_INS6_11hip_rocprim26transform_input_iterator_tIbNSD_35transform_pair_of_input_iterators_tIbNS6_6detail15normal_iteratorINS6_10device_ptrIKxEEEESL_NS6_8equal_toIxEEEENSG_9not_fun_tINSD_8identityEEEEENSD_19counting_iterator_tIlEES8_S8_S8_S8_S8_S8_S8_S8_EEEEPS9_S9_NSD_9__find_if7functorIS9_EEEE10hipError_tPvRmT1_T2_T3_mT4_P12ihipStream_tbEUlT_E0_NS1_11comp_targetILNS1_3genE8ELNS1_11target_archE1030ELNS1_3gpuE2ELNS1_3repE0EEENS1_30default_config_static_selectorELNS0_4arch9wavefront6targetE0EEEvS14_
    .private_segment_fixed_size: 0
    .sgpr_count:     30
    .sgpr_spill_count: 0
    .symbol:         _ZN7rocprim17ROCPRIM_400000_NS6detail17trampoline_kernelINS0_14default_configENS1_22reduce_config_selectorIN6thrust23THRUST_200600_302600_NS5tupleIblNS6_9null_typeES8_S8_S8_S8_S8_S8_S8_EEEEZNS1_11reduce_implILb1ES3_NS6_12zip_iteratorINS7_INS6_11hip_rocprim26transform_input_iterator_tIbNSD_35transform_pair_of_input_iterators_tIbNS6_6detail15normal_iteratorINS6_10device_ptrIKxEEEESL_NS6_8equal_toIxEEEENSG_9not_fun_tINSD_8identityEEEEENSD_19counting_iterator_tIlEES8_S8_S8_S8_S8_S8_S8_S8_EEEEPS9_S9_NSD_9__find_if7functorIS9_EEEE10hipError_tPvRmT1_T2_T3_mT4_P12ihipStream_tbEUlT_E0_NS1_11comp_targetILNS1_3genE8ELNS1_11target_archE1030ELNS1_3gpuE2ELNS1_3repE0EEENS1_30default_config_static_selectorELNS0_4arch9wavefront6targetE0EEEvS14_.kd
    .uniform_work_group_size: 1
    .uses_dynamic_stack: false
    .vgpr_count:     14
    .vgpr_spill_count: 0
    .wavefront_size: 32
    .workgroup_processor_mode: 1
  - .args:
      - .offset:         0
        .size:           88
        .value_kind:     by_value
    .group_segment_fixed_size: 0
    .kernarg_segment_align: 8
    .kernarg_segment_size: 88
    .language:       OpenCL C
    .language_version:
      - 2
      - 0
    .max_flat_workgroup_size: 128
    .name:           _ZN7rocprim17ROCPRIM_400000_NS6detail17trampoline_kernelINS0_14default_configENS1_22reduce_config_selectorIN6thrust23THRUST_200600_302600_NS5tupleIblNS6_9null_typeES8_S8_S8_S8_S8_S8_S8_EEEEZNS1_11reduce_implILb1ES3_NS6_12zip_iteratorINS7_INS6_11hip_rocprim26transform_input_iterator_tIbNSD_35transform_pair_of_input_iterators_tIbNS6_6detail15normal_iteratorINS6_10device_ptrIKxEEEESL_NS6_8equal_toIxEEEENSG_9not_fun_tINSD_8identityEEEEENSD_19counting_iterator_tIlEES8_S8_S8_S8_S8_S8_S8_S8_EEEEPS9_S9_NSD_9__find_if7functorIS9_EEEE10hipError_tPvRmT1_T2_T3_mT4_P12ihipStream_tbEUlT_E1_NS1_11comp_targetILNS1_3genE0ELNS1_11target_archE4294967295ELNS1_3gpuE0ELNS1_3repE0EEENS1_30default_config_static_selectorELNS0_4arch9wavefront6targetE0EEEvS14_
    .private_segment_fixed_size: 0
    .sgpr_count:     0
    .sgpr_spill_count: 0
    .symbol:         _ZN7rocprim17ROCPRIM_400000_NS6detail17trampoline_kernelINS0_14default_configENS1_22reduce_config_selectorIN6thrust23THRUST_200600_302600_NS5tupleIblNS6_9null_typeES8_S8_S8_S8_S8_S8_S8_EEEEZNS1_11reduce_implILb1ES3_NS6_12zip_iteratorINS7_INS6_11hip_rocprim26transform_input_iterator_tIbNSD_35transform_pair_of_input_iterators_tIbNS6_6detail15normal_iteratorINS6_10device_ptrIKxEEEESL_NS6_8equal_toIxEEEENSG_9not_fun_tINSD_8identityEEEEENSD_19counting_iterator_tIlEES8_S8_S8_S8_S8_S8_S8_S8_EEEEPS9_S9_NSD_9__find_if7functorIS9_EEEE10hipError_tPvRmT1_T2_T3_mT4_P12ihipStream_tbEUlT_E1_NS1_11comp_targetILNS1_3genE0ELNS1_11target_archE4294967295ELNS1_3gpuE0ELNS1_3repE0EEENS1_30default_config_static_selectorELNS0_4arch9wavefront6targetE0EEEvS14_.kd
    .uniform_work_group_size: 1
    .uses_dynamic_stack: false
    .vgpr_count:     0
    .vgpr_spill_count: 0
    .wavefront_size: 32
    .workgroup_processor_mode: 1
  - .args:
      - .offset:         0
        .size:           88
        .value_kind:     by_value
    .group_segment_fixed_size: 0
    .kernarg_segment_align: 8
    .kernarg_segment_size: 88
    .language:       OpenCL C
    .language_version:
      - 2
      - 0
    .max_flat_workgroup_size: 256
    .name:           _ZN7rocprim17ROCPRIM_400000_NS6detail17trampoline_kernelINS0_14default_configENS1_22reduce_config_selectorIN6thrust23THRUST_200600_302600_NS5tupleIblNS6_9null_typeES8_S8_S8_S8_S8_S8_S8_EEEEZNS1_11reduce_implILb1ES3_NS6_12zip_iteratorINS7_INS6_11hip_rocprim26transform_input_iterator_tIbNSD_35transform_pair_of_input_iterators_tIbNS6_6detail15normal_iteratorINS6_10device_ptrIKxEEEESL_NS6_8equal_toIxEEEENSG_9not_fun_tINSD_8identityEEEEENSD_19counting_iterator_tIlEES8_S8_S8_S8_S8_S8_S8_S8_EEEEPS9_S9_NSD_9__find_if7functorIS9_EEEE10hipError_tPvRmT1_T2_T3_mT4_P12ihipStream_tbEUlT_E1_NS1_11comp_targetILNS1_3genE5ELNS1_11target_archE942ELNS1_3gpuE9ELNS1_3repE0EEENS1_30default_config_static_selectorELNS0_4arch9wavefront6targetE0EEEvS14_
    .private_segment_fixed_size: 0
    .sgpr_count:     0
    .sgpr_spill_count: 0
    .symbol:         _ZN7rocprim17ROCPRIM_400000_NS6detail17trampoline_kernelINS0_14default_configENS1_22reduce_config_selectorIN6thrust23THRUST_200600_302600_NS5tupleIblNS6_9null_typeES8_S8_S8_S8_S8_S8_S8_EEEEZNS1_11reduce_implILb1ES3_NS6_12zip_iteratorINS7_INS6_11hip_rocprim26transform_input_iterator_tIbNSD_35transform_pair_of_input_iterators_tIbNS6_6detail15normal_iteratorINS6_10device_ptrIKxEEEESL_NS6_8equal_toIxEEEENSG_9not_fun_tINSD_8identityEEEEENSD_19counting_iterator_tIlEES8_S8_S8_S8_S8_S8_S8_S8_EEEEPS9_S9_NSD_9__find_if7functorIS9_EEEE10hipError_tPvRmT1_T2_T3_mT4_P12ihipStream_tbEUlT_E1_NS1_11comp_targetILNS1_3genE5ELNS1_11target_archE942ELNS1_3gpuE9ELNS1_3repE0EEENS1_30default_config_static_selectorELNS0_4arch9wavefront6targetE0EEEvS14_.kd
    .uniform_work_group_size: 1
    .uses_dynamic_stack: false
    .vgpr_count:     0
    .vgpr_spill_count: 0
    .wavefront_size: 32
    .workgroup_processor_mode: 1
  - .args:
      - .offset:         0
        .size:           88
        .value_kind:     by_value
    .group_segment_fixed_size: 0
    .kernarg_segment_align: 8
    .kernarg_segment_size: 88
    .language:       OpenCL C
    .language_version:
      - 2
      - 0
    .max_flat_workgroup_size: 256
    .name:           _ZN7rocprim17ROCPRIM_400000_NS6detail17trampoline_kernelINS0_14default_configENS1_22reduce_config_selectorIN6thrust23THRUST_200600_302600_NS5tupleIblNS6_9null_typeES8_S8_S8_S8_S8_S8_S8_EEEEZNS1_11reduce_implILb1ES3_NS6_12zip_iteratorINS7_INS6_11hip_rocprim26transform_input_iterator_tIbNSD_35transform_pair_of_input_iterators_tIbNS6_6detail15normal_iteratorINS6_10device_ptrIKxEEEESL_NS6_8equal_toIxEEEENSG_9not_fun_tINSD_8identityEEEEENSD_19counting_iterator_tIlEES8_S8_S8_S8_S8_S8_S8_S8_EEEEPS9_S9_NSD_9__find_if7functorIS9_EEEE10hipError_tPvRmT1_T2_T3_mT4_P12ihipStream_tbEUlT_E1_NS1_11comp_targetILNS1_3genE4ELNS1_11target_archE910ELNS1_3gpuE8ELNS1_3repE0EEENS1_30default_config_static_selectorELNS0_4arch9wavefront6targetE0EEEvS14_
    .private_segment_fixed_size: 0
    .sgpr_count:     0
    .sgpr_spill_count: 0
    .symbol:         _ZN7rocprim17ROCPRIM_400000_NS6detail17trampoline_kernelINS0_14default_configENS1_22reduce_config_selectorIN6thrust23THRUST_200600_302600_NS5tupleIblNS6_9null_typeES8_S8_S8_S8_S8_S8_S8_EEEEZNS1_11reduce_implILb1ES3_NS6_12zip_iteratorINS7_INS6_11hip_rocprim26transform_input_iterator_tIbNSD_35transform_pair_of_input_iterators_tIbNS6_6detail15normal_iteratorINS6_10device_ptrIKxEEEESL_NS6_8equal_toIxEEEENSG_9not_fun_tINSD_8identityEEEEENSD_19counting_iterator_tIlEES8_S8_S8_S8_S8_S8_S8_S8_EEEEPS9_S9_NSD_9__find_if7functorIS9_EEEE10hipError_tPvRmT1_T2_T3_mT4_P12ihipStream_tbEUlT_E1_NS1_11comp_targetILNS1_3genE4ELNS1_11target_archE910ELNS1_3gpuE8ELNS1_3repE0EEENS1_30default_config_static_selectorELNS0_4arch9wavefront6targetE0EEEvS14_.kd
    .uniform_work_group_size: 1
    .uses_dynamic_stack: false
    .vgpr_count:     0
    .vgpr_spill_count: 0
    .wavefront_size: 32
    .workgroup_processor_mode: 1
  - .args:
      - .offset:         0
        .size:           88
        .value_kind:     by_value
    .group_segment_fixed_size: 0
    .kernarg_segment_align: 8
    .kernarg_segment_size: 88
    .language:       OpenCL C
    .language_version:
      - 2
      - 0
    .max_flat_workgroup_size: 128
    .name:           _ZN7rocprim17ROCPRIM_400000_NS6detail17trampoline_kernelINS0_14default_configENS1_22reduce_config_selectorIN6thrust23THRUST_200600_302600_NS5tupleIblNS6_9null_typeES8_S8_S8_S8_S8_S8_S8_EEEEZNS1_11reduce_implILb1ES3_NS6_12zip_iteratorINS7_INS6_11hip_rocprim26transform_input_iterator_tIbNSD_35transform_pair_of_input_iterators_tIbNS6_6detail15normal_iteratorINS6_10device_ptrIKxEEEESL_NS6_8equal_toIxEEEENSG_9not_fun_tINSD_8identityEEEEENSD_19counting_iterator_tIlEES8_S8_S8_S8_S8_S8_S8_S8_EEEEPS9_S9_NSD_9__find_if7functorIS9_EEEE10hipError_tPvRmT1_T2_T3_mT4_P12ihipStream_tbEUlT_E1_NS1_11comp_targetILNS1_3genE3ELNS1_11target_archE908ELNS1_3gpuE7ELNS1_3repE0EEENS1_30default_config_static_selectorELNS0_4arch9wavefront6targetE0EEEvS14_
    .private_segment_fixed_size: 0
    .sgpr_count:     0
    .sgpr_spill_count: 0
    .symbol:         _ZN7rocprim17ROCPRIM_400000_NS6detail17trampoline_kernelINS0_14default_configENS1_22reduce_config_selectorIN6thrust23THRUST_200600_302600_NS5tupleIblNS6_9null_typeES8_S8_S8_S8_S8_S8_S8_EEEEZNS1_11reduce_implILb1ES3_NS6_12zip_iteratorINS7_INS6_11hip_rocprim26transform_input_iterator_tIbNSD_35transform_pair_of_input_iterators_tIbNS6_6detail15normal_iteratorINS6_10device_ptrIKxEEEESL_NS6_8equal_toIxEEEENSG_9not_fun_tINSD_8identityEEEEENSD_19counting_iterator_tIlEES8_S8_S8_S8_S8_S8_S8_S8_EEEEPS9_S9_NSD_9__find_if7functorIS9_EEEE10hipError_tPvRmT1_T2_T3_mT4_P12ihipStream_tbEUlT_E1_NS1_11comp_targetILNS1_3genE3ELNS1_11target_archE908ELNS1_3gpuE7ELNS1_3repE0EEENS1_30default_config_static_selectorELNS0_4arch9wavefront6targetE0EEEvS14_.kd
    .uniform_work_group_size: 1
    .uses_dynamic_stack: false
    .vgpr_count:     0
    .vgpr_spill_count: 0
    .wavefront_size: 32
    .workgroup_processor_mode: 1
  - .args:
      - .offset:         0
        .size:           88
        .value_kind:     by_value
    .group_segment_fixed_size: 0
    .kernarg_segment_align: 8
    .kernarg_segment_size: 88
    .language:       OpenCL C
    .language_version:
      - 2
      - 0
    .max_flat_workgroup_size: 128
    .name:           _ZN7rocprim17ROCPRIM_400000_NS6detail17trampoline_kernelINS0_14default_configENS1_22reduce_config_selectorIN6thrust23THRUST_200600_302600_NS5tupleIblNS6_9null_typeES8_S8_S8_S8_S8_S8_S8_EEEEZNS1_11reduce_implILb1ES3_NS6_12zip_iteratorINS7_INS6_11hip_rocprim26transform_input_iterator_tIbNSD_35transform_pair_of_input_iterators_tIbNS6_6detail15normal_iteratorINS6_10device_ptrIKxEEEESL_NS6_8equal_toIxEEEENSG_9not_fun_tINSD_8identityEEEEENSD_19counting_iterator_tIlEES8_S8_S8_S8_S8_S8_S8_S8_EEEEPS9_S9_NSD_9__find_if7functorIS9_EEEE10hipError_tPvRmT1_T2_T3_mT4_P12ihipStream_tbEUlT_E1_NS1_11comp_targetILNS1_3genE2ELNS1_11target_archE906ELNS1_3gpuE6ELNS1_3repE0EEENS1_30default_config_static_selectorELNS0_4arch9wavefront6targetE0EEEvS14_
    .private_segment_fixed_size: 0
    .sgpr_count:     0
    .sgpr_spill_count: 0
    .symbol:         _ZN7rocprim17ROCPRIM_400000_NS6detail17trampoline_kernelINS0_14default_configENS1_22reduce_config_selectorIN6thrust23THRUST_200600_302600_NS5tupleIblNS6_9null_typeES8_S8_S8_S8_S8_S8_S8_EEEEZNS1_11reduce_implILb1ES3_NS6_12zip_iteratorINS7_INS6_11hip_rocprim26transform_input_iterator_tIbNSD_35transform_pair_of_input_iterators_tIbNS6_6detail15normal_iteratorINS6_10device_ptrIKxEEEESL_NS6_8equal_toIxEEEENSG_9not_fun_tINSD_8identityEEEEENSD_19counting_iterator_tIlEES8_S8_S8_S8_S8_S8_S8_S8_EEEEPS9_S9_NSD_9__find_if7functorIS9_EEEE10hipError_tPvRmT1_T2_T3_mT4_P12ihipStream_tbEUlT_E1_NS1_11comp_targetILNS1_3genE2ELNS1_11target_archE906ELNS1_3gpuE6ELNS1_3repE0EEENS1_30default_config_static_selectorELNS0_4arch9wavefront6targetE0EEEvS14_.kd
    .uniform_work_group_size: 1
    .uses_dynamic_stack: false
    .vgpr_count:     0
    .vgpr_spill_count: 0
    .wavefront_size: 32
    .workgroup_processor_mode: 1
  - .args:
      - .offset:         0
        .size:           88
        .value_kind:     by_value
    .group_segment_fixed_size: 0
    .kernarg_segment_align: 8
    .kernarg_segment_size: 88
    .language:       OpenCL C
    .language_version:
      - 2
      - 0
    .max_flat_workgroup_size: 256
    .name:           _ZN7rocprim17ROCPRIM_400000_NS6detail17trampoline_kernelINS0_14default_configENS1_22reduce_config_selectorIN6thrust23THRUST_200600_302600_NS5tupleIblNS6_9null_typeES8_S8_S8_S8_S8_S8_S8_EEEEZNS1_11reduce_implILb1ES3_NS6_12zip_iteratorINS7_INS6_11hip_rocprim26transform_input_iterator_tIbNSD_35transform_pair_of_input_iterators_tIbNS6_6detail15normal_iteratorINS6_10device_ptrIKxEEEESL_NS6_8equal_toIxEEEENSG_9not_fun_tINSD_8identityEEEEENSD_19counting_iterator_tIlEES8_S8_S8_S8_S8_S8_S8_S8_EEEEPS9_S9_NSD_9__find_if7functorIS9_EEEE10hipError_tPvRmT1_T2_T3_mT4_P12ihipStream_tbEUlT_E1_NS1_11comp_targetILNS1_3genE10ELNS1_11target_archE1201ELNS1_3gpuE5ELNS1_3repE0EEENS1_30default_config_static_selectorELNS0_4arch9wavefront6targetE0EEEvS14_
    .private_segment_fixed_size: 0
    .sgpr_count:     0
    .sgpr_spill_count: 0
    .symbol:         _ZN7rocprim17ROCPRIM_400000_NS6detail17trampoline_kernelINS0_14default_configENS1_22reduce_config_selectorIN6thrust23THRUST_200600_302600_NS5tupleIblNS6_9null_typeES8_S8_S8_S8_S8_S8_S8_EEEEZNS1_11reduce_implILb1ES3_NS6_12zip_iteratorINS7_INS6_11hip_rocprim26transform_input_iterator_tIbNSD_35transform_pair_of_input_iterators_tIbNS6_6detail15normal_iteratorINS6_10device_ptrIKxEEEESL_NS6_8equal_toIxEEEENSG_9not_fun_tINSD_8identityEEEEENSD_19counting_iterator_tIlEES8_S8_S8_S8_S8_S8_S8_S8_EEEEPS9_S9_NSD_9__find_if7functorIS9_EEEE10hipError_tPvRmT1_T2_T3_mT4_P12ihipStream_tbEUlT_E1_NS1_11comp_targetILNS1_3genE10ELNS1_11target_archE1201ELNS1_3gpuE5ELNS1_3repE0EEENS1_30default_config_static_selectorELNS0_4arch9wavefront6targetE0EEEvS14_.kd
    .uniform_work_group_size: 1
    .uses_dynamic_stack: false
    .vgpr_count:     0
    .vgpr_spill_count: 0
    .wavefront_size: 32
    .workgroup_processor_mode: 1
  - .args:
      - .offset:         0
        .size:           88
        .value_kind:     by_value
    .group_segment_fixed_size: 0
    .kernarg_segment_align: 8
    .kernarg_segment_size: 88
    .language:       OpenCL C
    .language_version:
      - 2
      - 0
    .max_flat_workgroup_size: 256
    .name:           _ZN7rocprim17ROCPRIM_400000_NS6detail17trampoline_kernelINS0_14default_configENS1_22reduce_config_selectorIN6thrust23THRUST_200600_302600_NS5tupleIblNS6_9null_typeES8_S8_S8_S8_S8_S8_S8_EEEEZNS1_11reduce_implILb1ES3_NS6_12zip_iteratorINS7_INS6_11hip_rocprim26transform_input_iterator_tIbNSD_35transform_pair_of_input_iterators_tIbNS6_6detail15normal_iteratorINS6_10device_ptrIKxEEEESL_NS6_8equal_toIxEEEENSG_9not_fun_tINSD_8identityEEEEENSD_19counting_iterator_tIlEES8_S8_S8_S8_S8_S8_S8_S8_EEEEPS9_S9_NSD_9__find_if7functorIS9_EEEE10hipError_tPvRmT1_T2_T3_mT4_P12ihipStream_tbEUlT_E1_NS1_11comp_targetILNS1_3genE10ELNS1_11target_archE1200ELNS1_3gpuE4ELNS1_3repE0EEENS1_30default_config_static_selectorELNS0_4arch9wavefront6targetE0EEEvS14_
    .private_segment_fixed_size: 0
    .sgpr_count:     0
    .sgpr_spill_count: 0
    .symbol:         _ZN7rocprim17ROCPRIM_400000_NS6detail17trampoline_kernelINS0_14default_configENS1_22reduce_config_selectorIN6thrust23THRUST_200600_302600_NS5tupleIblNS6_9null_typeES8_S8_S8_S8_S8_S8_S8_EEEEZNS1_11reduce_implILb1ES3_NS6_12zip_iteratorINS7_INS6_11hip_rocprim26transform_input_iterator_tIbNSD_35transform_pair_of_input_iterators_tIbNS6_6detail15normal_iteratorINS6_10device_ptrIKxEEEESL_NS6_8equal_toIxEEEENSG_9not_fun_tINSD_8identityEEEEENSD_19counting_iterator_tIlEES8_S8_S8_S8_S8_S8_S8_S8_EEEEPS9_S9_NSD_9__find_if7functorIS9_EEEE10hipError_tPvRmT1_T2_T3_mT4_P12ihipStream_tbEUlT_E1_NS1_11comp_targetILNS1_3genE10ELNS1_11target_archE1200ELNS1_3gpuE4ELNS1_3repE0EEENS1_30default_config_static_selectorELNS0_4arch9wavefront6targetE0EEEvS14_.kd
    .uniform_work_group_size: 1
    .uses_dynamic_stack: false
    .vgpr_count:     0
    .vgpr_spill_count: 0
    .wavefront_size: 32
    .workgroup_processor_mode: 1
  - .args:
      - .offset:         0
        .size:           88
        .value_kind:     by_value
    .group_segment_fixed_size: 0
    .kernarg_segment_align: 8
    .kernarg_segment_size: 88
    .language:       OpenCL C
    .language_version:
      - 2
      - 0
    .max_flat_workgroup_size: 256
    .name:           _ZN7rocprim17ROCPRIM_400000_NS6detail17trampoline_kernelINS0_14default_configENS1_22reduce_config_selectorIN6thrust23THRUST_200600_302600_NS5tupleIblNS6_9null_typeES8_S8_S8_S8_S8_S8_S8_EEEEZNS1_11reduce_implILb1ES3_NS6_12zip_iteratorINS7_INS6_11hip_rocprim26transform_input_iterator_tIbNSD_35transform_pair_of_input_iterators_tIbNS6_6detail15normal_iteratorINS6_10device_ptrIKxEEEESL_NS6_8equal_toIxEEEENSG_9not_fun_tINSD_8identityEEEEENSD_19counting_iterator_tIlEES8_S8_S8_S8_S8_S8_S8_S8_EEEEPS9_S9_NSD_9__find_if7functorIS9_EEEE10hipError_tPvRmT1_T2_T3_mT4_P12ihipStream_tbEUlT_E1_NS1_11comp_targetILNS1_3genE9ELNS1_11target_archE1100ELNS1_3gpuE3ELNS1_3repE0EEENS1_30default_config_static_selectorELNS0_4arch9wavefront6targetE0EEEvS14_
    .private_segment_fixed_size: 0
    .sgpr_count:     0
    .sgpr_spill_count: 0
    .symbol:         _ZN7rocprim17ROCPRIM_400000_NS6detail17trampoline_kernelINS0_14default_configENS1_22reduce_config_selectorIN6thrust23THRUST_200600_302600_NS5tupleIblNS6_9null_typeES8_S8_S8_S8_S8_S8_S8_EEEEZNS1_11reduce_implILb1ES3_NS6_12zip_iteratorINS7_INS6_11hip_rocprim26transform_input_iterator_tIbNSD_35transform_pair_of_input_iterators_tIbNS6_6detail15normal_iteratorINS6_10device_ptrIKxEEEESL_NS6_8equal_toIxEEEENSG_9not_fun_tINSD_8identityEEEEENSD_19counting_iterator_tIlEES8_S8_S8_S8_S8_S8_S8_S8_EEEEPS9_S9_NSD_9__find_if7functorIS9_EEEE10hipError_tPvRmT1_T2_T3_mT4_P12ihipStream_tbEUlT_E1_NS1_11comp_targetILNS1_3genE9ELNS1_11target_archE1100ELNS1_3gpuE3ELNS1_3repE0EEENS1_30default_config_static_selectorELNS0_4arch9wavefront6targetE0EEEvS14_.kd
    .uniform_work_group_size: 1
    .uses_dynamic_stack: false
    .vgpr_count:     0
    .vgpr_spill_count: 0
    .wavefront_size: 32
    .workgroup_processor_mode: 1
  - .args:
      - .offset:         0
        .size:           88
        .value_kind:     by_value
    .group_segment_fixed_size: 640
    .kernarg_segment_align: 8
    .kernarg_segment_size: 88
    .language:       OpenCL C
    .language_version:
      - 2
      - 0
    .max_flat_workgroup_size: 256
    .name:           _ZN7rocprim17ROCPRIM_400000_NS6detail17trampoline_kernelINS0_14default_configENS1_22reduce_config_selectorIN6thrust23THRUST_200600_302600_NS5tupleIblNS6_9null_typeES8_S8_S8_S8_S8_S8_S8_EEEEZNS1_11reduce_implILb1ES3_NS6_12zip_iteratorINS7_INS6_11hip_rocprim26transform_input_iterator_tIbNSD_35transform_pair_of_input_iterators_tIbNS6_6detail15normal_iteratorINS6_10device_ptrIKxEEEESL_NS6_8equal_toIxEEEENSG_9not_fun_tINSD_8identityEEEEENSD_19counting_iterator_tIlEES8_S8_S8_S8_S8_S8_S8_S8_EEEEPS9_S9_NSD_9__find_if7functorIS9_EEEE10hipError_tPvRmT1_T2_T3_mT4_P12ihipStream_tbEUlT_E1_NS1_11comp_targetILNS1_3genE8ELNS1_11target_archE1030ELNS1_3gpuE2ELNS1_3repE0EEENS1_30default_config_static_selectorELNS0_4arch9wavefront6targetE0EEEvS14_
    .private_segment_fixed_size: 0
    .sgpr_count:     34
    .sgpr_spill_count: 0
    .symbol:         _ZN7rocprim17ROCPRIM_400000_NS6detail17trampoline_kernelINS0_14default_configENS1_22reduce_config_selectorIN6thrust23THRUST_200600_302600_NS5tupleIblNS6_9null_typeES8_S8_S8_S8_S8_S8_S8_EEEEZNS1_11reduce_implILb1ES3_NS6_12zip_iteratorINS7_INS6_11hip_rocprim26transform_input_iterator_tIbNSD_35transform_pair_of_input_iterators_tIbNS6_6detail15normal_iteratorINS6_10device_ptrIKxEEEESL_NS6_8equal_toIxEEEENSG_9not_fun_tINSD_8identityEEEEENSD_19counting_iterator_tIlEES8_S8_S8_S8_S8_S8_S8_S8_EEEEPS9_S9_NSD_9__find_if7functorIS9_EEEE10hipError_tPvRmT1_T2_T3_mT4_P12ihipStream_tbEUlT_E1_NS1_11comp_targetILNS1_3genE8ELNS1_11target_archE1030ELNS1_3gpuE2ELNS1_3repE0EEENS1_30default_config_static_selectorELNS0_4arch9wavefront6targetE0EEEvS14_.kd
    .uniform_work_group_size: 1
    .uses_dynamic_stack: false
    .vgpr_count:     36
    .vgpr_spill_count: 0
    .wavefront_size: 32
    .workgroup_processor_mode: 1
  - .args:
      - .offset:         0
        .size:           64
        .value_kind:     by_value
    .group_segment_fixed_size: 0
    .kernarg_segment_align: 8
    .kernarg_segment_size: 64
    .language:       OpenCL C
    .language_version:
      - 2
      - 0
    .max_flat_workgroup_size: 256
    .name:           _ZN7rocprim17ROCPRIM_400000_NS6detail17trampoline_kernelINS0_14default_configENS1_21merge_config_selectorINS0_5tupleIJiiEEENS0_10empty_typeEEEZNS1_10merge_implIS3_NS0_12zip_iteratorINS5_IJN6thrust23THRUST_200600_302600_NS6detail15normal_iteratorINSC_10device_ptrIKiEEEESI_EEEEESK_NSA_INS5_IJNSE_INSF_IiEEEESM_EEEEEPS7_SP_SP_NSC_11hip_rocprim7__merge17predicate_wrapperIiiNSC_4lessIiEEEEEE10hipError_tPvRmT0_T1_T2_T3_T4_T5_mmT6_P12ihipStream_tbEUlT_E_NS1_11comp_targetILNS1_3genE0ELNS1_11target_archE4294967295ELNS1_3gpuE0ELNS1_3repE0EEENS1_30default_config_static_selectorELNS0_4arch9wavefront6targetE0EEEvS10_
    .private_segment_fixed_size: 0
    .sgpr_count:     0
    .sgpr_spill_count: 0
    .symbol:         _ZN7rocprim17ROCPRIM_400000_NS6detail17trampoline_kernelINS0_14default_configENS1_21merge_config_selectorINS0_5tupleIJiiEEENS0_10empty_typeEEEZNS1_10merge_implIS3_NS0_12zip_iteratorINS5_IJN6thrust23THRUST_200600_302600_NS6detail15normal_iteratorINSC_10device_ptrIKiEEEESI_EEEEESK_NSA_INS5_IJNSE_INSF_IiEEEESM_EEEEEPS7_SP_SP_NSC_11hip_rocprim7__merge17predicate_wrapperIiiNSC_4lessIiEEEEEE10hipError_tPvRmT0_T1_T2_T3_T4_T5_mmT6_P12ihipStream_tbEUlT_E_NS1_11comp_targetILNS1_3genE0ELNS1_11target_archE4294967295ELNS1_3gpuE0ELNS1_3repE0EEENS1_30default_config_static_selectorELNS0_4arch9wavefront6targetE0EEEvS10_.kd
    .uniform_work_group_size: 1
    .uses_dynamic_stack: false
    .vgpr_count:     0
    .vgpr_spill_count: 0
    .wavefront_size: 32
    .workgroup_processor_mode: 1
  - .args:
      - .offset:         0
        .size:           64
        .value_kind:     by_value
    .group_segment_fixed_size: 0
    .kernarg_segment_align: 8
    .kernarg_segment_size: 64
    .language:       OpenCL C
    .language_version:
      - 2
      - 0
    .max_flat_workgroup_size: 256
    .name:           _ZN7rocprim17ROCPRIM_400000_NS6detail17trampoline_kernelINS0_14default_configENS1_21merge_config_selectorINS0_5tupleIJiiEEENS0_10empty_typeEEEZNS1_10merge_implIS3_NS0_12zip_iteratorINS5_IJN6thrust23THRUST_200600_302600_NS6detail15normal_iteratorINSC_10device_ptrIKiEEEESI_EEEEESK_NSA_INS5_IJNSE_INSF_IiEEEESM_EEEEEPS7_SP_SP_NSC_11hip_rocprim7__merge17predicate_wrapperIiiNSC_4lessIiEEEEEE10hipError_tPvRmT0_T1_T2_T3_T4_T5_mmT6_P12ihipStream_tbEUlT_E_NS1_11comp_targetILNS1_3genE5ELNS1_11target_archE942ELNS1_3gpuE9ELNS1_3repE0EEENS1_30default_config_static_selectorELNS0_4arch9wavefront6targetE0EEEvS10_
    .private_segment_fixed_size: 0
    .sgpr_count:     0
    .sgpr_spill_count: 0
    .symbol:         _ZN7rocprim17ROCPRIM_400000_NS6detail17trampoline_kernelINS0_14default_configENS1_21merge_config_selectorINS0_5tupleIJiiEEENS0_10empty_typeEEEZNS1_10merge_implIS3_NS0_12zip_iteratorINS5_IJN6thrust23THRUST_200600_302600_NS6detail15normal_iteratorINSC_10device_ptrIKiEEEESI_EEEEESK_NSA_INS5_IJNSE_INSF_IiEEEESM_EEEEEPS7_SP_SP_NSC_11hip_rocprim7__merge17predicate_wrapperIiiNSC_4lessIiEEEEEE10hipError_tPvRmT0_T1_T2_T3_T4_T5_mmT6_P12ihipStream_tbEUlT_E_NS1_11comp_targetILNS1_3genE5ELNS1_11target_archE942ELNS1_3gpuE9ELNS1_3repE0EEENS1_30default_config_static_selectorELNS0_4arch9wavefront6targetE0EEEvS10_.kd
    .uniform_work_group_size: 1
    .uses_dynamic_stack: false
    .vgpr_count:     0
    .vgpr_spill_count: 0
    .wavefront_size: 32
    .workgroup_processor_mode: 1
  - .args:
      - .offset:         0
        .size:           64
        .value_kind:     by_value
    .group_segment_fixed_size: 0
    .kernarg_segment_align: 8
    .kernarg_segment_size: 64
    .language:       OpenCL C
    .language_version:
      - 2
      - 0
    .max_flat_workgroup_size: 256
    .name:           _ZN7rocprim17ROCPRIM_400000_NS6detail17trampoline_kernelINS0_14default_configENS1_21merge_config_selectorINS0_5tupleIJiiEEENS0_10empty_typeEEEZNS1_10merge_implIS3_NS0_12zip_iteratorINS5_IJN6thrust23THRUST_200600_302600_NS6detail15normal_iteratorINSC_10device_ptrIKiEEEESI_EEEEESK_NSA_INS5_IJNSE_INSF_IiEEEESM_EEEEEPS7_SP_SP_NSC_11hip_rocprim7__merge17predicate_wrapperIiiNSC_4lessIiEEEEEE10hipError_tPvRmT0_T1_T2_T3_T4_T5_mmT6_P12ihipStream_tbEUlT_E_NS1_11comp_targetILNS1_3genE4ELNS1_11target_archE910ELNS1_3gpuE8ELNS1_3repE0EEENS1_30default_config_static_selectorELNS0_4arch9wavefront6targetE0EEEvS10_
    .private_segment_fixed_size: 0
    .sgpr_count:     0
    .sgpr_spill_count: 0
    .symbol:         _ZN7rocprim17ROCPRIM_400000_NS6detail17trampoline_kernelINS0_14default_configENS1_21merge_config_selectorINS0_5tupleIJiiEEENS0_10empty_typeEEEZNS1_10merge_implIS3_NS0_12zip_iteratorINS5_IJN6thrust23THRUST_200600_302600_NS6detail15normal_iteratorINSC_10device_ptrIKiEEEESI_EEEEESK_NSA_INS5_IJNSE_INSF_IiEEEESM_EEEEEPS7_SP_SP_NSC_11hip_rocprim7__merge17predicate_wrapperIiiNSC_4lessIiEEEEEE10hipError_tPvRmT0_T1_T2_T3_T4_T5_mmT6_P12ihipStream_tbEUlT_E_NS1_11comp_targetILNS1_3genE4ELNS1_11target_archE910ELNS1_3gpuE8ELNS1_3repE0EEENS1_30default_config_static_selectorELNS0_4arch9wavefront6targetE0EEEvS10_.kd
    .uniform_work_group_size: 1
    .uses_dynamic_stack: false
    .vgpr_count:     0
    .vgpr_spill_count: 0
    .wavefront_size: 32
    .workgroup_processor_mode: 1
  - .args:
      - .offset:         0
        .size:           64
        .value_kind:     by_value
    .group_segment_fixed_size: 0
    .kernarg_segment_align: 8
    .kernarg_segment_size: 64
    .language:       OpenCL C
    .language_version:
      - 2
      - 0
    .max_flat_workgroup_size: 256
    .name:           _ZN7rocprim17ROCPRIM_400000_NS6detail17trampoline_kernelINS0_14default_configENS1_21merge_config_selectorINS0_5tupleIJiiEEENS0_10empty_typeEEEZNS1_10merge_implIS3_NS0_12zip_iteratorINS5_IJN6thrust23THRUST_200600_302600_NS6detail15normal_iteratorINSC_10device_ptrIKiEEEESI_EEEEESK_NSA_INS5_IJNSE_INSF_IiEEEESM_EEEEEPS7_SP_SP_NSC_11hip_rocprim7__merge17predicate_wrapperIiiNSC_4lessIiEEEEEE10hipError_tPvRmT0_T1_T2_T3_T4_T5_mmT6_P12ihipStream_tbEUlT_E_NS1_11comp_targetILNS1_3genE3ELNS1_11target_archE908ELNS1_3gpuE7ELNS1_3repE0EEENS1_30default_config_static_selectorELNS0_4arch9wavefront6targetE0EEEvS10_
    .private_segment_fixed_size: 0
    .sgpr_count:     0
    .sgpr_spill_count: 0
    .symbol:         _ZN7rocprim17ROCPRIM_400000_NS6detail17trampoline_kernelINS0_14default_configENS1_21merge_config_selectorINS0_5tupleIJiiEEENS0_10empty_typeEEEZNS1_10merge_implIS3_NS0_12zip_iteratorINS5_IJN6thrust23THRUST_200600_302600_NS6detail15normal_iteratorINSC_10device_ptrIKiEEEESI_EEEEESK_NSA_INS5_IJNSE_INSF_IiEEEESM_EEEEEPS7_SP_SP_NSC_11hip_rocprim7__merge17predicate_wrapperIiiNSC_4lessIiEEEEEE10hipError_tPvRmT0_T1_T2_T3_T4_T5_mmT6_P12ihipStream_tbEUlT_E_NS1_11comp_targetILNS1_3genE3ELNS1_11target_archE908ELNS1_3gpuE7ELNS1_3repE0EEENS1_30default_config_static_selectorELNS0_4arch9wavefront6targetE0EEEvS10_.kd
    .uniform_work_group_size: 1
    .uses_dynamic_stack: false
    .vgpr_count:     0
    .vgpr_spill_count: 0
    .wavefront_size: 32
    .workgroup_processor_mode: 1
  - .args:
      - .offset:         0
        .size:           64
        .value_kind:     by_value
    .group_segment_fixed_size: 0
    .kernarg_segment_align: 8
    .kernarg_segment_size: 64
    .language:       OpenCL C
    .language_version:
      - 2
      - 0
    .max_flat_workgroup_size: 256
    .name:           _ZN7rocprim17ROCPRIM_400000_NS6detail17trampoline_kernelINS0_14default_configENS1_21merge_config_selectorINS0_5tupleIJiiEEENS0_10empty_typeEEEZNS1_10merge_implIS3_NS0_12zip_iteratorINS5_IJN6thrust23THRUST_200600_302600_NS6detail15normal_iteratorINSC_10device_ptrIKiEEEESI_EEEEESK_NSA_INS5_IJNSE_INSF_IiEEEESM_EEEEEPS7_SP_SP_NSC_11hip_rocprim7__merge17predicate_wrapperIiiNSC_4lessIiEEEEEE10hipError_tPvRmT0_T1_T2_T3_T4_T5_mmT6_P12ihipStream_tbEUlT_E_NS1_11comp_targetILNS1_3genE2ELNS1_11target_archE906ELNS1_3gpuE6ELNS1_3repE0EEENS1_30default_config_static_selectorELNS0_4arch9wavefront6targetE0EEEvS10_
    .private_segment_fixed_size: 0
    .sgpr_count:     0
    .sgpr_spill_count: 0
    .symbol:         _ZN7rocprim17ROCPRIM_400000_NS6detail17trampoline_kernelINS0_14default_configENS1_21merge_config_selectorINS0_5tupleIJiiEEENS0_10empty_typeEEEZNS1_10merge_implIS3_NS0_12zip_iteratorINS5_IJN6thrust23THRUST_200600_302600_NS6detail15normal_iteratorINSC_10device_ptrIKiEEEESI_EEEEESK_NSA_INS5_IJNSE_INSF_IiEEEESM_EEEEEPS7_SP_SP_NSC_11hip_rocprim7__merge17predicate_wrapperIiiNSC_4lessIiEEEEEE10hipError_tPvRmT0_T1_T2_T3_T4_T5_mmT6_P12ihipStream_tbEUlT_E_NS1_11comp_targetILNS1_3genE2ELNS1_11target_archE906ELNS1_3gpuE6ELNS1_3repE0EEENS1_30default_config_static_selectorELNS0_4arch9wavefront6targetE0EEEvS10_.kd
    .uniform_work_group_size: 1
    .uses_dynamic_stack: false
    .vgpr_count:     0
    .vgpr_spill_count: 0
    .wavefront_size: 32
    .workgroup_processor_mode: 1
  - .args:
      - .offset:         0
        .size:           64
        .value_kind:     by_value
    .group_segment_fixed_size: 0
    .kernarg_segment_align: 8
    .kernarg_segment_size: 64
    .language:       OpenCL C
    .language_version:
      - 2
      - 0
    .max_flat_workgroup_size: 512
    .name:           _ZN7rocprim17ROCPRIM_400000_NS6detail17trampoline_kernelINS0_14default_configENS1_21merge_config_selectorINS0_5tupleIJiiEEENS0_10empty_typeEEEZNS1_10merge_implIS3_NS0_12zip_iteratorINS5_IJN6thrust23THRUST_200600_302600_NS6detail15normal_iteratorINSC_10device_ptrIKiEEEESI_EEEEESK_NSA_INS5_IJNSE_INSF_IiEEEESM_EEEEEPS7_SP_SP_NSC_11hip_rocprim7__merge17predicate_wrapperIiiNSC_4lessIiEEEEEE10hipError_tPvRmT0_T1_T2_T3_T4_T5_mmT6_P12ihipStream_tbEUlT_E_NS1_11comp_targetILNS1_3genE10ELNS1_11target_archE1201ELNS1_3gpuE5ELNS1_3repE0EEENS1_30default_config_static_selectorELNS0_4arch9wavefront6targetE0EEEvS10_
    .private_segment_fixed_size: 0
    .sgpr_count:     0
    .sgpr_spill_count: 0
    .symbol:         _ZN7rocprim17ROCPRIM_400000_NS6detail17trampoline_kernelINS0_14default_configENS1_21merge_config_selectorINS0_5tupleIJiiEEENS0_10empty_typeEEEZNS1_10merge_implIS3_NS0_12zip_iteratorINS5_IJN6thrust23THRUST_200600_302600_NS6detail15normal_iteratorINSC_10device_ptrIKiEEEESI_EEEEESK_NSA_INS5_IJNSE_INSF_IiEEEESM_EEEEEPS7_SP_SP_NSC_11hip_rocprim7__merge17predicate_wrapperIiiNSC_4lessIiEEEEEE10hipError_tPvRmT0_T1_T2_T3_T4_T5_mmT6_P12ihipStream_tbEUlT_E_NS1_11comp_targetILNS1_3genE10ELNS1_11target_archE1201ELNS1_3gpuE5ELNS1_3repE0EEENS1_30default_config_static_selectorELNS0_4arch9wavefront6targetE0EEEvS10_.kd
    .uniform_work_group_size: 1
    .uses_dynamic_stack: false
    .vgpr_count:     0
    .vgpr_spill_count: 0
    .wavefront_size: 32
    .workgroup_processor_mode: 1
  - .args:
      - .offset:         0
        .size:           64
        .value_kind:     by_value
    .group_segment_fixed_size: 0
    .kernarg_segment_align: 8
    .kernarg_segment_size: 64
    .language:       OpenCL C
    .language_version:
      - 2
      - 0
    .max_flat_workgroup_size: 1024
    .name:           _ZN7rocprim17ROCPRIM_400000_NS6detail17trampoline_kernelINS0_14default_configENS1_21merge_config_selectorINS0_5tupleIJiiEEENS0_10empty_typeEEEZNS1_10merge_implIS3_NS0_12zip_iteratorINS5_IJN6thrust23THRUST_200600_302600_NS6detail15normal_iteratorINSC_10device_ptrIKiEEEESI_EEEEESK_NSA_INS5_IJNSE_INSF_IiEEEESM_EEEEEPS7_SP_SP_NSC_11hip_rocprim7__merge17predicate_wrapperIiiNSC_4lessIiEEEEEE10hipError_tPvRmT0_T1_T2_T3_T4_T5_mmT6_P12ihipStream_tbEUlT_E_NS1_11comp_targetILNS1_3genE10ELNS1_11target_archE1200ELNS1_3gpuE4ELNS1_3repE0EEENS1_30default_config_static_selectorELNS0_4arch9wavefront6targetE0EEEvS10_
    .private_segment_fixed_size: 0
    .sgpr_count:     0
    .sgpr_spill_count: 0
    .symbol:         _ZN7rocprim17ROCPRIM_400000_NS6detail17trampoline_kernelINS0_14default_configENS1_21merge_config_selectorINS0_5tupleIJiiEEENS0_10empty_typeEEEZNS1_10merge_implIS3_NS0_12zip_iteratorINS5_IJN6thrust23THRUST_200600_302600_NS6detail15normal_iteratorINSC_10device_ptrIKiEEEESI_EEEEESK_NSA_INS5_IJNSE_INSF_IiEEEESM_EEEEEPS7_SP_SP_NSC_11hip_rocprim7__merge17predicate_wrapperIiiNSC_4lessIiEEEEEE10hipError_tPvRmT0_T1_T2_T3_T4_T5_mmT6_P12ihipStream_tbEUlT_E_NS1_11comp_targetILNS1_3genE10ELNS1_11target_archE1200ELNS1_3gpuE4ELNS1_3repE0EEENS1_30default_config_static_selectorELNS0_4arch9wavefront6targetE0EEEvS10_.kd
    .uniform_work_group_size: 1
    .uses_dynamic_stack: false
    .vgpr_count:     0
    .vgpr_spill_count: 0
    .wavefront_size: 32
    .workgroup_processor_mode: 1
  - .args:
      - .offset:         0
        .size:           64
        .value_kind:     by_value
    .group_segment_fixed_size: 0
    .kernarg_segment_align: 8
    .kernarg_segment_size: 64
    .language:       OpenCL C
    .language_version:
      - 2
      - 0
    .max_flat_workgroup_size: 1024
    .name:           _ZN7rocprim17ROCPRIM_400000_NS6detail17trampoline_kernelINS0_14default_configENS1_21merge_config_selectorINS0_5tupleIJiiEEENS0_10empty_typeEEEZNS1_10merge_implIS3_NS0_12zip_iteratorINS5_IJN6thrust23THRUST_200600_302600_NS6detail15normal_iteratorINSC_10device_ptrIKiEEEESI_EEEEESK_NSA_INS5_IJNSE_INSF_IiEEEESM_EEEEEPS7_SP_SP_NSC_11hip_rocprim7__merge17predicate_wrapperIiiNSC_4lessIiEEEEEE10hipError_tPvRmT0_T1_T2_T3_T4_T5_mmT6_P12ihipStream_tbEUlT_E_NS1_11comp_targetILNS1_3genE9ELNS1_11target_archE1100ELNS1_3gpuE3ELNS1_3repE0EEENS1_30default_config_static_selectorELNS0_4arch9wavefront6targetE0EEEvS10_
    .private_segment_fixed_size: 0
    .sgpr_count:     0
    .sgpr_spill_count: 0
    .symbol:         _ZN7rocprim17ROCPRIM_400000_NS6detail17trampoline_kernelINS0_14default_configENS1_21merge_config_selectorINS0_5tupleIJiiEEENS0_10empty_typeEEEZNS1_10merge_implIS3_NS0_12zip_iteratorINS5_IJN6thrust23THRUST_200600_302600_NS6detail15normal_iteratorINSC_10device_ptrIKiEEEESI_EEEEESK_NSA_INS5_IJNSE_INSF_IiEEEESM_EEEEEPS7_SP_SP_NSC_11hip_rocprim7__merge17predicate_wrapperIiiNSC_4lessIiEEEEEE10hipError_tPvRmT0_T1_T2_T3_T4_T5_mmT6_P12ihipStream_tbEUlT_E_NS1_11comp_targetILNS1_3genE9ELNS1_11target_archE1100ELNS1_3gpuE3ELNS1_3repE0EEENS1_30default_config_static_selectorELNS0_4arch9wavefront6targetE0EEEvS10_.kd
    .uniform_work_group_size: 1
    .uses_dynamic_stack: false
    .vgpr_count:     0
    .vgpr_spill_count: 0
    .wavefront_size: 32
    .workgroup_processor_mode: 1
  - .args:
      - .offset:         0
        .size:           64
        .value_kind:     by_value
      - .offset:         64
        .size:           4
        .value_kind:     hidden_block_count_x
      - .offset:         68
        .size:           4
        .value_kind:     hidden_block_count_y
      - .offset:         72
        .size:           4
        .value_kind:     hidden_block_count_z
      - .offset:         76
        .size:           2
        .value_kind:     hidden_group_size_x
      - .offset:         78
        .size:           2
        .value_kind:     hidden_group_size_y
      - .offset:         80
        .size:           2
        .value_kind:     hidden_group_size_z
      - .offset:         82
        .size:           2
        .value_kind:     hidden_remainder_x
      - .offset:         84
        .size:           2
        .value_kind:     hidden_remainder_y
      - .offset:         86
        .size:           2
        .value_kind:     hidden_remainder_z
      - .offset:         104
        .size:           8
        .value_kind:     hidden_global_offset_x
      - .offset:         112
        .size:           8
        .value_kind:     hidden_global_offset_y
      - .offset:         120
        .size:           8
        .value_kind:     hidden_global_offset_z
      - .offset:         128
        .size:           2
        .value_kind:     hidden_grid_dims
    .group_segment_fixed_size: 0
    .kernarg_segment_align: 8
    .kernarg_segment_size: 320
    .language:       OpenCL C
    .language_version:
      - 2
      - 0
    .max_flat_workgroup_size: 256
    .name:           _ZN7rocprim17ROCPRIM_400000_NS6detail17trampoline_kernelINS0_14default_configENS1_21merge_config_selectorINS0_5tupleIJiiEEENS0_10empty_typeEEEZNS1_10merge_implIS3_NS0_12zip_iteratorINS5_IJN6thrust23THRUST_200600_302600_NS6detail15normal_iteratorINSC_10device_ptrIKiEEEESI_EEEEESK_NSA_INS5_IJNSE_INSF_IiEEEESM_EEEEEPS7_SP_SP_NSC_11hip_rocprim7__merge17predicate_wrapperIiiNSC_4lessIiEEEEEE10hipError_tPvRmT0_T1_T2_T3_T4_T5_mmT6_P12ihipStream_tbEUlT_E_NS1_11comp_targetILNS1_3genE8ELNS1_11target_archE1030ELNS1_3gpuE2ELNS1_3repE0EEENS1_30default_config_static_selectorELNS0_4arch9wavefront6targetE0EEEvS10_
    .private_segment_fixed_size: 0
    .sgpr_count:     18
    .sgpr_spill_count: 0
    .symbol:         _ZN7rocprim17ROCPRIM_400000_NS6detail17trampoline_kernelINS0_14default_configENS1_21merge_config_selectorINS0_5tupleIJiiEEENS0_10empty_typeEEEZNS1_10merge_implIS3_NS0_12zip_iteratorINS5_IJN6thrust23THRUST_200600_302600_NS6detail15normal_iteratorINSC_10device_ptrIKiEEEESI_EEEEESK_NSA_INS5_IJNSE_INSF_IiEEEESM_EEEEEPS7_SP_SP_NSC_11hip_rocprim7__merge17predicate_wrapperIiiNSC_4lessIiEEEEEE10hipError_tPvRmT0_T1_T2_T3_T4_T5_mmT6_P12ihipStream_tbEUlT_E_NS1_11comp_targetILNS1_3genE8ELNS1_11target_archE1030ELNS1_3gpuE2ELNS1_3repE0EEENS1_30default_config_static_selectorELNS0_4arch9wavefront6targetE0EEEvS10_.kd
    .uniform_work_group_size: 1
    .uses_dynamic_stack: false
    .vgpr_count:     13
    .vgpr_spill_count: 0
    .wavefront_size: 32
    .workgroup_processor_mode: 1
  - .args:
      - .offset:         0
        .size:           112
        .value_kind:     by_value
    .group_segment_fixed_size: 0
    .kernarg_segment_align: 8
    .kernarg_segment_size: 112
    .language:       OpenCL C
    .language_version:
      - 2
      - 0
    .max_flat_workgroup_size: 256
    .name:           _ZN7rocprim17ROCPRIM_400000_NS6detail17trampoline_kernelINS0_14default_configENS1_21merge_config_selectorINS0_5tupleIJiiEEENS0_10empty_typeEEEZNS1_10merge_implIS3_NS0_12zip_iteratorINS5_IJN6thrust23THRUST_200600_302600_NS6detail15normal_iteratorINSC_10device_ptrIKiEEEESI_EEEEESK_NSA_INS5_IJNSE_INSF_IiEEEESM_EEEEEPS7_SP_SP_NSC_11hip_rocprim7__merge17predicate_wrapperIiiNSC_4lessIiEEEEEE10hipError_tPvRmT0_T1_T2_T3_T4_T5_mmT6_P12ihipStream_tbEUlT_E0_NS1_11comp_targetILNS1_3genE0ELNS1_11target_archE4294967295ELNS1_3gpuE0ELNS1_3repE0EEENS1_30default_config_static_selectorELNS0_4arch9wavefront6targetE0EEEvS10_
    .private_segment_fixed_size: 0
    .sgpr_count:     0
    .sgpr_spill_count: 0
    .symbol:         _ZN7rocprim17ROCPRIM_400000_NS6detail17trampoline_kernelINS0_14default_configENS1_21merge_config_selectorINS0_5tupleIJiiEEENS0_10empty_typeEEEZNS1_10merge_implIS3_NS0_12zip_iteratorINS5_IJN6thrust23THRUST_200600_302600_NS6detail15normal_iteratorINSC_10device_ptrIKiEEEESI_EEEEESK_NSA_INS5_IJNSE_INSF_IiEEEESM_EEEEEPS7_SP_SP_NSC_11hip_rocprim7__merge17predicate_wrapperIiiNSC_4lessIiEEEEEE10hipError_tPvRmT0_T1_T2_T3_T4_T5_mmT6_P12ihipStream_tbEUlT_E0_NS1_11comp_targetILNS1_3genE0ELNS1_11target_archE4294967295ELNS1_3gpuE0ELNS1_3repE0EEENS1_30default_config_static_selectorELNS0_4arch9wavefront6targetE0EEEvS10_.kd
    .uniform_work_group_size: 1
    .uses_dynamic_stack: false
    .vgpr_count:     0
    .vgpr_spill_count: 0
    .wavefront_size: 32
    .workgroup_processor_mode: 1
  - .args:
      - .offset:         0
        .size:           112
        .value_kind:     by_value
    .group_segment_fixed_size: 0
    .kernarg_segment_align: 8
    .kernarg_segment_size: 112
    .language:       OpenCL C
    .language_version:
      - 2
      - 0
    .max_flat_workgroup_size: 256
    .name:           _ZN7rocprim17ROCPRIM_400000_NS6detail17trampoline_kernelINS0_14default_configENS1_21merge_config_selectorINS0_5tupleIJiiEEENS0_10empty_typeEEEZNS1_10merge_implIS3_NS0_12zip_iteratorINS5_IJN6thrust23THRUST_200600_302600_NS6detail15normal_iteratorINSC_10device_ptrIKiEEEESI_EEEEESK_NSA_INS5_IJNSE_INSF_IiEEEESM_EEEEEPS7_SP_SP_NSC_11hip_rocprim7__merge17predicate_wrapperIiiNSC_4lessIiEEEEEE10hipError_tPvRmT0_T1_T2_T3_T4_T5_mmT6_P12ihipStream_tbEUlT_E0_NS1_11comp_targetILNS1_3genE5ELNS1_11target_archE942ELNS1_3gpuE9ELNS1_3repE0EEENS1_30default_config_static_selectorELNS0_4arch9wavefront6targetE0EEEvS10_
    .private_segment_fixed_size: 0
    .sgpr_count:     0
    .sgpr_spill_count: 0
    .symbol:         _ZN7rocprim17ROCPRIM_400000_NS6detail17trampoline_kernelINS0_14default_configENS1_21merge_config_selectorINS0_5tupleIJiiEEENS0_10empty_typeEEEZNS1_10merge_implIS3_NS0_12zip_iteratorINS5_IJN6thrust23THRUST_200600_302600_NS6detail15normal_iteratorINSC_10device_ptrIKiEEEESI_EEEEESK_NSA_INS5_IJNSE_INSF_IiEEEESM_EEEEEPS7_SP_SP_NSC_11hip_rocprim7__merge17predicate_wrapperIiiNSC_4lessIiEEEEEE10hipError_tPvRmT0_T1_T2_T3_T4_T5_mmT6_P12ihipStream_tbEUlT_E0_NS1_11comp_targetILNS1_3genE5ELNS1_11target_archE942ELNS1_3gpuE9ELNS1_3repE0EEENS1_30default_config_static_selectorELNS0_4arch9wavefront6targetE0EEEvS10_.kd
    .uniform_work_group_size: 1
    .uses_dynamic_stack: false
    .vgpr_count:     0
    .vgpr_spill_count: 0
    .wavefront_size: 32
    .workgroup_processor_mode: 1
  - .args:
      - .offset:         0
        .size:           112
        .value_kind:     by_value
    .group_segment_fixed_size: 0
    .kernarg_segment_align: 8
    .kernarg_segment_size: 112
    .language:       OpenCL C
    .language_version:
      - 2
      - 0
    .max_flat_workgroup_size: 256
    .name:           _ZN7rocprim17ROCPRIM_400000_NS6detail17trampoline_kernelINS0_14default_configENS1_21merge_config_selectorINS0_5tupleIJiiEEENS0_10empty_typeEEEZNS1_10merge_implIS3_NS0_12zip_iteratorINS5_IJN6thrust23THRUST_200600_302600_NS6detail15normal_iteratorINSC_10device_ptrIKiEEEESI_EEEEESK_NSA_INS5_IJNSE_INSF_IiEEEESM_EEEEEPS7_SP_SP_NSC_11hip_rocprim7__merge17predicate_wrapperIiiNSC_4lessIiEEEEEE10hipError_tPvRmT0_T1_T2_T3_T4_T5_mmT6_P12ihipStream_tbEUlT_E0_NS1_11comp_targetILNS1_3genE4ELNS1_11target_archE910ELNS1_3gpuE8ELNS1_3repE0EEENS1_30default_config_static_selectorELNS0_4arch9wavefront6targetE0EEEvS10_
    .private_segment_fixed_size: 0
    .sgpr_count:     0
    .sgpr_spill_count: 0
    .symbol:         _ZN7rocprim17ROCPRIM_400000_NS6detail17trampoline_kernelINS0_14default_configENS1_21merge_config_selectorINS0_5tupleIJiiEEENS0_10empty_typeEEEZNS1_10merge_implIS3_NS0_12zip_iteratorINS5_IJN6thrust23THRUST_200600_302600_NS6detail15normal_iteratorINSC_10device_ptrIKiEEEESI_EEEEESK_NSA_INS5_IJNSE_INSF_IiEEEESM_EEEEEPS7_SP_SP_NSC_11hip_rocprim7__merge17predicate_wrapperIiiNSC_4lessIiEEEEEE10hipError_tPvRmT0_T1_T2_T3_T4_T5_mmT6_P12ihipStream_tbEUlT_E0_NS1_11comp_targetILNS1_3genE4ELNS1_11target_archE910ELNS1_3gpuE8ELNS1_3repE0EEENS1_30default_config_static_selectorELNS0_4arch9wavefront6targetE0EEEvS10_.kd
    .uniform_work_group_size: 1
    .uses_dynamic_stack: false
    .vgpr_count:     0
    .vgpr_spill_count: 0
    .wavefront_size: 32
    .workgroup_processor_mode: 1
  - .args:
      - .offset:         0
        .size:           112
        .value_kind:     by_value
    .group_segment_fixed_size: 0
    .kernarg_segment_align: 8
    .kernarg_segment_size: 112
    .language:       OpenCL C
    .language_version:
      - 2
      - 0
    .max_flat_workgroup_size: 256
    .name:           _ZN7rocprim17ROCPRIM_400000_NS6detail17trampoline_kernelINS0_14default_configENS1_21merge_config_selectorINS0_5tupleIJiiEEENS0_10empty_typeEEEZNS1_10merge_implIS3_NS0_12zip_iteratorINS5_IJN6thrust23THRUST_200600_302600_NS6detail15normal_iteratorINSC_10device_ptrIKiEEEESI_EEEEESK_NSA_INS5_IJNSE_INSF_IiEEEESM_EEEEEPS7_SP_SP_NSC_11hip_rocprim7__merge17predicate_wrapperIiiNSC_4lessIiEEEEEE10hipError_tPvRmT0_T1_T2_T3_T4_T5_mmT6_P12ihipStream_tbEUlT_E0_NS1_11comp_targetILNS1_3genE3ELNS1_11target_archE908ELNS1_3gpuE7ELNS1_3repE0EEENS1_30default_config_static_selectorELNS0_4arch9wavefront6targetE0EEEvS10_
    .private_segment_fixed_size: 0
    .sgpr_count:     0
    .sgpr_spill_count: 0
    .symbol:         _ZN7rocprim17ROCPRIM_400000_NS6detail17trampoline_kernelINS0_14default_configENS1_21merge_config_selectorINS0_5tupleIJiiEEENS0_10empty_typeEEEZNS1_10merge_implIS3_NS0_12zip_iteratorINS5_IJN6thrust23THRUST_200600_302600_NS6detail15normal_iteratorINSC_10device_ptrIKiEEEESI_EEEEESK_NSA_INS5_IJNSE_INSF_IiEEEESM_EEEEEPS7_SP_SP_NSC_11hip_rocprim7__merge17predicate_wrapperIiiNSC_4lessIiEEEEEE10hipError_tPvRmT0_T1_T2_T3_T4_T5_mmT6_P12ihipStream_tbEUlT_E0_NS1_11comp_targetILNS1_3genE3ELNS1_11target_archE908ELNS1_3gpuE7ELNS1_3repE0EEENS1_30default_config_static_selectorELNS0_4arch9wavefront6targetE0EEEvS10_.kd
    .uniform_work_group_size: 1
    .uses_dynamic_stack: false
    .vgpr_count:     0
    .vgpr_spill_count: 0
    .wavefront_size: 32
    .workgroup_processor_mode: 1
  - .args:
      - .offset:         0
        .size:           112
        .value_kind:     by_value
    .group_segment_fixed_size: 0
    .kernarg_segment_align: 8
    .kernarg_segment_size: 112
    .language:       OpenCL C
    .language_version:
      - 2
      - 0
    .max_flat_workgroup_size: 256
    .name:           _ZN7rocprim17ROCPRIM_400000_NS6detail17trampoline_kernelINS0_14default_configENS1_21merge_config_selectorINS0_5tupleIJiiEEENS0_10empty_typeEEEZNS1_10merge_implIS3_NS0_12zip_iteratorINS5_IJN6thrust23THRUST_200600_302600_NS6detail15normal_iteratorINSC_10device_ptrIKiEEEESI_EEEEESK_NSA_INS5_IJNSE_INSF_IiEEEESM_EEEEEPS7_SP_SP_NSC_11hip_rocprim7__merge17predicate_wrapperIiiNSC_4lessIiEEEEEE10hipError_tPvRmT0_T1_T2_T3_T4_T5_mmT6_P12ihipStream_tbEUlT_E0_NS1_11comp_targetILNS1_3genE2ELNS1_11target_archE906ELNS1_3gpuE6ELNS1_3repE0EEENS1_30default_config_static_selectorELNS0_4arch9wavefront6targetE0EEEvS10_
    .private_segment_fixed_size: 0
    .sgpr_count:     0
    .sgpr_spill_count: 0
    .symbol:         _ZN7rocprim17ROCPRIM_400000_NS6detail17trampoline_kernelINS0_14default_configENS1_21merge_config_selectorINS0_5tupleIJiiEEENS0_10empty_typeEEEZNS1_10merge_implIS3_NS0_12zip_iteratorINS5_IJN6thrust23THRUST_200600_302600_NS6detail15normal_iteratorINSC_10device_ptrIKiEEEESI_EEEEESK_NSA_INS5_IJNSE_INSF_IiEEEESM_EEEEEPS7_SP_SP_NSC_11hip_rocprim7__merge17predicate_wrapperIiiNSC_4lessIiEEEEEE10hipError_tPvRmT0_T1_T2_T3_T4_T5_mmT6_P12ihipStream_tbEUlT_E0_NS1_11comp_targetILNS1_3genE2ELNS1_11target_archE906ELNS1_3gpuE6ELNS1_3repE0EEENS1_30default_config_static_selectorELNS0_4arch9wavefront6targetE0EEEvS10_.kd
    .uniform_work_group_size: 1
    .uses_dynamic_stack: false
    .vgpr_count:     0
    .vgpr_spill_count: 0
    .wavefront_size: 32
    .workgroup_processor_mode: 1
  - .args:
      - .offset:         0
        .size:           112
        .value_kind:     by_value
    .group_segment_fixed_size: 0
    .kernarg_segment_align: 8
    .kernarg_segment_size: 112
    .language:       OpenCL C
    .language_version:
      - 2
      - 0
    .max_flat_workgroup_size: 512
    .name:           _ZN7rocprim17ROCPRIM_400000_NS6detail17trampoline_kernelINS0_14default_configENS1_21merge_config_selectorINS0_5tupleIJiiEEENS0_10empty_typeEEEZNS1_10merge_implIS3_NS0_12zip_iteratorINS5_IJN6thrust23THRUST_200600_302600_NS6detail15normal_iteratorINSC_10device_ptrIKiEEEESI_EEEEESK_NSA_INS5_IJNSE_INSF_IiEEEESM_EEEEEPS7_SP_SP_NSC_11hip_rocprim7__merge17predicate_wrapperIiiNSC_4lessIiEEEEEE10hipError_tPvRmT0_T1_T2_T3_T4_T5_mmT6_P12ihipStream_tbEUlT_E0_NS1_11comp_targetILNS1_3genE10ELNS1_11target_archE1201ELNS1_3gpuE5ELNS1_3repE0EEENS1_30default_config_static_selectorELNS0_4arch9wavefront6targetE0EEEvS10_
    .private_segment_fixed_size: 0
    .sgpr_count:     0
    .sgpr_spill_count: 0
    .symbol:         _ZN7rocprim17ROCPRIM_400000_NS6detail17trampoline_kernelINS0_14default_configENS1_21merge_config_selectorINS0_5tupleIJiiEEENS0_10empty_typeEEEZNS1_10merge_implIS3_NS0_12zip_iteratorINS5_IJN6thrust23THRUST_200600_302600_NS6detail15normal_iteratorINSC_10device_ptrIKiEEEESI_EEEEESK_NSA_INS5_IJNSE_INSF_IiEEEESM_EEEEEPS7_SP_SP_NSC_11hip_rocprim7__merge17predicate_wrapperIiiNSC_4lessIiEEEEEE10hipError_tPvRmT0_T1_T2_T3_T4_T5_mmT6_P12ihipStream_tbEUlT_E0_NS1_11comp_targetILNS1_3genE10ELNS1_11target_archE1201ELNS1_3gpuE5ELNS1_3repE0EEENS1_30default_config_static_selectorELNS0_4arch9wavefront6targetE0EEEvS10_.kd
    .uniform_work_group_size: 1
    .uses_dynamic_stack: false
    .vgpr_count:     0
    .vgpr_spill_count: 0
    .wavefront_size: 32
    .workgroup_processor_mode: 1
  - .args:
      - .offset:         0
        .size:           112
        .value_kind:     by_value
    .group_segment_fixed_size: 0
    .kernarg_segment_align: 8
    .kernarg_segment_size: 112
    .language:       OpenCL C
    .language_version:
      - 2
      - 0
    .max_flat_workgroup_size: 1024
    .name:           _ZN7rocprim17ROCPRIM_400000_NS6detail17trampoline_kernelINS0_14default_configENS1_21merge_config_selectorINS0_5tupleIJiiEEENS0_10empty_typeEEEZNS1_10merge_implIS3_NS0_12zip_iteratorINS5_IJN6thrust23THRUST_200600_302600_NS6detail15normal_iteratorINSC_10device_ptrIKiEEEESI_EEEEESK_NSA_INS5_IJNSE_INSF_IiEEEESM_EEEEEPS7_SP_SP_NSC_11hip_rocprim7__merge17predicate_wrapperIiiNSC_4lessIiEEEEEE10hipError_tPvRmT0_T1_T2_T3_T4_T5_mmT6_P12ihipStream_tbEUlT_E0_NS1_11comp_targetILNS1_3genE10ELNS1_11target_archE1200ELNS1_3gpuE4ELNS1_3repE0EEENS1_30default_config_static_selectorELNS0_4arch9wavefront6targetE0EEEvS10_
    .private_segment_fixed_size: 0
    .sgpr_count:     0
    .sgpr_spill_count: 0
    .symbol:         _ZN7rocprim17ROCPRIM_400000_NS6detail17trampoline_kernelINS0_14default_configENS1_21merge_config_selectorINS0_5tupleIJiiEEENS0_10empty_typeEEEZNS1_10merge_implIS3_NS0_12zip_iteratorINS5_IJN6thrust23THRUST_200600_302600_NS6detail15normal_iteratorINSC_10device_ptrIKiEEEESI_EEEEESK_NSA_INS5_IJNSE_INSF_IiEEEESM_EEEEEPS7_SP_SP_NSC_11hip_rocprim7__merge17predicate_wrapperIiiNSC_4lessIiEEEEEE10hipError_tPvRmT0_T1_T2_T3_T4_T5_mmT6_P12ihipStream_tbEUlT_E0_NS1_11comp_targetILNS1_3genE10ELNS1_11target_archE1200ELNS1_3gpuE4ELNS1_3repE0EEENS1_30default_config_static_selectorELNS0_4arch9wavefront6targetE0EEEvS10_.kd
    .uniform_work_group_size: 1
    .uses_dynamic_stack: false
    .vgpr_count:     0
    .vgpr_spill_count: 0
    .wavefront_size: 32
    .workgroup_processor_mode: 1
  - .args:
      - .offset:         0
        .size:           112
        .value_kind:     by_value
    .group_segment_fixed_size: 0
    .kernarg_segment_align: 8
    .kernarg_segment_size: 112
    .language:       OpenCL C
    .language_version:
      - 2
      - 0
    .max_flat_workgroup_size: 1024
    .name:           _ZN7rocprim17ROCPRIM_400000_NS6detail17trampoline_kernelINS0_14default_configENS1_21merge_config_selectorINS0_5tupleIJiiEEENS0_10empty_typeEEEZNS1_10merge_implIS3_NS0_12zip_iteratorINS5_IJN6thrust23THRUST_200600_302600_NS6detail15normal_iteratorINSC_10device_ptrIKiEEEESI_EEEEESK_NSA_INS5_IJNSE_INSF_IiEEEESM_EEEEEPS7_SP_SP_NSC_11hip_rocprim7__merge17predicate_wrapperIiiNSC_4lessIiEEEEEE10hipError_tPvRmT0_T1_T2_T3_T4_T5_mmT6_P12ihipStream_tbEUlT_E0_NS1_11comp_targetILNS1_3genE9ELNS1_11target_archE1100ELNS1_3gpuE3ELNS1_3repE0EEENS1_30default_config_static_selectorELNS0_4arch9wavefront6targetE0EEEvS10_
    .private_segment_fixed_size: 0
    .sgpr_count:     0
    .sgpr_spill_count: 0
    .symbol:         _ZN7rocprim17ROCPRIM_400000_NS6detail17trampoline_kernelINS0_14default_configENS1_21merge_config_selectorINS0_5tupleIJiiEEENS0_10empty_typeEEEZNS1_10merge_implIS3_NS0_12zip_iteratorINS5_IJN6thrust23THRUST_200600_302600_NS6detail15normal_iteratorINSC_10device_ptrIKiEEEESI_EEEEESK_NSA_INS5_IJNSE_INSF_IiEEEESM_EEEEEPS7_SP_SP_NSC_11hip_rocprim7__merge17predicate_wrapperIiiNSC_4lessIiEEEEEE10hipError_tPvRmT0_T1_T2_T3_T4_T5_mmT6_P12ihipStream_tbEUlT_E0_NS1_11comp_targetILNS1_3genE9ELNS1_11target_archE1100ELNS1_3gpuE3ELNS1_3repE0EEENS1_30default_config_static_selectorELNS0_4arch9wavefront6targetE0EEEvS10_.kd
    .uniform_work_group_size: 1
    .uses_dynamic_stack: false
    .vgpr_count:     0
    .vgpr_spill_count: 0
    .wavefront_size: 32
    .workgroup_processor_mode: 1
  - .args:
      - .offset:         0
        .size:           112
        .value_kind:     by_value
    .group_segment_fixed_size: 33792
    .kernarg_segment_align: 8
    .kernarg_segment_size: 112
    .language:       OpenCL C
    .language_version:
      - 2
      - 0
    .max_flat_workgroup_size: 256
    .name:           _ZN7rocprim17ROCPRIM_400000_NS6detail17trampoline_kernelINS0_14default_configENS1_21merge_config_selectorINS0_5tupleIJiiEEENS0_10empty_typeEEEZNS1_10merge_implIS3_NS0_12zip_iteratorINS5_IJN6thrust23THRUST_200600_302600_NS6detail15normal_iteratorINSC_10device_ptrIKiEEEESI_EEEEESK_NSA_INS5_IJNSE_INSF_IiEEEESM_EEEEEPS7_SP_SP_NSC_11hip_rocprim7__merge17predicate_wrapperIiiNSC_4lessIiEEEEEE10hipError_tPvRmT0_T1_T2_T3_T4_T5_mmT6_P12ihipStream_tbEUlT_E0_NS1_11comp_targetILNS1_3genE8ELNS1_11target_archE1030ELNS1_3gpuE2ELNS1_3repE0EEENS1_30default_config_static_selectorELNS0_4arch9wavefront6targetE0EEEvS10_
    .private_segment_fixed_size: 0
    .sgpr_count:     30
    .sgpr_spill_count: 0
    .symbol:         _ZN7rocprim17ROCPRIM_400000_NS6detail17trampoline_kernelINS0_14default_configENS1_21merge_config_selectorINS0_5tupleIJiiEEENS0_10empty_typeEEEZNS1_10merge_implIS3_NS0_12zip_iteratorINS5_IJN6thrust23THRUST_200600_302600_NS6detail15normal_iteratorINSC_10device_ptrIKiEEEESI_EEEEESK_NSA_INS5_IJNSE_INSF_IiEEEESM_EEEEEPS7_SP_SP_NSC_11hip_rocprim7__merge17predicate_wrapperIiiNSC_4lessIiEEEEEE10hipError_tPvRmT0_T1_T2_T3_T4_T5_mmT6_P12ihipStream_tbEUlT_E0_NS1_11comp_targetILNS1_3genE8ELNS1_11target_archE1030ELNS1_3gpuE2ELNS1_3repE0EEENS1_30default_config_static_selectorELNS0_4arch9wavefront6targetE0EEEvS10_.kd
    .uniform_work_group_size: 1
    .uses_dynamic_stack: false
    .vgpr_count:     73
    .vgpr_spill_count: 0
    .wavefront_size: 32
    .workgroup_processor_mode: 1
  - .args:
      - .offset:         0
        .size:           104
        .value_kind:     by_value
    .group_segment_fixed_size: 0
    .kernarg_segment_align: 8
    .kernarg_segment_size: 104
    .language:       OpenCL C
    .language_version:
      - 2
      - 0
    .max_flat_workgroup_size: 128
    .name:           _ZN7rocprim17ROCPRIM_400000_NS6detail17trampoline_kernelINS0_14default_configENS1_22reduce_config_selectorIN6thrust23THRUST_200600_302600_NS5tupleIblNS6_9null_typeES8_S8_S8_S8_S8_S8_S8_EEEEZNS1_11reduce_implILb1ES3_NS6_12zip_iteratorINS7_INS6_11hip_rocprim26transform_input_iterator_tIbNSD_35transform_pair_of_input_iterators_tIbNS6_6detail15normal_iteratorINS6_10device_ptrIKiEEEESL_NS6_8equal_toIiEEEENSG_9not_fun_tINSD_8identityEEEEENSD_19counting_iterator_tIlEES8_S8_S8_S8_S8_S8_S8_S8_EEEEPS9_S9_NSD_9__find_if7functorIS9_EEEE10hipError_tPvRmT1_T2_T3_mT4_P12ihipStream_tbEUlT_E0_NS1_11comp_targetILNS1_3genE0ELNS1_11target_archE4294967295ELNS1_3gpuE0ELNS1_3repE0EEENS1_30default_config_static_selectorELNS0_4arch9wavefront6targetE0EEEvS14_
    .private_segment_fixed_size: 0
    .sgpr_count:     0
    .sgpr_spill_count: 0
    .symbol:         _ZN7rocprim17ROCPRIM_400000_NS6detail17trampoline_kernelINS0_14default_configENS1_22reduce_config_selectorIN6thrust23THRUST_200600_302600_NS5tupleIblNS6_9null_typeES8_S8_S8_S8_S8_S8_S8_EEEEZNS1_11reduce_implILb1ES3_NS6_12zip_iteratorINS7_INS6_11hip_rocprim26transform_input_iterator_tIbNSD_35transform_pair_of_input_iterators_tIbNS6_6detail15normal_iteratorINS6_10device_ptrIKiEEEESL_NS6_8equal_toIiEEEENSG_9not_fun_tINSD_8identityEEEEENSD_19counting_iterator_tIlEES8_S8_S8_S8_S8_S8_S8_S8_EEEEPS9_S9_NSD_9__find_if7functorIS9_EEEE10hipError_tPvRmT1_T2_T3_mT4_P12ihipStream_tbEUlT_E0_NS1_11comp_targetILNS1_3genE0ELNS1_11target_archE4294967295ELNS1_3gpuE0ELNS1_3repE0EEENS1_30default_config_static_selectorELNS0_4arch9wavefront6targetE0EEEvS14_.kd
    .uniform_work_group_size: 1
    .uses_dynamic_stack: false
    .vgpr_count:     0
    .vgpr_spill_count: 0
    .wavefront_size: 32
    .workgroup_processor_mode: 1
  - .args:
      - .offset:         0
        .size:           104
        .value_kind:     by_value
    .group_segment_fixed_size: 0
    .kernarg_segment_align: 8
    .kernarg_segment_size: 104
    .language:       OpenCL C
    .language_version:
      - 2
      - 0
    .max_flat_workgroup_size: 256
    .name:           _ZN7rocprim17ROCPRIM_400000_NS6detail17trampoline_kernelINS0_14default_configENS1_22reduce_config_selectorIN6thrust23THRUST_200600_302600_NS5tupleIblNS6_9null_typeES8_S8_S8_S8_S8_S8_S8_EEEEZNS1_11reduce_implILb1ES3_NS6_12zip_iteratorINS7_INS6_11hip_rocprim26transform_input_iterator_tIbNSD_35transform_pair_of_input_iterators_tIbNS6_6detail15normal_iteratorINS6_10device_ptrIKiEEEESL_NS6_8equal_toIiEEEENSG_9not_fun_tINSD_8identityEEEEENSD_19counting_iterator_tIlEES8_S8_S8_S8_S8_S8_S8_S8_EEEEPS9_S9_NSD_9__find_if7functorIS9_EEEE10hipError_tPvRmT1_T2_T3_mT4_P12ihipStream_tbEUlT_E0_NS1_11comp_targetILNS1_3genE5ELNS1_11target_archE942ELNS1_3gpuE9ELNS1_3repE0EEENS1_30default_config_static_selectorELNS0_4arch9wavefront6targetE0EEEvS14_
    .private_segment_fixed_size: 0
    .sgpr_count:     0
    .sgpr_spill_count: 0
    .symbol:         _ZN7rocprim17ROCPRIM_400000_NS6detail17trampoline_kernelINS0_14default_configENS1_22reduce_config_selectorIN6thrust23THRUST_200600_302600_NS5tupleIblNS6_9null_typeES8_S8_S8_S8_S8_S8_S8_EEEEZNS1_11reduce_implILb1ES3_NS6_12zip_iteratorINS7_INS6_11hip_rocprim26transform_input_iterator_tIbNSD_35transform_pair_of_input_iterators_tIbNS6_6detail15normal_iteratorINS6_10device_ptrIKiEEEESL_NS6_8equal_toIiEEEENSG_9not_fun_tINSD_8identityEEEEENSD_19counting_iterator_tIlEES8_S8_S8_S8_S8_S8_S8_S8_EEEEPS9_S9_NSD_9__find_if7functorIS9_EEEE10hipError_tPvRmT1_T2_T3_mT4_P12ihipStream_tbEUlT_E0_NS1_11comp_targetILNS1_3genE5ELNS1_11target_archE942ELNS1_3gpuE9ELNS1_3repE0EEENS1_30default_config_static_selectorELNS0_4arch9wavefront6targetE0EEEvS14_.kd
    .uniform_work_group_size: 1
    .uses_dynamic_stack: false
    .vgpr_count:     0
    .vgpr_spill_count: 0
    .wavefront_size: 32
    .workgroup_processor_mode: 1
  - .args:
      - .offset:         0
        .size:           104
        .value_kind:     by_value
    .group_segment_fixed_size: 0
    .kernarg_segment_align: 8
    .kernarg_segment_size: 104
    .language:       OpenCL C
    .language_version:
      - 2
      - 0
    .max_flat_workgroup_size: 256
    .name:           _ZN7rocprim17ROCPRIM_400000_NS6detail17trampoline_kernelINS0_14default_configENS1_22reduce_config_selectorIN6thrust23THRUST_200600_302600_NS5tupleIblNS6_9null_typeES8_S8_S8_S8_S8_S8_S8_EEEEZNS1_11reduce_implILb1ES3_NS6_12zip_iteratorINS7_INS6_11hip_rocprim26transform_input_iterator_tIbNSD_35transform_pair_of_input_iterators_tIbNS6_6detail15normal_iteratorINS6_10device_ptrIKiEEEESL_NS6_8equal_toIiEEEENSG_9not_fun_tINSD_8identityEEEEENSD_19counting_iterator_tIlEES8_S8_S8_S8_S8_S8_S8_S8_EEEEPS9_S9_NSD_9__find_if7functorIS9_EEEE10hipError_tPvRmT1_T2_T3_mT4_P12ihipStream_tbEUlT_E0_NS1_11comp_targetILNS1_3genE4ELNS1_11target_archE910ELNS1_3gpuE8ELNS1_3repE0EEENS1_30default_config_static_selectorELNS0_4arch9wavefront6targetE0EEEvS14_
    .private_segment_fixed_size: 0
    .sgpr_count:     0
    .sgpr_spill_count: 0
    .symbol:         _ZN7rocprim17ROCPRIM_400000_NS6detail17trampoline_kernelINS0_14default_configENS1_22reduce_config_selectorIN6thrust23THRUST_200600_302600_NS5tupleIblNS6_9null_typeES8_S8_S8_S8_S8_S8_S8_EEEEZNS1_11reduce_implILb1ES3_NS6_12zip_iteratorINS7_INS6_11hip_rocprim26transform_input_iterator_tIbNSD_35transform_pair_of_input_iterators_tIbNS6_6detail15normal_iteratorINS6_10device_ptrIKiEEEESL_NS6_8equal_toIiEEEENSG_9not_fun_tINSD_8identityEEEEENSD_19counting_iterator_tIlEES8_S8_S8_S8_S8_S8_S8_S8_EEEEPS9_S9_NSD_9__find_if7functorIS9_EEEE10hipError_tPvRmT1_T2_T3_mT4_P12ihipStream_tbEUlT_E0_NS1_11comp_targetILNS1_3genE4ELNS1_11target_archE910ELNS1_3gpuE8ELNS1_3repE0EEENS1_30default_config_static_selectorELNS0_4arch9wavefront6targetE0EEEvS14_.kd
    .uniform_work_group_size: 1
    .uses_dynamic_stack: false
    .vgpr_count:     0
    .vgpr_spill_count: 0
    .wavefront_size: 32
    .workgroup_processor_mode: 1
  - .args:
      - .offset:         0
        .size:           104
        .value_kind:     by_value
    .group_segment_fixed_size: 0
    .kernarg_segment_align: 8
    .kernarg_segment_size: 104
    .language:       OpenCL C
    .language_version:
      - 2
      - 0
    .max_flat_workgroup_size: 128
    .name:           _ZN7rocprim17ROCPRIM_400000_NS6detail17trampoline_kernelINS0_14default_configENS1_22reduce_config_selectorIN6thrust23THRUST_200600_302600_NS5tupleIblNS6_9null_typeES8_S8_S8_S8_S8_S8_S8_EEEEZNS1_11reduce_implILb1ES3_NS6_12zip_iteratorINS7_INS6_11hip_rocprim26transform_input_iterator_tIbNSD_35transform_pair_of_input_iterators_tIbNS6_6detail15normal_iteratorINS6_10device_ptrIKiEEEESL_NS6_8equal_toIiEEEENSG_9not_fun_tINSD_8identityEEEEENSD_19counting_iterator_tIlEES8_S8_S8_S8_S8_S8_S8_S8_EEEEPS9_S9_NSD_9__find_if7functorIS9_EEEE10hipError_tPvRmT1_T2_T3_mT4_P12ihipStream_tbEUlT_E0_NS1_11comp_targetILNS1_3genE3ELNS1_11target_archE908ELNS1_3gpuE7ELNS1_3repE0EEENS1_30default_config_static_selectorELNS0_4arch9wavefront6targetE0EEEvS14_
    .private_segment_fixed_size: 0
    .sgpr_count:     0
    .sgpr_spill_count: 0
    .symbol:         _ZN7rocprim17ROCPRIM_400000_NS6detail17trampoline_kernelINS0_14default_configENS1_22reduce_config_selectorIN6thrust23THRUST_200600_302600_NS5tupleIblNS6_9null_typeES8_S8_S8_S8_S8_S8_S8_EEEEZNS1_11reduce_implILb1ES3_NS6_12zip_iteratorINS7_INS6_11hip_rocprim26transform_input_iterator_tIbNSD_35transform_pair_of_input_iterators_tIbNS6_6detail15normal_iteratorINS6_10device_ptrIKiEEEESL_NS6_8equal_toIiEEEENSG_9not_fun_tINSD_8identityEEEEENSD_19counting_iterator_tIlEES8_S8_S8_S8_S8_S8_S8_S8_EEEEPS9_S9_NSD_9__find_if7functorIS9_EEEE10hipError_tPvRmT1_T2_T3_mT4_P12ihipStream_tbEUlT_E0_NS1_11comp_targetILNS1_3genE3ELNS1_11target_archE908ELNS1_3gpuE7ELNS1_3repE0EEENS1_30default_config_static_selectorELNS0_4arch9wavefront6targetE0EEEvS14_.kd
    .uniform_work_group_size: 1
    .uses_dynamic_stack: false
    .vgpr_count:     0
    .vgpr_spill_count: 0
    .wavefront_size: 32
    .workgroup_processor_mode: 1
  - .args:
      - .offset:         0
        .size:           104
        .value_kind:     by_value
    .group_segment_fixed_size: 0
    .kernarg_segment_align: 8
    .kernarg_segment_size: 104
    .language:       OpenCL C
    .language_version:
      - 2
      - 0
    .max_flat_workgroup_size: 128
    .name:           _ZN7rocprim17ROCPRIM_400000_NS6detail17trampoline_kernelINS0_14default_configENS1_22reduce_config_selectorIN6thrust23THRUST_200600_302600_NS5tupleIblNS6_9null_typeES8_S8_S8_S8_S8_S8_S8_EEEEZNS1_11reduce_implILb1ES3_NS6_12zip_iteratorINS7_INS6_11hip_rocprim26transform_input_iterator_tIbNSD_35transform_pair_of_input_iterators_tIbNS6_6detail15normal_iteratorINS6_10device_ptrIKiEEEESL_NS6_8equal_toIiEEEENSG_9not_fun_tINSD_8identityEEEEENSD_19counting_iterator_tIlEES8_S8_S8_S8_S8_S8_S8_S8_EEEEPS9_S9_NSD_9__find_if7functorIS9_EEEE10hipError_tPvRmT1_T2_T3_mT4_P12ihipStream_tbEUlT_E0_NS1_11comp_targetILNS1_3genE2ELNS1_11target_archE906ELNS1_3gpuE6ELNS1_3repE0EEENS1_30default_config_static_selectorELNS0_4arch9wavefront6targetE0EEEvS14_
    .private_segment_fixed_size: 0
    .sgpr_count:     0
    .sgpr_spill_count: 0
    .symbol:         _ZN7rocprim17ROCPRIM_400000_NS6detail17trampoline_kernelINS0_14default_configENS1_22reduce_config_selectorIN6thrust23THRUST_200600_302600_NS5tupleIblNS6_9null_typeES8_S8_S8_S8_S8_S8_S8_EEEEZNS1_11reduce_implILb1ES3_NS6_12zip_iteratorINS7_INS6_11hip_rocprim26transform_input_iterator_tIbNSD_35transform_pair_of_input_iterators_tIbNS6_6detail15normal_iteratorINS6_10device_ptrIKiEEEESL_NS6_8equal_toIiEEEENSG_9not_fun_tINSD_8identityEEEEENSD_19counting_iterator_tIlEES8_S8_S8_S8_S8_S8_S8_S8_EEEEPS9_S9_NSD_9__find_if7functorIS9_EEEE10hipError_tPvRmT1_T2_T3_mT4_P12ihipStream_tbEUlT_E0_NS1_11comp_targetILNS1_3genE2ELNS1_11target_archE906ELNS1_3gpuE6ELNS1_3repE0EEENS1_30default_config_static_selectorELNS0_4arch9wavefront6targetE0EEEvS14_.kd
    .uniform_work_group_size: 1
    .uses_dynamic_stack: false
    .vgpr_count:     0
    .vgpr_spill_count: 0
    .wavefront_size: 32
    .workgroup_processor_mode: 1
  - .args:
      - .offset:         0
        .size:           104
        .value_kind:     by_value
    .group_segment_fixed_size: 0
    .kernarg_segment_align: 8
    .kernarg_segment_size: 104
    .language:       OpenCL C
    .language_version:
      - 2
      - 0
    .max_flat_workgroup_size: 256
    .name:           _ZN7rocprim17ROCPRIM_400000_NS6detail17trampoline_kernelINS0_14default_configENS1_22reduce_config_selectorIN6thrust23THRUST_200600_302600_NS5tupleIblNS6_9null_typeES8_S8_S8_S8_S8_S8_S8_EEEEZNS1_11reduce_implILb1ES3_NS6_12zip_iteratorINS7_INS6_11hip_rocprim26transform_input_iterator_tIbNSD_35transform_pair_of_input_iterators_tIbNS6_6detail15normal_iteratorINS6_10device_ptrIKiEEEESL_NS6_8equal_toIiEEEENSG_9not_fun_tINSD_8identityEEEEENSD_19counting_iterator_tIlEES8_S8_S8_S8_S8_S8_S8_S8_EEEEPS9_S9_NSD_9__find_if7functorIS9_EEEE10hipError_tPvRmT1_T2_T3_mT4_P12ihipStream_tbEUlT_E0_NS1_11comp_targetILNS1_3genE10ELNS1_11target_archE1201ELNS1_3gpuE5ELNS1_3repE0EEENS1_30default_config_static_selectorELNS0_4arch9wavefront6targetE0EEEvS14_
    .private_segment_fixed_size: 0
    .sgpr_count:     0
    .sgpr_spill_count: 0
    .symbol:         _ZN7rocprim17ROCPRIM_400000_NS6detail17trampoline_kernelINS0_14default_configENS1_22reduce_config_selectorIN6thrust23THRUST_200600_302600_NS5tupleIblNS6_9null_typeES8_S8_S8_S8_S8_S8_S8_EEEEZNS1_11reduce_implILb1ES3_NS6_12zip_iteratorINS7_INS6_11hip_rocprim26transform_input_iterator_tIbNSD_35transform_pair_of_input_iterators_tIbNS6_6detail15normal_iteratorINS6_10device_ptrIKiEEEESL_NS6_8equal_toIiEEEENSG_9not_fun_tINSD_8identityEEEEENSD_19counting_iterator_tIlEES8_S8_S8_S8_S8_S8_S8_S8_EEEEPS9_S9_NSD_9__find_if7functorIS9_EEEE10hipError_tPvRmT1_T2_T3_mT4_P12ihipStream_tbEUlT_E0_NS1_11comp_targetILNS1_3genE10ELNS1_11target_archE1201ELNS1_3gpuE5ELNS1_3repE0EEENS1_30default_config_static_selectorELNS0_4arch9wavefront6targetE0EEEvS14_.kd
    .uniform_work_group_size: 1
    .uses_dynamic_stack: false
    .vgpr_count:     0
    .vgpr_spill_count: 0
    .wavefront_size: 32
    .workgroup_processor_mode: 1
  - .args:
      - .offset:         0
        .size:           104
        .value_kind:     by_value
    .group_segment_fixed_size: 0
    .kernarg_segment_align: 8
    .kernarg_segment_size: 104
    .language:       OpenCL C
    .language_version:
      - 2
      - 0
    .max_flat_workgroup_size: 256
    .name:           _ZN7rocprim17ROCPRIM_400000_NS6detail17trampoline_kernelINS0_14default_configENS1_22reduce_config_selectorIN6thrust23THRUST_200600_302600_NS5tupleIblNS6_9null_typeES8_S8_S8_S8_S8_S8_S8_EEEEZNS1_11reduce_implILb1ES3_NS6_12zip_iteratorINS7_INS6_11hip_rocprim26transform_input_iterator_tIbNSD_35transform_pair_of_input_iterators_tIbNS6_6detail15normal_iteratorINS6_10device_ptrIKiEEEESL_NS6_8equal_toIiEEEENSG_9not_fun_tINSD_8identityEEEEENSD_19counting_iterator_tIlEES8_S8_S8_S8_S8_S8_S8_S8_EEEEPS9_S9_NSD_9__find_if7functorIS9_EEEE10hipError_tPvRmT1_T2_T3_mT4_P12ihipStream_tbEUlT_E0_NS1_11comp_targetILNS1_3genE10ELNS1_11target_archE1200ELNS1_3gpuE4ELNS1_3repE0EEENS1_30default_config_static_selectorELNS0_4arch9wavefront6targetE0EEEvS14_
    .private_segment_fixed_size: 0
    .sgpr_count:     0
    .sgpr_spill_count: 0
    .symbol:         _ZN7rocprim17ROCPRIM_400000_NS6detail17trampoline_kernelINS0_14default_configENS1_22reduce_config_selectorIN6thrust23THRUST_200600_302600_NS5tupleIblNS6_9null_typeES8_S8_S8_S8_S8_S8_S8_EEEEZNS1_11reduce_implILb1ES3_NS6_12zip_iteratorINS7_INS6_11hip_rocprim26transform_input_iterator_tIbNSD_35transform_pair_of_input_iterators_tIbNS6_6detail15normal_iteratorINS6_10device_ptrIKiEEEESL_NS6_8equal_toIiEEEENSG_9not_fun_tINSD_8identityEEEEENSD_19counting_iterator_tIlEES8_S8_S8_S8_S8_S8_S8_S8_EEEEPS9_S9_NSD_9__find_if7functorIS9_EEEE10hipError_tPvRmT1_T2_T3_mT4_P12ihipStream_tbEUlT_E0_NS1_11comp_targetILNS1_3genE10ELNS1_11target_archE1200ELNS1_3gpuE4ELNS1_3repE0EEENS1_30default_config_static_selectorELNS0_4arch9wavefront6targetE0EEEvS14_.kd
    .uniform_work_group_size: 1
    .uses_dynamic_stack: false
    .vgpr_count:     0
    .vgpr_spill_count: 0
    .wavefront_size: 32
    .workgroup_processor_mode: 1
  - .args:
      - .offset:         0
        .size:           104
        .value_kind:     by_value
    .group_segment_fixed_size: 0
    .kernarg_segment_align: 8
    .kernarg_segment_size: 104
    .language:       OpenCL C
    .language_version:
      - 2
      - 0
    .max_flat_workgroup_size: 256
    .name:           _ZN7rocprim17ROCPRIM_400000_NS6detail17trampoline_kernelINS0_14default_configENS1_22reduce_config_selectorIN6thrust23THRUST_200600_302600_NS5tupleIblNS6_9null_typeES8_S8_S8_S8_S8_S8_S8_EEEEZNS1_11reduce_implILb1ES3_NS6_12zip_iteratorINS7_INS6_11hip_rocprim26transform_input_iterator_tIbNSD_35transform_pair_of_input_iterators_tIbNS6_6detail15normal_iteratorINS6_10device_ptrIKiEEEESL_NS6_8equal_toIiEEEENSG_9not_fun_tINSD_8identityEEEEENSD_19counting_iterator_tIlEES8_S8_S8_S8_S8_S8_S8_S8_EEEEPS9_S9_NSD_9__find_if7functorIS9_EEEE10hipError_tPvRmT1_T2_T3_mT4_P12ihipStream_tbEUlT_E0_NS1_11comp_targetILNS1_3genE9ELNS1_11target_archE1100ELNS1_3gpuE3ELNS1_3repE0EEENS1_30default_config_static_selectorELNS0_4arch9wavefront6targetE0EEEvS14_
    .private_segment_fixed_size: 0
    .sgpr_count:     0
    .sgpr_spill_count: 0
    .symbol:         _ZN7rocprim17ROCPRIM_400000_NS6detail17trampoline_kernelINS0_14default_configENS1_22reduce_config_selectorIN6thrust23THRUST_200600_302600_NS5tupleIblNS6_9null_typeES8_S8_S8_S8_S8_S8_S8_EEEEZNS1_11reduce_implILb1ES3_NS6_12zip_iteratorINS7_INS6_11hip_rocprim26transform_input_iterator_tIbNSD_35transform_pair_of_input_iterators_tIbNS6_6detail15normal_iteratorINS6_10device_ptrIKiEEEESL_NS6_8equal_toIiEEEENSG_9not_fun_tINSD_8identityEEEEENSD_19counting_iterator_tIlEES8_S8_S8_S8_S8_S8_S8_S8_EEEEPS9_S9_NSD_9__find_if7functorIS9_EEEE10hipError_tPvRmT1_T2_T3_mT4_P12ihipStream_tbEUlT_E0_NS1_11comp_targetILNS1_3genE9ELNS1_11target_archE1100ELNS1_3gpuE3ELNS1_3repE0EEENS1_30default_config_static_selectorELNS0_4arch9wavefront6targetE0EEEvS14_.kd
    .uniform_work_group_size: 1
    .uses_dynamic_stack: false
    .vgpr_count:     0
    .vgpr_spill_count: 0
    .wavefront_size: 32
    .workgroup_processor_mode: 1
  - .args:
      - .offset:         0
        .size:           104
        .value_kind:     by_value
    .group_segment_fixed_size: 256
    .kernarg_segment_align: 8
    .kernarg_segment_size: 104
    .language:       OpenCL C
    .language_version:
      - 2
      - 0
    .max_flat_workgroup_size: 256
    .name:           _ZN7rocprim17ROCPRIM_400000_NS6detail17trampoline_kernelINS0_14default_configENS1_22reduce_config_selectorIN6thrust23THRUST_200600_302600_NS5tupleIblNS6_9null_typeES8_S8_S8_S8_S8_S8_S8_EEEEZNS1_11reduce_implILb1ES3_NS6_12zip_iteratorINS7_INS6_11hip_rocprim26transform_input_iterator_tIbNSD_35transform_pair_of_input_iterators_tIbNS6_6detail15normal_iteratorINS6_10device_ptrIKiEEEESL_NS6_8equal_toIiEEEENSG_9not_fun_tINSD_8identityEEEEENSD_19counting_iterator_tIlEES8_S8_S8_S8_S8_S8_S8_S8_EEEEPS9_S9_NSD_9__find_if7functorIS9_EEEE10hipError_tPvRmT1_T2_T3_mT4_P12ihipStream_tbEUlT_E0_NS1_11comp_targetILNS1_3genE8ELNS1_11target_archE1030ELNS1_3gpuE2ELNS1_3repE0EEENS1_30default_config_static_selectorELNS0_4arch9wavefront6targetE0EEEvS14_
    .private_segment_fixed_size: 0
    .sgpr_count:     30
    .sgpr_spill_count: 0
    .symbol:         _ZN7rocprim17ROCPRIM_400000_NS6detail17trampoline_kernelINS0_14default_configENS1_22reduce_config_selectorIN6thrust23THRUST_200600_302600_NS5tupleIblNS6_9null_typeES8_S8_S8_S8_S8_S8_S8_EEEEZNS1_11reduce_implILb1ES3_NS6_12zip_iteratorINS7_INS6_11hip_rocprim26transform_input_iterator_tIbNSD_35transform_pair_of_input_iterators_tIbNS6_6detail15normal_iteratorINS6_10device_ptrIKiEEEESL_NS6_8equal_toIiEEEENSG_9not_fun_tINSD_8identityEEEEENSD_19counting_iterator_tIlEES8_S8_S8_S8_S8_S8_S8_S8_EEEEPS9_S9_NSD_9__find_if7functorIS9_EEEE10hipError_tPvRmT1_T2_T3_mT4_P12ihipStream_tbEUlT_E0_NS1_11comp_targetILNS1_3genE8ELNS1_11target_archE1030ELNS1_3gpuE2ELNS1_3repE0EEENS1_30default_config_static_selectorELNS0_4arch9wavefront6targetE0EEEvS14_.kd
    .uniform_work_group_size: 1
    .uses_dynamic_stack: false
    .vgpr_count:     13
    .vgpr_spill_count: 0
    .wavefront_size: 32
    .workgroup_processor_mode: 1
  - .args:
      - .offset:         0
        .size:           88
        .value_kind:     by_value
    .group_segment_fixed_size: 0
    .kernarg_segment_align: 8
    .kernarg_segment_size: 88
    .language:       OpenCL C
    .language_version:
      - 2
      - 0
    .max_flat_workgroup_size: 128
    .name:           _ZN7rocprim17ROCPRIM_400000_NS6detail17trampoline_kernelINS0_14default_configENS1_22reduce_config_selectorIN6thrust23THRUST_200600_302600_NS5tupleIblNS6_9null_typeES8_S8_S8_S8_S8_S8_S8_EEEEZNS1_11reduce_implILb1ES3_NS6_12zip_iteratorINS7_INS6_11hip_rocprim26transform_input_iterator_tIbNSD_35transform_pair_of_input_iterators_tIbNS6_6detail15normal_iteratorINS6_10device_ptrIKiEEEESL_NS6_8equal_toIiEEEENSG_9not_fun_tINSD_8identityEEEEENSD_19counting_iterator_tIlEES8_S8_S8_S8_S8_S8_S8_S8_EEEEPS9_S9_NSD_9__find_if7functorIS9_EEEE10hipError_tPvRmT1_T2_T3_mT4_P12ihipStream_tbEUlT_E1_NS1_11comp_targetILNS1_3genE0ELNS1_11target_archE4294967295ELNS1_3gpuE0ELNS1_3repE0EEENS1_30default_config_static_selectorELNS0_4arch9wavefront6targetE0EEEvS14_
    .private_segment_fixed_size: 0
    .sgpr_count:     0
    .sgpr_spill_count: 0
    .symbol:         _ZN7rocprim17ROCPRIM_400000_NS6detail17trampoline_kernelINS0_14default_configENS1_22reduce_config_selectorIN6thrust23THRUST_200600_302600_NS5tupleIblNS6_9null_typeES8_S8_S8_S8_S8_S8_S8_EEEEZNS1_11reduce_implILb1ES3_NS6_12zip_iteratorINS7_INS6_11hip_rocprim26transform_input_iterator_tIbNSD_35transform_pair_of_input_iterators_tIbNS6_6detail15normal_iteratorINS6_10device_ptrIKiEEEESL_NS6_8equal_toIiEEEENSG_9not_fun_tINSD_8identityEEEEENSD_19counting_iterator_tIlEES8_S8_S8_S8_S8_S8_S8_S8_EEEEPS9_S9_NSD_9__find_if7functorIS9_EEEE10hipError_tPvRmT1_T2_T3_mT4_P12ihipStream_tbEUlT_E1_NS1_11comp_targetILNS1_3genE0ELNS1_11target_archE4294967295ELNS1_3gpuE0ELNS1_3repE0EEENS1_30default_config_static_selectorELNS0_4arch9wavefront6targetE0EEEvS14_.kd
    .uniform_work_group_size: 1
    .uses_dynamic_stack: false
    .vgpr_count:     0
    .vgpr_spill_count: 0
    .wavefront_size: 32
    .workgroup_processor_mode: 1
  - .args:
      - .offset:         0
        .size:           88
        .value_kind:     by_value
    .group_segment_fixed_size: 0
    .kernarg_segment_align: 8
    .kernarg_segment_size: 88
    .language:       OpenCL C
    .language_version:
      - 2
      - 0
    .max_flat_workgroup_size: 256
    .name:           _ZN7rocprim17ROCPRIM_400000_NS6detail17trampoline_kernelINS0_14default_configENS1_22reduce_config_selectorIN6thrust23THRUST_200600_302600_NS5tupleIblNS6_9null_typeES8_S8_S8_S8_S8_S8_S8_EEEEZNS1_11reduce_implILb1ES3_NS6_12zip_iteratorINS7_INS6_11hip_rocprim26transform_input_iterator_tIbNSD_35transform_pair_of_input_iterators_tIbNS6_6detail15normal_iteratorINS6_10device_ptrIKiEEEESL_NS6_8equal_toIiEEEENSG_9not_fun_tINSD_8identityEEEEENSD_19counting_iterator_tIlEES8_S8_S8_S8_S8_S8_S8_S8_EEEEPS9_S9_NSD_9__find_if7functorIS9_EEEE10hipError_tPvRmT1_T2_T3_mT4_P12ihipStream_tbEUlT_E1_NS1_11comp_targetILNS1_3genE5ELNS1_11target_archE942ELNS1_3gpuE9ELNS1_3repE0EEENS1_30default_config_static_selectorELNS0_4arch9wavefront6targetE0EEEvS14_
    .private_segment_fixed_size: 0
    .sgpr_count:     0
    .sgpr_spill_count: 0
    .symbol:         _ZN7rocprim17ROCPRIM_400000_NS6detail17trampoline_kernelINS0_14default_configENS1_22reduce_config_selectorIN6thrust23THRUST_200600_302600_NS5tupleIblNS6_9null_typeES8_S8_S8_S8_S8_S8_S8_EEEEZNS1_11reduce_implILb1ES3_NS6_12zip_iteratorINS7_INS6_11hip_rocprim26transform_input_iterator_tIbNSD_35transform_pair_of_input_iterators_tIbNS6_6detail15normal_iteratorINS6_10device_ptrIKiEEEESL_NS6_8equal_toIiEEEENSG_9not_fun_tINSD_8identityEEEEENSD_19counting_iterator_tIlEES8_S8_S8_S8_S8_S8_S8_S8_EEEEPS9_S9_NSD_9__find_if7functorIS9_EEEE10hipError_tPvRmT1_T2_T3_mT4_P12ihipStream_tbEUlT_E1_NS1_11comp_targetILNS1_3genE5ELNS1_11target_archE942ELNS1_3gpuE9ELNS1_3repE0EEENS1_30default_config_static_selectorELNS0_4arch9wavefront6targetE0EEEvS14_.kd
    .uniform_work_group_size: 1
    .uses_dynamic_stack: false
    .vgpr_count:     0
    .vgpr_spill_count: 0
    .wavefront_size: 32
    .workgroup_processor_mode: 1
  - .args:
      - .offset:         0
        .size:           88
        .value_kind:     by_value
    .group_segment_fixed_size: 0
    .kernarg_segment_align: 8
    .kernarg_segment_size: 88
    .language:       OpenCL C
    .language_version:
      - 2
      - 0
    .max_flat_workgroup_size: 256
    .name:           _ZN7rocprim17ROCPRIM_400000_NS6detail17trampoline_kernelINS0_14default_configENS1_22reduce_config_selectorIN6thrust23THRUST_200600_302600_NS5tupleIblNS6_9null_typeES8_S8_S8_S8_S8_S8_S8_EEEEZNS1_11reduce_implILb1ES3_NS6_12zip_iteratorINS7_INS6_11hip_rocprim26transform_input_iterator_tIbNSD_35transform_pair_of_input_iterators_tIbNS6_6detail15normal_iteratorINS6_10device_ptrIKiEEEESL_NS6_8equal_toIiEEEENSG_9not_fun_tINSD_8identityEEEEENSD_19counting_iterator_tIlEES8_S8_S8_S8_S8_S8_S8_S8_EEEEPS9_S9_NSD_9__find_if7functorIS9_EEEE10hipError_tPvRmT1_T2_T3_mT4_P12ihipStream_tbEUlT_E1_NS1_11comp_targetILNS1_3genE4ELNS1_11target_archE910ELNS1_3gpuE8ELNS1_3repE0EEENS1_30default_config_static_selectorELNS0_4arch9wavefront6targetE0EEEvS14_
    .private_segment_fixed_size: 0
    .sgpr_count:     0
    .sgpr_spill_count: 0
    .symbol:         _ZN7rocprim17ROCPRIM_400000_NS6detail17trampoline_kernelINS0_14default_configENS1_22reduce_config_selectorIN6thrust23THRUST_200600_302600_NS5tupleIblNS6_9null_typeES8_S8_S8_S8_S8_S8_S8_EEEEZNS1_11reduce_implILb1ES3_NS6_12zip_iteratorINS7_INS6_11hip_rocprim26transform_input_iterator_tIbNSD_35transform_pair_of_input_iterators_tIbNS6_6detail15normal_iteratorINS6_10device_ptrIKiEEEESL_NS6_8equal_toIiEEEENSG_9not_fun_tINSD_8identityEEEEENSD_19counting_iterator_tIlEES8_S8_S8_S8_S8_S8_S8_S8_EEEEPS9_S9_NSD_9__find_if7functorIS9_EEEE10hipError_tPvRmT1_T2_T3_mT4_P12ihipStream_tbEUlT_E1_NS1_11comp_targetILNS1_3genE4ELNS1_11target_archE910ELNS1_3gpuE8ELNS1_3repE0EEENS1_30default_config_static_selectorELNS0_4arch9wavefront6targetE0EEEvS14_.kd
    .uniform_work_group_size: 1
    .uses_dynamic_stack: false
    .vgpr_count:     0
    .vgpr_spill_count: 0
    .wavefront_size: 32
    .workgroup_processor_mode: 1
  - .args:
      - .offset:         0
        .size:           88
        .value_kind:     by_value
    .group_segment_fixed_size: 0
    .kernarg_segment_align: 8
    .kernarg_segment_size: 88
    .language:       OpenCL C
    .language_version:
      - 2
      - 0
    .max_flat_workgroup_size: 128
    .name:           _ZN7rocprim17ROCPRIM_400000_NS6detail17trampoline_kernelINS0_14default_configENS1_22reduce_config_selectorIN6thrust23THRUST_200600_302600_NS5tupleIblNS6_9null_typeES8_S8_S8_S8_S8_S8_S8_EEEEZNS1_11reduce_implILb1ES3_NS6_12zip_iteratorINS7_INS6_11hip_rocprim26transform_input_iterator_tIbNSD_35transform_pair_of_input_iterators_tIbNS6_6detail15normal_iteratorINS6_10device_ptrIKiEEEESL_NS6_8equal_toIiEEEENSG_9not_fun_tINSD_8identityEEEEENSD_19counting_iterator_tIlEES8_S8_S8_S8_S8_S8_S8_S8_EEEEPS9_S9_NSD_9__find_if7functorIS9_EEEE10hipError_tPvRmT1_T2_T3_mT4_P12ihipStream_tbEUlT_E1_NS1_11comp_targetILNS1_3genE3ELNS1_11target_archE908ELNS1_3gpuE7ELNS1_3repE0EEENS1_30default_config_static_selectorELNS0_4arch9wavefront6targetE0EEEvS14_
    .private_segment_fixed_size: 0
    .sgpr_count:     0
    .sgpr_spill_count: 0
    .symbol:         _ZN7rocprim17ROCPRIM_400000_NS6detail17trampoline_kernelINS0_14default_configENS1_22reduce_config_selectorIN6thrust23THRUST_200600_302600_NS5tupleIblNS6_9null_typeES8_S8_S8_S8_S8_S8_S8_EEEEZNS1_11reduce_implILb1ES3_NS6_12zip_iteratorINS7_INS6_11hip_rocprim26transform_input_iterator_tIbNSD_35transform_pair_of_input_iterators_tIbNS6_6detail15normal_iteratorINS6_10device_ptrIKiEEEESL_NS6_8equal_toIiEEEENSG_9not_fun_tINSD_8identityEEEEENSD_19counting_iterator_tIlEES8_S8_S8_S8_S8_S8_S8_S8_EEEEPS9_S9_NSD_9__find_if7functorIS9_EEEE10hipError_tPvRmT1_T2_T3_mT4_P12ihipStream_tbEUlT_E1_NS1_11comp_targetILNS1_3genE3ELNS1_11target_archE908ELNS1_3gpuE7ELNS1_3repE0EEENS1_30default_config_static_selectorELNS0_4arch9wavefront6targetE0EEEvS14_.kd
    .uniform_work_group_size: 1
    .uses_dynamic_stack: false
    .vgpr_count:     0
    .vgpr_spill_count: 0
    .wavefront_size: 32
    .workgroup_processor_mode: 1
  - .args:
      - .offset:         0
        .size:           88
        .value_kind:     by_value
    .group_segment_fixed_size: 0
    .kernarg_segment_align: 8
    .kernarg_segment_size: 88
    .language:       OpenCL C
    .language_version:
      - 2
      - 0
    .max_flat_workgroup_size: 128
    .name:           _ZN7rocprim17ROCPRIM_400000_NS6detail17trampoline_kernelINS0_14default_configENS1_22reduce_config_selectorIN6thrust23THRUST_200600_302600_NS5tupleIblNS6_9null_typeES8_S8_S8_S8_S8_S8_S8_EEEEZNS1_11reduce_implILb1ES3_NS6_12zip_iteratorINS7_INS6_11hip_rocprim26transform_input_iterator_tIbNSD_35transform_pair_of_input_iterators_tIbNS6_6detail15normal_iteratorINS6_10device_ptrIKiEEEESL_NS6_8equal_toIiEEEENSG_9not_fun_tINSD_8identityEEEEENSD_19counting_iterator_tIlEES8_S8_S8_S8_S8_S8_S8_S8_EEEEPS9_S9_NSD_9__find_if7functorIS9_EEEE10hipError_tPvRmT1_T2_T3_mT4_P12ihipStream_tbEUlT_E1_NS1_11comp_targetILNS1_3genE2ELNS1_11target_archE906ELNS1_3gpuE6ELNS1_3repE0EEENS1_30default_config_static_selectorELNS0_4arch9wavefront6targetE0EEEvS14_
    .private_segment_fixed_size: 0
    .sgpr_count:     0
    .sgpr_spill_count: 0
    .symbol:         _ZN7rocprim17ROCPRIM_400000_NS6detail17trampoline_kernelINS0_14default_configENS1_22reduce_config_selectorIN6thrust23THRUST_200600_302600_NS5tupleIblNS6_9null_typeES8_S8_S8_S8_S8_S8_S8_EEEEZNS1_11reduce_implILb1ES3_NS6_12zip_iteratorINS7_INS6_11hip_rocprim26transform_input_iterator_tIbNSD_35transform_pair_of_input_iterators_tIbNS6_6detail15normal_iteratorINS6_10device_ptrIKiEEEESL_NS6_8equal_toIiEEEENSG_9not_fun_tINSD_8identityEEEEENSD_19counting_iterator_tIlEES8_S8_S8_S8_S8_S8_S8_S8_EEEEPS9_S9_NSD_9__find_if7functorIS9_EEEE10hipError_tPvRmT1_T2_T3_mT4_P12ihipStream_tbEUlT_E1_NS1_11comp_targetILNS1_3genE2ELNS1_11target_archE906ELNS1_3gpuE6ELNS1_3repE0EEENS1_30default_config_static_selectorELNS0_4arch9wavefront6targetE0EEEvS14_.kd
    .uniform_work_group_size: 1
    .uses_dynamic_stack: false
    .vgpr_count:     0
    .vgpr_spill_count: 0
    .wavefront_size: 32
    .workgroup_processor_mode: 1
  - .args:
      - .offset:         0
        .size:           88
        .value_kind:     by_value
    .group_segment_fixed_size: 0
    .kernarg_segment_align: 8
    .kernarg_segment_size: 88
    .language:       OpenCL C
    .language_version:
      - 2
      - 0
    .max_flat_workgroup_size: 256
    .name:           _ZN7rocprim17ROCPRIM_400000_NS6detail17trampoline_kernelINS0_14default_configENS1_22reduce_config_selectorIN6thrust23THRUST_200600_302600_NS5tupleIblNS6_9null_typeES8_S8_S8_S8_S8_S8_S8_EEEEZNS1_11reduce_implILb1ES3_NS6_12zip_iteratorINS7_INS6_11hip_rocprim26transform_input_iterator_tIbNSD_35transform_pair_of_input_iterators_tIbNS6_6detail15normal_iteratorINS6_10device_ptrIKiEEEESL_NS6_8equal_toIiEEEENSG_9not_fun_tINSD_8identityEEEEENSD_19counting_iterator_tIlEES8_S8_S8_S8_S8_S8_S8_S8_EEEEPS9_S9_NSD_9__find_if7functorIS9_EEEE10hipError_tPvRmT1_T2_T3_mT4_P12ihipStream_tbEUlT_E1_NS1_11comp_targetILNS1_3genE10ELNS1_11target_archE1201ELNS1_3gpuE5ELNS1_3repE0EEENS1_30default_config_static_selectorELNS0_4arch9wavefront6targetE0EEEvS14_
    .private_segment_fixed_size: 0
    .sgpr_count:     0
    .sgpr_spill_count: 0
    .symbol:         _ZN7rocprim17ROCPRIM_400000_NS6detail17trampoline_kernelINS0_14default_configENS1_22reduce_config_selectorIN6thrust23THRUST_200600_302600_NS5tupleIblNS6_9null_typeES8_S8_S8_S8_S8_S8_S8_EEEEZNS1_11reduce_implILb1ES3_NS6_12zip_iteratorINS7_INS6_11hip_rocprim26transform_input_iterator_tIbNSD_35transform_pair_of_input_iterators_tIbNS6_6detail15normal_iteratorINS6_10device_ptrIKiEEEESL_NS6_8equal_toIiEEEENSG_9not_fun_tINSD_8identityEEEEENSD_19counting_iterator_tIlEES8_S8_S8_S8_S8_S8_S8_S8_EEEEPS9_S9_NSD_9__find_if7functorIS9_EEEE10hipError_tPvRmT1_T2_T3_mT4_P12ihipStream_tbEUlT_E1_NS1_11comp_targetILNS1_3genE10ELNS1_11target_archE1201ELNS1_3gpuE5ELNS1_3repE0EEENS1_30default_config_static_selectorELNS0_4arch9wavefront6targetE0EEEvS14_.kd
    .uniform_work_group_size: 1
    .uses_dynamic_stack: false
    .vgpr_count:     0
    .vgpr_spill_count: 0
    .wavefront_size: 32
    .workgroup_processor_mode: 1
  - .args:
      - .offset:         0
        .size:           88
        .value_kind:     by_value
    .group_segment_fixed_size: 0
    .kernarg_segment_align: 8
    .kernarg_segment_size: 88
    .language:       OpenCL C
    .language_version:
      - 2
      - 0
    .max_flat_workgroup_size: 256
    .name:           _ZN7rocprim17ROCPRIM_400000_NS6detail17trampoline_kernelINS0_14default_configENS1_22reduce_config_selectorIN6thrust23THRUST_200600_302600_NS5tupleIblNS6_9null_typeES8_S8_S8_S8_S8_S8_S8_EEEEZNS1_11reduce_implILb1ES3_NS6_12zip_iteratorINS7_INS6_11hip_rocprim26transform_input_iterator_tIbNSD_35transform_pair_of_input_iterators_tIbNS6_6detail15normal_iteratorINS6_10device_ptrIKiEEEESL_NS6_8equal_toIiEEEENSG_9not_fun_tINSD_8identityEEEEENSD_19counting_iterator_tIlEES8_S8_S8_S8_S8_S8_S8_S8_EEEEPS9_S9_NSD_9__find_if7functorIS9_EEEE10hipError_tPvRmT1_T2_T3_mT4_P12ihipStream_tbEUlT_E1_NS1_11comp_targetILNS1_3genE10ELNS1_11target_archE1200ELNS1_3gpuE4ELNS1_3repE0EEENS1_30default_config_static_selectorELNS0_4arch9wavefront6targetE0EEEvS14_
    .private_segment_fixed_size: 0
    .sgpr_count:     0
    .sgpr_spill_count: 0
    .symbol:         _ZN7rocprim17ROCPRIM_400000_NS6detail17trampoline_kernelINS0_14default_configENS1_22reduce_config_selectorIN6thrust23THRUST_200600_302600_NS5tupleIblNS6_9null_typeES8_S8_S8_S8_S8_S8_S8_EEEEZNS1_11reduce_implILb1ES3_NS6_12zip_iteratorINS7_INS6_11hip_rocprim26transform_input_iterator_tIbNSD_35transform_pair_of_input_iterators_tIbNS6_6detail15normal_iteratorINS6_10device_ptrIKiEEEESL_NS6_8equal_toIiEEEENSG_9not_fun_tINSD_8identityEEEEENSD_19counting_iterator_tIlEES8_S8_S8_S8_S8_S8_S8_S8_EEEEPS9_S9_NSD_9__find_if7functorIS9_EEEE10hipError_tPvRmT1_T2_T3_mT4_P12ihipStream_tbEUlT_E1_NS1_11comp_targetILNS1_3genE10ELNS1_11target_archE1200ELNS1_3gpuE4ELNS1_3repE0EEENS1_30default_config_static_selectorELNS0_4arch9wavefront6targetE0EEEvS14_.kd
    .uniform_work_group_size: 1
    .uses_dynamic_stack: false
    .vgpr_count:     0
    .vgpr_spill_count: 0
    .wavefront_size: 32
    .workgroup_processor_mode: 1
  - .args:
      - .offset:         0
        .size:           88
        .value_kind:     by_value
    .group_segment_fixed_size: 0
    .kernarg_segment_align: 8
    .kernarg_segment_size: 88
    .language:       OpenCL C
    .language_version:
      - 2
      - 0
    .max_flat_workgroup_size: 256
    .name:           _ZN7rocprim17ROCPRIM_400000_NS6detail17trampoline_kernelINS0_14default_configENS1_22reduce_config_selectorIN6thrust23THRUST_200600_302600_NS5tupleIblNS6_9null_typeES8_S8_S8_S8_S8_S8_S8_EEEEZNS1_11reduce_implILb1ES3_NS6_12zip_iteratorINS7_INS6_11hip_rocprim26transform_input_iterator_tIbNSD_35transform_pair_of_input_iterators_tIbNS6_6detail15normal_iteratorINS6_10device_ptrIKiEEEESL_NS6_8equal_toIiEEEENSG_9not_fun_tINSD_8identityEEEEENSD_19counting_iterator_tIlEES8_S8_S8_S8_S8_S8_S8_S8_EEEEPS9_S9_NSD_9__find_if7functorIS9_EEEE10hipError_tPvRmT1_T2_T3_mT4_P12ihipStream_tbEUlT_E1_NS1_11comp_targetILNS1_3genE9ELNS1_11target_archE1100ELNS1_3gpuE3ELNS1_3repE0EEENS1_30default_config_static_selectorELNS0_4arch9wavefront6targetE0EEEvS14_
    .private_segment_fixed_size: 0
    .sgpr_count:     0
    .sgpr_spill_count: 0
    .symbol:         _ZN7rocprim17ROCPRIM_400000_NS6detail17trampoline_kernelINS0_14default_configENS1_22reduce_config_selectorIN6thrust23THRUST_200600_302600_NS5tupleIblNS6_9null_typeES8_S8_S8_S8_S8_S8_S8_EEEEZNS1_11reduce_implILb1ES3_NS6_12zip_iteratorINS7_INS6_11hip_rocprim26transform_input_iterator_tIbNSD_35transform_pair_of_input_iterators_tIbNS6_6detail15normal_iteratorINS6_10device_ptrIKiEEEESL_NS6_8equal_toIiEEEENSG_9not_fun_tINSD_8identityEEEEENSD_19counting_iterator_tIlEES8_S8_S8_S8_S8_S8_S8_S8_EEEEPS9_S9_NSD_9__find_if7functorIS9_EEEE10hipError_tPvRmT1_T2_T3_mT4_P12ihipStream_tbEUlT_E1_NS1_11comp_targetILNS1_3genE9ELNS1_11target_archE1100ELNS1_3gpuE3ELNS1_3repE0EEENS1_30default_config_static_selectorELNS0_4arch9wavefront6targetE0EEEvS14_.kd
    .uniform_work_group_size: 1
    .uses_dynamic_stack: false
    .vgpr_count:     0
    .vgpr_spill_count: 0
    .wavefront_size: 32
    .workgroup_processor_mode: 1
  - .args:
      - .offset:         0
        .size:           88
        .value_kind:     by_value
    .group_segment_fixed_size: 640
    .kernarg_segment_align: 8
    .kernarg_segment_size: 88
    .language:       OpenCL C
    .language_version:
      - 2
      - 0
    .max_flat_workgroup_size: 256
    .name:           _ZN7rocprim17ROCPRIM_400000_NS6detail17trampoline_kernelINS0_14default_configENS1_22reduce_config_selectorIN6thrust23THRUST_200600_302600_NS5tupleIblNS6_9null_typeES8_S8_S8_S8_S8_S8_S8_EEEEZNS1_11reduce_implILb1ES3_NS6_12zip_iteratorINS7_INS6_11hip_rocprim26transform_input_iterator_tIbNSD_35transform_pair_of_input_iterators_tIbNS6_6detail15normal_iteratorINS6_10device_ptrIKiEEEESL_NS6_8equal_toIiEEEENSG_9not_fun_tINSD_8identityEEEEENSD_19counting_iterator_tIlEES8_S8_S8_S8_S8_S8_S8_S8_EEEEPS9_S9_NSD_9__find_if7functorIS9_EEEE10hipError_tPvRmT1_T2_T3_mT4_P12ihipStream_tbEUlT_E1_NS1_11comp_targetILNS1_3genE8ELNS1_11target_archE1030ELNS1_3gpuE2ELNS1_3repE0EEENS1_30default_config_static_selectorELNS0_4arch9wavefront6targetE0EEEvS14_
    .private_segment_fixed_size: 0
    .sgpr_count:     34
    .sgpr_spill_count: 0
    .symbol:         _ZN7rocprim17ROCPRIM_400000_NS6detail17trampoline_kernelINS0_14default_configENS1_22reduce_config_selectorIN6thrust23THRUST_200600_302600_NS5tupleIblNS6_9null_typeES8_S8_S8_S8_S8_S8_S8_EEEEZNS1_11reduce_implILb1ES3_NS6_12zip_iteratorINS7_INS6_11hip_rocprim26transform_input_iterator_tIbNSD_35transform_pair_of_input_iterators_tIbNS6_6detail15normal_iteratorINS6_10device_ptrIKiEEEESL_NS6_8equal_toIiEEEENSG_9not_fun_tINSD_8identityEEEEENSD_19counting_iterator_tIlEES8_S8_S8_S8_S8_S8_S8_S8_EEEEPS9_S9_NSD_9__find_if7functorIS9_EEEE10hipError_tPvRmT1_T2_T3_mT4_P12ihipStream_tbEUlT_E1_NS1_11comp_targetILNS1_3genE8ELNS1_11target_archE1030ELNS1_3gpuE2ELNS1_3repE0EEENS1_30default_config_static_selectorELNS0_4arch9wavefront6targetE0EEEvS14_.kd
    .uniform_work_group_size: 1
    .uses_dynamic_stack: false
    .vgpr_count:     27
    .vgpr_spill_count: 0
    .wavefront_size: 32
    .workgroup_processor_mode: 1
  - .args:
      - .offset:         0
        .size:           16
        .value_kind:     by_value
      - .offset:         16
        .size:           8
        .value_kind:     by_value
      - .offset:         24
        .size:           8
        .value_kind:     by_value
    .group_segment_fixed_size: 0
    .kernarg_segment_align: 8
    .kernarg_segment_size: 32
    .language:       OpenCL C
    .language_version:
      - 2
      - 0
    .max_flat_workgroup_size: 256
    .name:           _ZN6thrust23THRUST_200600_302600_NS11hip_rocprim14__parallel_for6kernelILj256ENS1_20__uninitialized_fill7functorINS0_10device_ptrIsEEsEEmLj1EEEvT0_T1_SA_
    .private_segment_fixed_size: 0
    .sgpr_count:     14
    .sgpr_spill_count: 0
    .symbol:         _ZN6thrust23THRUST_200600_302600_NS11hip_rocprim14__parallel_for6kernelILj256ENS1_20__uninitialized_fill7functorINS0_10device_ptrIsEEsEEmLj1EEEvT0_T1_SA_.kd
    .uniform_work_group_size: 1
    .uses_dynamic_stack: false
    .vgpr_count:     4
    .vgpr_spill_count: 0
    .wavefront_size: 32
    .workgroup_processor_mode: 1
  - .args:
      - .offset:         0
        .size:           64
        .value_kind:     by_value
    .group_segment_fixed_size: 0
    .kernarg_segment_align: 8
    .kernarg_segment_size: 64
    .language:       OpenCL C
    .language_version:
      - 2
      - 0
    .max_flat_workgroup_size: 256
    .name:           _ZN7rocprim17ROCPRIM_400000_NS6detail17trampoline_kernelINS0_14default_configENS1_21merge_config_selectorINS0_5tupleIJssEEENS0_10empty_typeEEEZNS1_10merge_implIS3_NS0_12zip_iteratorINS5_IJN6thrust23THRUST_200600_302600_NS6detail15normal_iteratorINSC_10device_ptrIKsEEEESI_EEEEESK_NSA_INS5_IJNSE_INSF_IsEEEESM_EEEEEPS7_SP_SP_NSC_11hip_rocprim7__merge17predicate_wrapperIssNSC_4lessIsEEEEEE10hipError_tPvRmT0_T1_T2_T3_T4_T5_mmT6_P12ihipStream_tbEUlT_E_NS1_11comp_targetILNS1_3genE0ELNS1_11target_archE4294967295ELNS1_3gpuE0ELNS1_3repE0EEENS1_30default_config_static_selectorELNS0_4arch9wavefront6targetE0EEEvS10_
    .private_segment_fixed_size: 0
    .sgpr_count:     0
    .sgpr_spill_count: 0
    .symbol:         _ZN7rocprim17ROCPRIM_400000_NS6detail17trampoline_kernelINS0_14default_configENS1_21merge_config_selectorINS0_5tupleIJssEEENS0_10empty_typeEEEZNS1_10merge_implIS3_NS0_12zip_iteratorINS5_IJN6thrust23THRUST_200600_302600_NS6detail15normal_iteratorINSC_10device_ptrIKsEEEESI_EEEEESK_NSA_INS5_IJNSE_INSF_IsEEEESM_EEEEEPS7_SP_SP_NSC_11hip_rocprim7__merge17predicate_wrapperIssNSC_4lessIsEEEEEE10hipError_tPvRmT0_T1_T2_T3_T4_T5_mmT6_P12ihipStream_tbEUlT_E_NS1_11comp_targetILNS1_3genE0ELNS1_11target_archE4294967295ELNS1_3gpuE0ELNS1_3repE0EEENS1_30default_config_static_selectorELNS0_4arch9wavefront6targetE0EEEvS10_.kd
    .uniform_work_group_size: 1
    .uses_dynamic_stack: false
    .vgpr_count:     0
    .vgpr_spill_count: 0
    .wavefront_size: 32
    .workgroup_processor_mode: 1
  - .args:
      - .offset:         0
        .size:           64
        .value_kind:     by_value
    .group_segment_fixed_size: 0
    .kernarg_segment_align: 8
    .kernarg_segment_size: 64
    .language:       OpenCL C
    .language_version:
      - 2
      - 0
    .max_flat_workgroup_size: 256
    .name:           _ZN7rocprim17ROCPRIM_400000_NS6detail17trampoline_kernelINS0_14default_configENS1_21merge_config_selectorINS0_5tupleIJssEEENS0_10empty_typeEEEZNS1_10merge_implIS3_NS0_12zip_iteratorINS5_IJN6thrust23THRUST_200600_302600_NS6detail15normal_iteratorINSC_10device_ptrIKsEEEESI_EEEEESK_NSA_INS5_IJNSE_INSF_IsEEEESM_EEEEEPS7_SP_SP_NSC_11hip_rocprim7__merge17predicate_wrapperIssNSC_4lessIsEEEEEE10hipError_tPvRmT0_T1_T2_T3_T4_T5_mmT6_P12ihipStream_tbEUlT_E_NS1_11comp_targetILNS1_3genE5ELNS1_11target_archE942ELNS1_3gpuE9ELNS1_3repE0EEENS1_30default_config_static_selectorELNS0_4arch9wavefront6targetE0EEEvS10_
    .private_segment_fixed_size: 0
    .sgpr_count:     0
    .sgpr_spill_count: 0
    .symbol:         _ZN7rocprim17ROCPRIM_400000_NS6detail17trampoline_kernelINS0_14default_configENS1_21merge_config_selectorINS0_5tupleIJssEEENS0_10empty_typeEEEZNS1_10merge_implIS3_NS0_12zip_iteratorINS5_IJN6thrust23THRUST_200600_302600_NS6detail15normal_iteratorINSC_10device_ptrIKsEEEESI_EEEEESK_NSA_INS5_IJNSE_INSF_IsEEEESM_EEEEEPS7_SP_SP_NSC_11hip_rocprim7__merge17predicate_wrapperIssNSC_4lessIsEEEEEE10hipError_tPvRmT0_T1_T2_T3_T4_T5_mmT6_P12ihipStream_tbEUlT_E_NS1_11comp_targetILNS1_3genE5ELNS1_11target_archE942ELNS1_3gpuE9ELNS1_3repE0EEENS1_30default_config_static_selectorELNS0_4arch9wavefront6targetE0EEEvS10_.kd
    .uniform_work_group_size: 1
    .uses_dynamic_stack: false
    .vgpr_count:     0
    .vgpr_spill_count: 0
    .wavefront_size: 32
    .workgroup_processor_mode: 1
  - .args:
      - .offset:         0
        .size:           64
        .value_kind:     by_value
    .group_segment_fixed_size: 0
    .kernarg_segment_align: 8
    .kernarg_segment_size: 64
    .language:       OpenCL C
    .language_version:
      - 2
      - 0
    .max_flat_workgroup_size: 256
    .name:           _ZN7rocprim17ROCPRIM_400000_NS6detail17trampoline_kernelINS0_14default_configENS1_21merge_config_selectorINS0_5tupleIJssEEENS0_10empty_typeEEEZNS1_10merge_implIS3_NS0_12zip_iteratorINS5_IJN6thrust23THRUST_200600_302600_NS6detail15normal_iteratorINSC_10device_ptrIKsEEEESI_EEEEESK_NSA_INS5_IJNSE_INSF_IsEEEESM_EEEEEPS7_SP_SP_NSC_11hip_rocprim7__merge17predicate_wrapperIssNSC_4lessIsEEEEEE10hipError_tPvRmT0_T1_T2_T3_T4_T5_mmT6_P12ihipStream_tbEUlT_E_NS1_11comp_targetILNS1_3genE4ELNS1_11target_archE910ELNS1_3gpuE8ELNS1_3repE0EEENS1_30default_config_static_selectorELNS0_4arch9wavefront6targetE0EEEvS10_
    .private_segment_fixed_size: 0
    .sgpr_count:     0
    .sgpr_spill_count: 0
    .symbol:         _ZN7rocprim17ROCPRIM_400000_NS6detail17trampoline_kernelINS0_14default_configENS1_21merge_config_selectorINS0_5tupleIJssEEENS0_10empty_typeEEEZNS1_10merge_implIS3_NS0_12zip_iteratorINS5_IJN6thrust23THRUST_200600_302600_NS6detail15normal_iteratorINSC_10device_ptrIKsEEEESI_EEEEESK_NSA_INS5_IJNSE_INSF_IsEEEESM_EEEEEPS7_SP_SP_NSC_11hip_rocprim7__merge17predicate_wrapperIssNSC_4lessIsEEEEEE10hipError_tPvRmT0_T1_T2_T3_T4_T5_mmT6_P12ihipStream_tbEUlT_E_NS1_11comp_targetILNS1_3genE4ELNS1_11target_archE910ELNS1_3gpuE8ELNS1_3repE0EEENS1_30default_config_static_selectorELNS0_4arch9wavefront6targetE0EEEvS10_.kd
    .uniform_work_group_size: 1
    .uses_dynamic_stack: false
    .vgpr_count:     0
    .vgpr_spill_count: 0
    .wavefront_size: 32
    .workgroup_processor_mode: 1
  - .args:
      - .offset:         0
        .size:           64
        .value_kind:     by_value
    .group_segment_fixed_size: 0
    .kernarg_segment_align: 8
    .kernarg_segment_size: 64
    .language:       OpenCL C
    .language_version:
      - 2
      - 0
    .max_flat_workgroup_size: 256
    .name:           _ZN7rocprim17ROCPRIM_400000_NS6detail17trampoline_kernelINS0_14default_configENS1_21merge_config_selectorINS0_5tupleIJssEEENS0_10empty_typeEEEZNS1_10merge_implIS3_NS0_12zip_iteratorINS5_IJN6thrust23THRUST_200600_302600_NS6detail15normal_iteratorINSC_10device_ptrIKsEEEESI_EEEEESK_NSA_INS5_IJNSE_INSF_IsEEEESM_EEEEEPS7_SP_SP_NSC_11hip_rocprim7__merge17predicate_wrapperIssNSC_4lessIsEEEEEE10hipError_tPvRmT0_T1_T2_T3_T4_T5_mmT6_P12ihipStream_tbEUlT_E_NS1_11comp_targetILNS1_3genE3ELNS1_11target_archE908ELNS1_3gpuE7ELNS1_3repE0EEENS1_30default_config_static_selectorELNS0_4arch9wavefront6targetE0EEEvS10_
    .private_segment_fixed_size: 0
    .sgpr_count:     0
    .sgpr_spill_count: 0
    .symbol:         _ZN7rocprim17ROCPRIM_400000_NS6detail17trampoline_kernelINS0_14default_configENS1_21merge_config_selectorINS0_5tupleIJssEEENS0_10empty_typeEEEZNS1_10merge_implIS3_NS0_12zip_iteratorINS5_IJN6thrust23THRUST_200600_302600_NS6detail15normal_iteratorINSC_10device_ptrIKsEEEESI_EEEEESK_NSA_INS5_IJNSE_INSF_IsEEEESM_EEEEEPS7_SP_SP_NSC_11hip_rocprim7__merge17predicate_wrapperIssNSC_4lessIsEEEEEE10hipError_tPvRmT0_T1_T2_T3_T4_T5_mmT6_P12ihipStream_tbEUlT_E_NS1_11comp_targetILNS1_3genE3ELNS1_11target_archE908ELNS1_3gpuE7ELNS1_3repE0EEENS1_30default_config_static_selectorELNS0_4arch9wavefront6targetE0EEEvS10_.kd
    .uniform_work_group_size: 1
    .uses_dynamic_stack: false
    .vgpr_count:     0
    .vgpr_spill_count: 0
    .wavefront_size: 32
    .workgroup_processor_mode: 1
  - .args:
      - .offset:         0
        .size:           64
        .value_kind:     by_value
    .group_segment_fixed_size: 0
    .kernarg_segment_align: 8
    .kernarg_segment_size: 64
    .language:       OpenCL C
    .language_version:
      - 2
      - 0
    .max_flat_workgroup_size: 256
    .name:           _ZN7rocprim17ROCPRIM_400000_NS6detail17trampoline_kernelINS0_14default_configENS1_21merge_config_selectorINS0_5tupleIJssEEENS0_10empty_typeEEEZNS1_10merge_implIS3_NS0_12zip_iteratorINS5_IJN6thrust23THRUST_200600_302600_NS6detail15normal_iteratorINSC_10device_ptrIKsEEEESI_EEEEESK_NSA_INS5_IJNSE_INSF_IsEEEESM_EEEEEPS7_SP_SP_NSC_11hip_rocprim7__merge17predicate_wrapperIssNSC_4lessIsEEEEEE10hipError_tPvRmT0_T1_T2_T3_T4_T5_mmT6_P12ihipStream_tbEUlT_E_NS1_11comp_targetILNS1_3genE2ELNS1_11target_archE906ELNS1_3gpuE6ELNS1_3repE0EEENS1_30default_config_static_selectorELNS0_4arch9wavefront6targetE0EEEvS10_
    .private_segment_fixed_size: 0
    .sgpr_count:     0
    .sgpr_spill_count: 0
    .symbol:         _ZN7rocprim17ROCPRIM_400000_NS6detail17trampoline_kernelINS0_14default_configENS1_21merge_config_selectorINS0_5tupleIJssEEENS0_10empty_typeEEEZNS1_10merge_implIS3_NS0_12zip_iteratorINS5_IJN6thrust23THRUST_200600_302600_NS6detail15normal_iteratorINSC_10device_ptrIKsEEEESI_EEEEESK_NSA_INS5_IJNSE_INSF_IsEEEESM_EEEEEPS7_SP_SP_NSC_11hip_rocprim7__merge17predicate_wrapperIssNSC_4lessIsEEEEEE10hipError_tPvRmT0_T1_T2_T3_T4_T5_mmT6_P12ihipStream_tbEUlT_E_NS1_11comp_targetILNS1_3genE2ELNS1_11target_archE906ELNS1_3gpuE6ELNS1_3repE0EEENS1_30default_config_static_selectorELNS0_4arch9wavefront6targetE0EEEvS10_.kd
    .uniform_work_group_size: 1
    .uses_dynamic_stack: false
    .vgpr_count:     0
    .vgpr_spill_count: 0
    .wavefront_size: 32
    .workgroup_processor_mode: 1
  - .args:
      - .offset:         0
        .size:           64
        .value_kind:     by_value
    .group_segment_fixed_size: 0
    .kernarg_segment_align: 8
    .kernarg_segment_size: 64
    .language:       OpenCL C
    .language_version:
      - 2
      - 0
    .max_flat_workgroup_size: 1024
    .name:           _ZN7rocprim17ROCPRIM_400000_NS6detail17trampoline_kernelINS0_14default_configENS1_21merge_config_selectorINS0_5tupleIJssEEENS0_10empty_typeEEEZNS1_10merge_implIS3_NS0_12zip_iteratorINS5_IJN6thrust23THRUST_200600_302600_NS6detail15normal_iteratorINSC_10device_ptrIKsEEEESI_EEEEESK_NSA_INS5_IJNSE_INSF_IsEEEESM_EEEEEPS7_SP_SP_NSC_11hip_rocprim7__merge17predicate_wrapperIssNSC_4lessIsEEEEEE10hipError_tPvRmT0_T1_T2_T3_T4_T5_mmT6_P12ihipStream_tbEUlT_E_NS1_11comp_targetILNS1_3genE10ELNS1_11target_archE1201ELNS1_3gpuE5ELNS1_3repE0EEENS1_30default_config_static_selectorELNS0_4arch9wavefront6targetE0EEEvS10_
    .private_segment_fixed_size: 0
    .sgpr_count:     0
    .sgpr_spill_count: 0
    .symbol:         _ZN7rocprim17ROCPRIM_400000_NS6detail17trampoline_kernelINS0_14default_configENS1_21merge_config_selectorINS0_5tupleIJssEEENS0_10empty_typeEEEZNS1_10merge_implIS3_NS0_12zip_iteratorINS5_IJN6thrust23THRUST_200600_302600_NS6detail15normal_iteratorINSC_10device_ptrIKsEEEESI_EEEEESK_NSA_INS5_IJNSE_INSF_IsEEEESM_EEEEEPS7_SP_SP_NSC_11hip_rocprim7__merge17predicate_wrapperIssNSC_4lessIsEEEEEE10hipError_tPvRmT0_T1_T2_T3_T4_T5_mmT6_P12ihipStream_tbEUlT_E_NS1_11comp_targetILNS1_3genE10ELNS1_11target_archE1201ELNS1_3gpuE5ELNS1_3repE0EEENS1_30default_config_static_selectorELNS0_4arch9wavefront6targetE0EEEvS10_.kd
    .uniform_work_group_size: 1
    .uses_dynamic_stack: false
    .vgpr_count:     0
    .vgpr_spill_count: 0
    .wavefront_size: 32
    .workgroup_processor_mode: 1
  - .args:
      - .offset:         0
        .size:           64
        .value_kind:     by_value
    .group_segment_fixed_size: 0
    .kernarg_segment_align: 8
    .kernarg_segment_size: 64
    .language:       OpenCL C
    .language_version:
      - 2
      - 0
    .max_flat_workgroup_size: 1024
    .name:           _ZN7rocprim17ROCPRIM_400000_NS6detail17trampoline_kernelINS0_14default_configENS1_21merge_config_selectorINS0_5tupleIJssEEENS0_10empty_typeEEEZNS1_10merge_implIS3_NS0_12zip_iteratorINS5_IJN6thrust23THRUST_200600_302600_NS6detail15normal_iteratorINSC_10device_ptrIKsEEEESI_EEEEESK_NSA_INS5_IJNSE_INSF_IsEEEESM_EEEEEPS7_SP_SP_NSC_11hip_rocprim7__merge17predicate_wrapperIssNSC_4lessIsEEEEEE10hipError_tPvRmT0_T1_T2_T3_T4_T5_mmT6_P12ihipStream_tbEUlT_E_NS1_11comp_targetILNS1_3genE10ELNS1_11target_archE1200ELNS1_3gpuE4ELNS1_3repE0EEENS1_30default_config_static_selectorELNS0_4arch9wavefront6targetE0EEEvS10_
    .private_segment_fixed_size: 0
    .sgpr_count:     0
    .sgpr_spill_count: 0
    .symbol:         _ZN7rocprim17ROCPRIM_400000_NS6detail17trampoline_kernelINS0_14default_configENS1_21merge_config_selectorINS0_5tupleIJssEEENS0_10empty_typeEEEZNS1_10merge_implIS3_NS0_12zip_iteratorINS5_IJN6thrust23THRUST_200600_302600_NS6detail15normal_iteratorINSC_10device_ptrIKsEEEESI_EEEEESK_NSA_INS5_IJNSE_INSF_IsEEEESM_EEEEEPS7_SP_SP_NSC_11hip_rocprim7__merge17predicate_wrapperIssNSC_4lessIsEEEEEE10hipError_tPvRmT0_T1_T2_T3_T4_T5_mmT6_P12ihipStream_tbEUlT_E_NS1_11comp_targetILNS1_3genE10ELNS1_11target_archE1200ELNS1_3gpuE4ELNS1_3repE0EEENS1_30default_config_static_selectorELNS0_4arch9wavefront6targetE0EEEvS10_.kd
    .uniform_work_group_size: 1
    .uses_dynamic_stack: false
    .vgpr_count:     0
    .vgpr_spill_count: 0
    .wavefront_size: 32
    .workgroup_processor_mode: 1
  - .args:
      - .offset:         0
        .size:           64
        .value_kind:     by_value
    .group_segment_fixed_size: 0
    .kernarg_segment_align: 8
    .kernarg_segment_size: 64
    .language:       OpenCL C
    .language_version:
      - 2
      - 0
    .max_flat_workgroup_size: 1024
    .name:           _ZN7rocprim17ROCPRIM_400000_NS6detail17trampoline_kernelINS0_14default_configENS1_21merge_config_selectorINS0_5tupleIJssEEENS0_10empty_typeEEEZNS1_10merge_implIS3_NS0_12zip_iteratorINS5_IJN6thrust23THRUST_200600_302600_NS6detail15normal_iteratorINSC_10device_ptrIKsEEEESI_EEEEESK_NSA_INS5_IJNSE_INSF_IsEEEESM_EEEEEPS7_SP_SP_NSC_11hip_rocprim7__merge17predicate_wrapperIssNSC_4lessIsEEEEEE10hipError_tPvRmT0_T1_T2_T3_T4_T5_mmT6_P12ihipStream_tbEUlT_E_NS1_11comp_targetILNS1_3genE9ELNS1_11target_archE1100ELNS1_3gpuE3ELNS1_3repE0EEENS1_30default_config_static_selectorELNS0_4arch9wavefront6targetE0EEEvS10_
    .private_segment_fixed_size: 0
    .sgpr_count:     0
    .sgpr_spill_count: 0
    .symbol:         _ZN7rocprim17ROCPRIM_400000_NS6detail17trampoline_kernelINS0_14default_configENS1_21merge_config_selectorINS0_5tupleIJssEEENS0_10empty_typeEEEZNS1_10merge_implIS3_NS0_12zip_iteratorINS5_IJN6thrust23THRUST_200600_302600_NS6detail15normal_iteratorINSC_10device_ptrIKsEEEESI_EEEEESK_NSA_INS5_IJNSE_INSF_IsEEEESM_EEEEEPS7_SP_SP_NSC_11hip_rocprim7__merge17predicate_wrapperIssNSC_4lessIsEEEEEE10hipError_tPvRmT0_T1_T2_T3_T4_T5_mmT6_P12ihipStream_tbEUlT_E_NS1_11comp_targetILNS1_3genE9ELNS1_11target_archE1100ELNS1_3gpuE3ELNS1_3repE0EEENS1_30default_config_static_selectorELNS0_4arch9wavefront6targetE0EEEvS10_.kd
    .uniform_work_group_size: 1
    .uses_dynamic_stack: false
    .vgpr_count:     0
    .vgpr_spill_count: 0
    .wavefront_size: 32
    .workgroup_processor_mode: 1
  - .args:
      - .offset:         0
        .size:           64
        .value_kind:     by_value
      - .offset:         64
        .size:           4
        .value_kind:     hidden_block_count_x
      - .offset:         68
        .size:           4
        .value_kind:     hidden_block_count_y
      - .offset:         72
        .size:           4
        .value_kind:     hidden_block_count_z
      - .offset:         76
        .size:           2
        .value_kind:     hidden_group_size_x
      - .offset:         78
        .size:           2
        .value_kind:     hidden_group_size_y
      - .offset:         80
        .size:           2
        .value_kind:     hidden_group_size_z
      - .offset:         82
        .size:           2
        .value_kind:     hidden_remainder_x
      - .offset:         84
        .size:           2
        .value_kind:     hidden_remainder_y
      - .offset:         86
        .size:           2
        .value_kind:     hidden_remainder_z
      - .offset:         104
        .size:           8
        .value_kind:     hidden_global_offset_x
      - .offset:         112
        .size:           8
        .value_kind:     hidden_global_offset_y
      - .offset:         120
        .size:           8
        .value_kind:     hidden_global_offset_z
      - .offset:         128
        .size:           2
        .value_kind:     hidden_grid_dims
    .group_segment_fixed_size: 0
    .kernarg_segment_align: 8
    .kernarg_segment_size: 320
    .language:       OpenCL C
    .language_version:
      - 2
      - 0
    .max_flat_workgroup_size: 1024
    .name:           _ZN7rocprim17ROCPRIM_400000_NS6detail17trampoline_kernelINS0_14default_configENS1_21merge_config_selectorINS0_5tupleIJssEEENS0_10empty_typeEEEZNS1_10merge_implIS3_NS0_12zip_iteratorINS5_IJN6thrust23THRUST_200600_302600_NS6detail15normal_iteratorINSC_10device_ptrIKsEEEESI_EEEEESK_NSA_INS5_IJNSE_INSF_IsEEEESM_EEEEEPS7_SP_SP_NSC_11hip_rocprim7__merge17predicate_wrapperIssNSC_4lessIsEEEEEE10hipError_tPvRmT0_T1_T2_T3_T4_T5_mmT6_P12ihipStream_tbEUlT_E_NS1_11comp_targetILNS1_3genE8ELNS1_11target_archE1030ELNS1_3gpuE2ELNS1_3repE0EEENS1_30default_config_static_selectorELNS0_4arch9wavefront6targetE0EEEvS10_
    .private_segment_fixed_size: 0
    .sgpr_count:     18
    .sgpr_spill_count: 0
    .symbol:         _ZN7rocprim17ROCPRIM_400000_NS6detail17trampoline_kernelINS0_14default_configENS1_21merge_config_selectorINS0_5tupleIJssEEENS0_10empty_typeEEEZNS1_10merge_implIS3_NS0_12zip_iteratorINS5_IJN6thrust23THRUST_200600_302600_NS6detail15normal_iteratorINSC_10device_ptrIKsEEEESI_EEEEESK_NSA_INS5_IJNSE_INSF_IsEEEESM_EEEEEPS7_SP_SP_NSC_11hip_rocprim7__merge17predicate_wrapperIssNSC_4lessIsEEEEEE10hipError_tPvRmT0_T1_T2_T3_T4_T5_mmT6_P12ihipStream_tbEUlT_E_NS1_11comp_targetILNS1_3genE8ELNS1_11target_archE1030ELNS1_3gpuE2ELNS1_3repE0EEENS1_30default_config_static_selectorELNS0_4arch9wavefront6targetE0EEEvS10_.kd
    .uniform_work_group_size: 1
    .uses_dynamic_stack: false
    .vgpr_count:     13
    .vgpr_spill_count: 0
    .wavefront_size: 32
    .workgroup_processor_mode: 1
  - .args:
      - .offset:         0
        .size:           112
        .value_kind:     by_value
    .group_segment_fixed_size: 0
    .kernarg_segment_align: 8
    .kernarg_segment_size: 112
    .language:       OpenCL C
    .language_version:
      - 2
      - 0
    .max_flat_workgroup_size: 256
    .name:           _ZN7rocprim17ROCPRIM_400000_NS6detail17trampoline_kernelINS0_14default_configENS1_21merge_config_selectorINS0_5tupleIJssEEENS0_10empty_typeEEEZNS1_10merge_implIS3_NS0_12zip_iteratorINS5_IJN6thrust23THRUST_200600_302600_NS6detail15normal_iteratorINSC_10device_ptrIKsEEEESI_EEEEESK_NSA_INS5_IJNSE_INSF_IsEEEESM_EEEEEPS7_SP_SP_NSC_11hip_rocprim7__merge17predicate_wrapperIssNSC_4lessIsEEEEEE10hipError_tPvRmT0_T1_T2_T3_T4_T5_mmT6_P12ihipStream_tbEUlT_E0_NS1_11comp_targetILNS1_3genE0ELNS1_11target_archE4294967295ELNS1_3gpuE0ELNS1_3repE0EEENS1_30default_config_static_selectorELNS0_4arch9wavefront6targetE0EEEvS10_
    .private_segment_fixed_size: 0
    .sgpr_count:     0
    .sgpr_spill_count: 0
    .symbol:         _ZN7rocprim17ROCPRIM_400000_NS6detail17trampoline_kernelINS0_14default_configENS1_21merge_config_selectorINS0_5tupleIJssEEENS0_10empty_typeEEEZNS1_10merge_implIS3_NS0_12zip_iteratorINS5_IJN6thrust23THRUST_200600_302600_NS6detail15normal_iteratorINSC_10device_ptrIKsEEEESI_EEEEESK_NSA_INS5_IJNSE_INSF_IsEEEESM_EEEEEPS7_SP_SP_NSC_11hip_rocprim7__merge17predicate_wrapperIssNSC_4lessIsEEEEEE10hipError_tPvRmT0_T1_T2_T3_T4_T5_mmT6_P12ihipStream_tbEUlT_E0_NS1_11comp_targetILNS1_3genE0ELNS1_11target_archE4294967295ELNS1_3gpuE0ELNS1_3repE0EEENS1_30default_config_static_selectorELNS0_4arch9wavefront6targetE0EEEvS10_.kd
    .uniform_work_group_size: 1
    .uses_dynamic_stack: false
    .vgpr_count:     0
    .vgpr_spill_count: 0
    .wavefront_size: 32
    .workgroup_processor_mode: 1
  - .args:
      - .offset:         0
        .size:           112
        .value_kind:     by_value
    .group_segment_fixed_size: 0
    .kernarg_segment_align: 8
    .kernarg_segment_size: 112
    .language:       OpenCL C
    .language_version:
      - 2
      - 0
    .max_flat_workgroup_size: 256
    .name:           _ZN7rocprim17ROCPRIM_400000_NS6detail17trampoline_kernelINS0_14default_configENS1_21merge_config_selectorINS0_5tupleIJssEEENS0_10empty_typeEEEZNS1_10merge_implIS3_NS0_12zip_iteratorINS5_IJN6thrust23THRUST_200600_302600_NS6detail15normal_iteratorINSC_10device_ptrIKsEEEESI_EEEEESK_NSA_INS5_IJNSE_INSF_IsEEEESM_EEEEEPS7_SP_SP_NSC_11hip_rocprim7__merge17predicate_wrapperIssNSC_4lessIsEEEEEE10hipError_tPvRmT0_T1_T2_T3_T4_T5_mmT6_P12ihipStream_tbEUlT_E0_NS1_11comp_targetILNS1_3genE5ELNS1_11target_archE942ELNS1_3gpuE9ELNS1_3repE0EEENS1_30default_config_static_selectorELNS0_4arch9wavefront6targetE0EEEvS10_
    .private_segment_fixed_size: 0
    .sgpr_count:     0
    .sgpr_spill_count: 0
    .symbol:         _ZN7rocprim17ROCPRIM_400000_NS6detail17trampoline_kernelINS0_14default_configENS1_21merge_config_selectorINS0_5tupleIJssEEENS0_10empty_typeEEEZNS1_10merge_implIS3_NS0_12zip_iteratorINS5_IJN6thrust23THRUST_200600_302600_NS6detail15normal_iteratorINSC_10device_ptrIKsEEEESI_EEEEESK_NSA_INS5_IJNSE_INSF_IsEEEESM_EEEEEPS7_SP_SP_NSC_11hip_rocprim7__merge17predicate_wrapperIssNSC_4lessIsEEEEEE10hipError_tPvRmT0_T1_T2_T3_T4_T5_mmT6_P12ihipStream_tbEUlT_E0_NS1_11comp_targetILNS1_3genE5ELNS1_11target_archE942ELNS1_3gpuE9ELNS1_3repE0EEENS1_30default_config_static_selectorELNS0_4arch9wavefront6targetE0EEEvS10_.kd
    .uniform_work_group_size: 1
    .uses_dynamic_stack: false
    .vgpr_count:     0
    .vgpr_spill_count: 0
    .wavefront_size: 32
    .workgroup_processor_mode: 1
  - .args:
      - .offset:         0
        .size:           112
        .value_kind:     by_value
    .group_segment_fixed_size: 0
    .kernarg_segment_align: 8
    .kernarg_segment_size: 112
    .language:       OpenCL C
    .language_version:
      - 2
      - 0
    .max_flat_workgroup_size: 256
    .name:           _ZN7rocprim17ROCPRIM_400000_NS6detail17trampoline_kernelINS0_14default_configENS1_21merge_config_selectorINS0_5tupleIJssEEENS0_10empty_typeEEEZNS1_10merge_implIS3_NS0_12zip_iteratorINS5_IJN6thrust23THRUST_200600_302600_NS6detail15normal_iteratorINSC_10device_ptrIKsEEEESI_EEEEESK_NSA_INS5_IJNSE_INSF_IsEEEESM_EEEEEPS7_SP_SP_NSC_11hip_rocprim7__merge17predicate_wrapperIssNSC_4lessIsEEEEEE10hipError_tPvRmT0_T1_T2_T3_T4_T5_mmT6_P12ihipStream_tbEUlT_E0_NS1_11comp_targetILNS1_3genE4ELNS1_11target_archE910ELNS1_3gpuE8ELNS1_3repE0EEENS1_30default_config_static_selectorELNS0_4arch9wavefront6targetE0EEEvS10_
    .private_segment_fixed_size: 0
    .sgpr_count:     0
    .sgpr_spill_count: 0
    .symbol:         _ZN7rocprim17ROCPRIM_400000_NS6detail17trampoline_kernelINS0_14default_configENS1_21merge_config_selectorINS0_5tupleIJssEEENS0_10empty_typeEEEZNS1_10merge_implIS3_NS0_12zip_iteratorINS5_IJN6thrust23THRUST_200600_302600_NS6detail15normal_iteratorINSC_10device_ptrIKsEEEESI_EEEEESK_NSA_INS5_IJNSE_INSF_IsEEEESM_EEEEEPS7_SP_SP_NSC_11hip_rocprim7__merge17predicate_wrapperIssNSC_4lessIsEEEEEE10hipError_tPvRmT0_T1_T2_T3_T4_T5_mmT6_P12ihipStream_tbEUlT_E0_NS1_11comp_targetILNS1_3genE4ELNS1_11target_archE910ELNS1_3gpuE8ELNS1_3repE0EEENS1_30default_config_static_selectorELNS0_4arch9wavefront6targetE0EEEvS10_.kd
    .uniform_work_group_size: 1
    .uses_dynamic_stack: false
    .vgpr_count:     0
    .vgpr_spill_count: 0
    .wavefront_size: 32
    .workgroup_processor_mode: 1
  - .args:
      - .offset:         0
        .size:           112
        .value_kind:     by_value
    .group_segment_fixed_size: 0
    .kernarg_segment_align: 8
    .kernarg_segment_size: 112
    .language:       OpenCL C
    .language_version:
      - 2
      - 0
    .max_flat_workgroup_size: 256
    .name:           _ZN7rocprim17ROCPRIM_400000_NS6detail17trampoline_kernelINS0_14default_configENS1_21merge_config_selectorINS0_5tupleIJssEEENS0_10empty_typeEEEZNS1_10merge_implIS3_NS0_12zip_iteratorINS5_IJN6thrust23THRUST_200600_302600_NS6detail15normal_iteratorINSC_10device_ptrIKsEEEESI_EEEEESK_NSA_INS5_IJNSE_INSF_IsEEEESM_EEEEEPS7_SP_SP_NSC_11hip_rocprim7__merge17predicate_wrapperIssNSC_4lessIsEEEEEE10hipError_tPvRmT0_T1_T2_T3_T4_T5_mmT6_P12ihipStream_tbEUlT_E0_NS1_11comp_targetILNS1_3genE3ELNS1_11target_archE908ELNS1_3gpuE7ELNS1_3repE0EEENS1_30default_config_static_selectorELNS0_4arch9wavefront6targetE0EEEvS10_
    .private_segment_fixed_size: 0
    .sgpr_count:     0
    .sgpr_spill_count: 0
    .symbol:         _ZN7rocprim17ROCPRIM_400000_NS6detail17trampoline_kernelINS0_14default_configENS1_21merge_config_selectorINS0_5tupleIJssEEENS0_10empty_typeEEEZNS1_10merge_implIS3_NS0_12zip_iteratorINS5_IJN6thrust23THRUST_200600_302600_NS6detail15normal_iteratorINSC_10device_ptrIKsEEEESI_EEEEESK_NSA_INS5_IJNSE_INSF_IsEEEESM_EEEEEPS7_SP_SP_NSC_11hip_rocprim7__merge17predicate_wrapperIssNSC_4lessIsEEEEEE10hipError_tPvRmT0_T1_T2_T3_T4_T5_mmT6_P12ihipStream_tbEUlT_E0_NS1_11comp_targetILNS1_3genE3ELNS1_11target_archE908ELNS1_3gpuE7ELNS1_3repE0EEENS1_30default_config_static_selectorELNS0_4arch9wavefront6targetE0EEEvS10_.kd
    .uniform_work_group_size: 1
    .uses_dynamic_stack: false
    .vgpr_count:     0
    .vgpr_spill_count: 0
    .wavefront_size: 32
    .workgroup_processor_mode: 1
  - .args:
      - .offset:         0
        .size:           112
        .value_kind:     by_value
    .group_segment_fixed_size: 0
    .kernarg_segment_align: 8
    .kernarg_segment_size: 112
    .language:       OpenCL C
    .language_version:
      - 2
      - 0
    .max_flat_workgroup_size: 256
    .name:           _ZN7rocprim17ROCPRIM_400000_NS6detail17trampoline_kernelINS0_14default_configENS1_21merge_config_selectorINS0_5tupleIJssEEENS0_10empty_typeEEEZNS1_10merge_implIS3_NS0_12zip_iteratorINS5_IJN6thrust23THRUST_200600_302600_NS6detail15normal_iteratorINSC_10device_ptrIKsEEEESI_EEEEESK_NSA_INS5_IJNSE_INSF_IsEEEESM_EEEEEPS7_SP_SP_NSC_11hip_rocprim7__merge17predicate_wrapperIssNSC_4lessIsEEEEEE10hipError_tPvRmT0_T1_T2_T3_T4_T5_mmT6_P12ihipStream_tbEUlT_E0_NS1_11comp_targetILNS1_3genE2ELNS1_11target_archE906ELNS1_3gpuE6ELNS1_3repE0EEENS1_30default_config_static_selectorELNS0_4arch9wavefront6targetE0EEEvS10_
    .private_segment_fixed_size: 0
    .sgpr_count:     0
    .sgpr_spill_count: 0
    .symbol:         _ZN7rocprim17ROCPRIM_400000_NS6detail17trampoline_kernelINS0_14default_configENS1_21merge_config_selectorINS0_5tupleIJssEEENS0_10empty_typeEEEZNS1_10merge_implIS3_NS0_12zip_iteratorINS5_IJN6thrust23THRUST_200600_302600_NS6detail15normal_iteratorINSC_10device_ptrIKsEEEESI_EEEEESK_NSA_INS5_IJNSE_INSF_IsEEEESM_EEEEEPS7_SP_SP_NSC_11hip_rocprim7__merge17predicate_wrapperIssNSC_4lessIsEEEEEE10hipError_tPvRmT0_T1_T2_T3_T4_T5_mmT6_P12ihipStream_tbEUlT_E0_NS1_11comp_targetILNS1_3genE2ELNS1_11target_archE906ELNS1_3gpuE6ELNS1_3repE0EEENS1_30default_config_static_selectorELNS0_4arch9wavefront6targetE0EEEvS10_.kd
    .uniform_work_group_size: 1
    .uses_dynamic_stack: false
    .vgpr_count:     0
    .vgpr_spill_count: 0
    .wavefront_size: 32
    .workgroup_processor_mode: 1
  - .args:
      - .offset:         0
        .size:           112
        .value_kind:     by_value
    .group_segment_fixed_size: 0
    .kernarg_segment_align: 8
    .kernarg_segment_size: 112
    .language:       OpenCL C
    .language_version:
      - 2
      - 0
    .max_flat_workgroup_size: 1024
    .name:           _ZN7rocprim17ROCPRIM_400000_NS6detail17trampoline_kernelINS0_14default_configENS1_21merge_config_selectorINS0_5tupleIJssEEENS0_10empty_typeEEEZNS1_10merge_implIS3_NS0_12zip_iteratorINS5_IJN6thrust23THRUST_200600_302600_NS6detail15normal_iteratorINSC_10device_ptrIKsEEEESI_EEEEESK_NSA_INS5_IJNSE_INSF_IsEEEESM_EEEEEPS7_SP_SP_NSC_11hip_rocprim7__merge17predicate_wrapperIssNSC_4lessIsEEEEEE10hipError_tPvRmT0_T1_T2_T3_T4_T5_mmT6_P12ihipStream_tbEUlT_E0_NS1_11comp_targetILNS1_3genE10ELNS1_11target_archE1201ELNS1_3gpuE5ELNS1_3repE0EEENS1_30default_config_static_selectorELNS0_4arch9wavefront6targetE0EEEvS10_
    .private_segment_fixed_size: 0
    .sgpr_count:     0
    .sgpr_spill_count: 0
    .symbol:         _ZN7rocprim17ROCPRIM_400000_NS6detail17trampoline_kernelINS0_14default_configENS1_21merge_config_selectorINS0_5tupleIJssEEENS0_10empty_typeEEEZNS1_10merge_implIS3_NS0_12zip_iteratorINS5_IJN6thrust23THRUST_200600_302600_NS6detail15normal_iteratorINSC_10device_ptrIKsEEEESI_EEEEESK_NSA_INS5_IJNSE_INSF_IsEEEESM_EEEEEPS7_SP_SP_NSC_11hip_rocprim7__merge17predicate_wrapperIssNSC_4lessIsEEEEEE10hipError_tPvRmT0_T1_T2_T3_T4_T5_mmT6_P12ihipStream_tbEUlT_E0_NS1_11comp_targetILNS1_3genE10ELNS1_11target_archE1201ELNS1_3gpuE5ELNS1_3repE0EEENS1_30default_config_static_selectorELNS0_4arch9wavefront6targetE0EEEvS10_.kd
    .uniform_work_group_size: 1
    .uses_dynamic_stack: false
    .vgpr_count:     0
    .vgpr_spill_count: 0
    .wavefront_size: 32
    .workgroup_processor_mode: 1
  - .args:
      - .offset:         0
        .size:           112
        .value_kind:     by_value
    .group_segment_fixed_size: 0
    .kernarg_segment_align: 8
    .kernarg_segment_size: 112
    .language:       OpenCL C
    .language_version:
      - 2
      - 0
    .max_flat_workgroup_size: 1024
    .name:           _ZN7rocprim17ROCPRIM_400000_NS6detail17trampoline_kernelINS0_14default_configENS1_21merge_config_selectorINS0_5tupleIJssEEENS0_10empty_typeEEEZNS1_10merge_implIS3_NS0_12zip_iteratorINS5_IJN6thrust23THRUST_200600_302600_NS6detail15normal_iteratorINSC_10device_ptrIKsEEEESI_EEEEESK_NSA_INS5_IJNSE_INSF_IsEEEESM_EEEEEPS7_SP_SP_NSC_11hip_rocprim7__merge17predicate_wrapperIssNSC_4lessIsEEEEEE10hipError_tPvRmT0_T1_T2_T3_T4_T5_mmT6_P12ihipStream_tbEUlT_E0_NS1_11comp_targetILNS1_3genE10ELNS1_11target_archE1200ELNS1_3gpuE4ELNS1_3repE0EEENS1_30default_config_static_selectorELNS0_4arch9wavefront6targetE0EEEvS10_
    .private_segment_fixed_size: 0
    .sgpr_count:     0
    .sgpr_spill_count: 0
    .symbol:         _ZN7rocprim17ROCPRIM_400000_NS6detail17trampoline_kernelINS0_14default_configENS1_21merge_config_selectorINS0_5tupleIJssEEENS0_10empty_typeEEEZNS1_10merge_implIS3_NS0_12zip_iteratorINS5_IJN6thrust23THRUST_200600_302600_NS6detail15normal_iteratorINSC_10device_ptrIKsEEEESI_EEEEESK_NSA_INS5_IJNSE_INSF_IsEEEESM_EEEEEPS7_SP_SP_NSC_11hip_rocprim7__merge17predicate_wrapperIssNSC_4lessIsEEEEEE10hipError_tPvRmT0_T1_T2_T3_T4_T5_mmT6_P12ihipStream_tbEUlT_E0_NS1_11comp_targetILNS1_3genE10ELNS1_11target_archE1200ELNS1_3gpuE4ELNS1_3repE0EEENS1_30default_config_static_selectorELNS0_4arch9wavefront6targetE0EEEvS10_.kd
    .uniform_work_group_size: 1
    .uses_dynamic_stack: false
    .vgpr_count:     0
    .vgpr_spill_count: 0
    .wavefront_size: 32
    .workgroup_processor_mode: 1
  - .args:
      - .offset:         0
        .size:           112
        .value_kind:     by_value
    .group_segment_fixed_size: 0
    .kernarg_segment_align: 8
    .kernarg_segment_size: 112
    .language:       OpenCL C
    .language_version:
      - 2
      - 0
    .max_flat_workgroup_size: 1024
    .name:           _ZN7rocprim17ROCPRIM_400000_NS6detail17trampoline_kernelINS0_14default_configENS1_21merge_config_selectorINS0_5tupleIJssEEENS0_10empty_typeEEEZNS1_10merge_implIS3_NS0_12zip_iteratorINS5_IJN6thrust23THRUST_200600_302600_NS6detail15normal_iteratorINSC_10device_ptrIKsEEEESI_EEEEESK_NSA_INS5_IJNSE_INSF_IsEEEESM_EEEEEPS7_SP_SP_NSC_11hip_rocprim7__merge17predicate_wrapperIssNSC_4lessIsEEEEEE10hipError_tPvRmT0_T1_T2_T3_T4_T5_mmT6_P12ihipStream_tbEUlT_E0_NS1_11comp_targetILNS1_3genE9ELNS1_11target_archE1100ELNS1_3gpuE3ELNS1_3repE0EEENS1_30default_config_static_selectorELNS0_4arch9wavefront6targetE0EEEvS10_
    .private_segment_fixed_size: 0
    .sgpr_count:     0
    .sgpr_spill_count: 0
    .symbol:         _ZN7rocprim17ROCPRIM_400000_NS6detail17trampoline_kernelINS0_14default_configENS1_21merge_config_selectorINS0_5tupleIJssEEENS0_10empty_typeEEEZNS1_10merge_implIS3_NS0_12zip_iteratorINS5_IJN6thrust23THRUST_200600_302600_NS6detail15normal_iteratorINSC_10device_ptrIKsEEEESI_EEEEESK_NSA_INS5_IJNSE_INSF_IsEEEESM_EEEEEPS7_SP_SP_NSC_11hip_rocprim7__merge17predicate_wrapperIssNSC_4lessIsEEEEEE10hipError_tPvRmT0_T1_T2_T3_T4_T5_mmT6_P12ihipStream_tbEUlT_E0_NS1_11comp_targetILNS1_3genE9ELNS1_11target_archE1100ELNS1_3gpuE3ELNS1_3repE0EEENS1_30default_config_static_selectorELNS0_4arch9wavefront6targetE0EEEvS10_.kd
    .uniform_work_group_size: 1
    .uses_dynamic_stack: false
    .vgpr_count:     0
    .vgpr_spill_count: 0
    .wavefront_size: 32
    .workgroup_processor_mode: 1
  - .args:
      - .offset:         0
        .size:           112
        .value_kind:     by_value
    .group_segment_fixed_size: 33792
    .kernarg_segment_align: 8
    .kernarg_segment_size: 112
    .language:       OpenCL C
    .language_version:
      - 2
      - 0
    .max_flat_workgroup_size: 1024
    .name:           _ZN7rocprim17ROCPRIM_400000_NS6detail17trampoline_kernelINS0_14default_configENS1_21merge_config_selectorINS0_5tupleIJssEEENS0_10empty_typeEEEZNS1_10merge_implIS3_NS0_12zip_iteratorINS5_IJN6thrust23THRUST_200600_302600_NS6detail15normal_iteratorINSC_10device_ptrIKsEEEESI_EEEEESK_NSA_INS5_IJNSE_INSF_IsEEEESM_EEEEEPS7_SP_SP_NSC_11hip_rocprim7__merge17predicate_wrapperIssNSC_4lessIsEEEEEE10hipError_tPvRmT0_T1_T2_T3_T4_T5_mmT6_P12ihipStream_tbEUlT_E0_NS1_11comp_targetILNS1_3genE8ELNS1_11target_archE1030ELNS1_3gpuE2ELNS1_3repE0EEENS1_30default_config_static_selectorELNS0_4arch9wavefront6targetE0EEEvS10_
    .private_segment_fixed_size: 0
    .sgpr_count:     28
    .sgpr_spill_count: 0
    .symbol:         _ZN7rocprim17ROCPRIM_400000_NS6detail17trampoline_kernelINS0_14default_configENS1_21merge_config_selectorINS0_5tupleIJssEEENS0_10empty_typeEEEZNS1_10merge_implIS3_NS0_12zip_iteratorINS5_IJN6thrust23THRUST_200600_302600_NS6detail15normal_iteratorINSC_10device_ptrIKsEEEESI_EEEEESK_NSA_INS5_IJNSE_INSF_IsEEEESM_EEEEEPS7_SP_SP_NSC_11hip_rocprim7__merge17predicate_wrapperIssNSC_4lessIsEEEEEE10hipError_tPvRmT0_T1_T2_T3_T4_T5_mmT6_P12ihipStream_tbEUlT_E0_NS1_11comp_targetILNS1_3genE8ELNS1_11target_archE1030ELNS1_3gpuE2ELNS1_3repE0EEENS1_30default_config_static_selectorELNS0_4arch9wavefront6targetE0EEEvS10_.kd
    .uniform_work_group_size: 1
    .uses_dynamic_stack: false
    .vgpr_count:     37
    .vgpr_spill_count: 0
    .wavefront_size: 32
    .workgroup_processor_mode: 1
  - .args:
      - .offset:         0
        .size:           104
        .value_kind:     by_value
    .group_segment_fixed_size: 0
    .kernarg_segment_align: 8
    .kernarg_segment_size: 104
    .language:       OpenCL C
    .language_version:
      - 2
      - 0
    .max_flat_workgroup_size: 128
    .name:           _ZN7rocprim17ROCPRIM_400000_NS6detail17trampoline_kernelINS0_14default_configENS1_22reduce_config_selectorIN6thrust23THRUST_200600_302600_NS5tupleIblNS6_9null_typeES8_S8_S8_S8_S8_S8_S8_EEEEZNS1_11reduce_implILb1ES3_NS6_12zip_iteratorINS7_INS6_11hip_rocprim26transform_input_iterator_tIbNSD_35transform_pair_of_input_iterators_tIbNS6_6detail15normal_iteratorINS6_10device_ptrIKsEEEESL_NS6_8equal_toIsEEEENSG_9not_fun_tINSD_8identityEEEEENSD_19counting_iterator_tIlEES8_S8_S8_S8_S8_S8_S8_S8_EEEEPS9_S9_NSD_9__find_if7functorIS9_EEEE10hipError_tPvRmT1_T2_T3_mT4_P12ihipStream_tbEUlT_E0_NS1_11comp_targetILNS1_3genE0ELNS1_11target_archE4294967295ELNS1_3gpuE0ELNS1_3repE0EEENS1_30default_config_static_selectorELNS0_4arch9wavefront6targetE0EEEvS14_
    .private_segment_fixed_size: 0
    .sgpr_count:     0
    .sgpr_spill_count: 0
    .symbol:         _ZN7rocprim17ROCPRIM_400000_NS6detail17trampoline_kernelINS0_14default_configENS1_22reduce_config_selectorIN6thrust23THRUST_200600_302600_NS5tupleIblNS6_9null_typeES8_S8_S8_S8_S8_S8_S8_EEEEZNS1_11reduce_implILb1ES3_NS6_12zip_iteratorINS7_INS6_11hip_rocprim26transform_input_iterator_tIbNSD_35transform_pair_of_input_iterators_tIbNS6_6detail15normal_iteratorINS6_10device_ptrIKsEEEESL_NS6_8equal_toIsEEEENSG_9not_fun_tINSD_8identityEEEEENSD_19counting_iterator_tIlEES8_S8_S8_S8_S8_S8_S8_S8_EEEEPS9_S9_NSD_9__find_if7functorIS9_EEEE10hipError_tPvRmT1_T2_T3_mT4_P12ihipStream_tbEUlT_E0_NS1_11comp_targetILNS1_3genE0ELNS1_11target_archE4294967295ELNS1_3gpuE0ELNS1_3repE0EEENS1_30default_config_static_selectorELNS0_4arch9wavefront6targetE0EEEvS14_.kd
    .uniform_work_group_size: 1
    .uses_dynamic_stack: false
    .vgpr_count:     0
    .vgpr_spill_count: 0
    .wavefront_size: 32
    .workgroup_processor_mode: 1
  - .args:
      - .offset:         0
        .size:           104
        .value_kind:     by_value
    .group_segment_fixed_size: 0
    .kernarg_segment_align: 8
    .kernarg_segment_size: 104
    .language:       OpenCL C
    .language_version:
      - 2
      - 0
    .max_flat_workgroup_size: 256
    .name:           _ZN7rocprim17ROCPRIM_400000_NS6detail17trampoline_kernelINS0_14default_configENS1_22reduce_config_selectorIN6thrust23THRUST_200600_302600_NS5tupleIblNS6_9null_typeES8_S8_S8_S8_S8_S8_S8_EEEEZNS1_11reduce_implILb1ES3_NS6_12zip_iteratorINS7_INS6_11hip_rocprim26transform_input_iterator_tIbNSD_35transform_pair_of_input_iterators_tIbNS6_6detail15normal_iteratorINS6_10device_ptrIKsEEEESL_NS6_8equal_toIsEEEENSG_9not_fun_tINSD_8identityEEEEENSD_19counting_iterator_tIlEES8_S8_S8_S8_S8_S8_S8_S8_EEEEPS9_S9_NSD_9__find_if7functorIS9_EEEE10hipError_tPvRmT1_T2_T3_mT4_P12ihipStream_tbEUlT_E0_NS1_11comp_targetILNS1_3genE5ELNS1_11target_archE942ELNS1_3gpuE9ELNS1_3repE0EEENS1_30default_config_static_selectorELNS0_4arch9wavefront6targetE0EEEvS14_
    .private_segment_fixed_size: 0
    .sgpr_count:     0
    .sgpr_spill_count: 0
    .symbol:         _ZN7rocprim17ROCPRIM_400000_NS6detail17trampoline_kernelINS0_14default_configENS1_22reduce_config_selectorIN6thrust23THRUST_200600_302600_NS5tupleIblNS6_9null_typeES8_S8_S8_S8_S8_S8_S8_EEEEZNS1_11reduce_implILb1ES3_NS6_12zip_iteratorINS7_INS6_11hip_rocprim26transform_input_iterator_tIbNSD_35transform_pair_of_input_iterators_tIbNS6_6detail15normal_iteratorINS6_10device_ptrIKsEEEESL_NS6_8equal_toIsEEEENSG_9not_fun_tINSD_8identityEEEEENSD_19counting_iterator_tIlEES8_S8_S8_S8_S8_S8_S8_S8_EEEEPS9_S9_NSD_9__find_if7functorIS9_EEEE10hipError_tPvRmT1_T2_T3_mT4_P12ihipStream_tbEUlT_E0_NS1_11comp_targetILNS1_3genE5ELNS1_11target_archE942ELNS1_3gpuE9ELNS1_3repE0EEENS1_30default_config_static_selectorELNS0_4arch9wavefront6targetE0EEEvS14_.kd
    .uniform_work_group_size: 1
    .uses_dynamic_stack: false
    .vgpr_count:     0
    .vgpr_spill_count: 0
    .wavefront_size: 32
    .workgroup_processor_mode: 1
  - .args:
      - .offset:         0
        .size:           104
        .value_kind:     by_value
    .group_segment_fixed_size: 0
    .kernarg_segment_align: 8
    .kernarg_segment_size: 104
    .language:       OpenCL C
    .language_version:
      - 2
      - 0
    .max_flat_workgroup_size: 256
    .name:           _ZN7rocprim17ROCPRIM_400000_NS6detail17trampoline_kernelINS0_14default_configENS1_22reduce_config_selectorIN6thrust23THRUST_200600_302600_NS5tupleIblNS6_9null_typeES8_S8_S8_S8_S8_S8_S8_EEEEZNS1_11reduce_implILb1ES3_NS6_12zip_iteratorINS7_INS6_11hip_rocprim26transform_input_iterator_tIbNSD_35transform_pair_of_input_iterators_tIbNS6_6detail15normal_iteratorINS6_10device_ptrIKsEEEESL_NS6_8equal_toIsEEEENSG_9not_fun_tINSD_8identityEEEEENSD_19counting_iterator_tIlEES8_S8_S8_S8_S8_S8_S8_S8_EEEEPS9_S9_NSD_9__find_if7functorIS9_EEEE10hipError_tPvRmT1_T2_T3_mT4_P12ihipStream_tbEUlT_E0_NS1_11comp_targetILNS1_3genE4ELNS1_11target_archE910ELNS1_3gpuE8ELNS1_3repE0EEENS1_30default_config_static_selectorELNS0_4arch9wavefront6targetE0EEEvS14_
    .private_segment_fixed_size: 0
    .sgpr_count:     0
    .sgpr_spill_count: 0
    .symbol:         _ZN7rocprim17ROCPRIM_400000_NS6detail17trampoline_kernelINS0_14default_configENS1_22reduce_config_selectorIN6thrust23THRUST_200600_302600_NS5tupleIblNS6_9null_typeES8_S8_S8_S8_S8_S8_S8_EEEEZNS1_11reduce_implILb1ES3_NS6_12zip_iteratorINS7_INS6_11hip_rocprim26transform_input_iterator_tIbNSD_35transform_pair_of_input_iterators_tIbNS6_6detail15normal_iteratorINS6_10device_ptrIKsEEEESL_NS6_8equal_toIsEEEENSG_9not_fun_tINSD_8identityEEEEENSD_19counting_iterator_tIlEES8_S8_S8_S8_S8_S8_S8_S8_EEEEPS9_S9_NSD_9__find_if7functorIS9_EEEE10hipError_tPvRmT1_T2_T3_mT4_P12ihipStream_tbEUlT_E0_NS1_11comp_targetILNS1_3genE4ELNS1_11target_archE910ELNS1_3gpuE8ELNS1_3repE0EEENS1_30default_config_static_selectorELNS0_4arch9wavefront6targetE0EEEvS14_.kd
    .uniform_work_group_size: 1
    .uses_dynamic_stack: false
    .vgpr_count:     0
    .vgpr_spill_count: 0
    .wavefront_size: 32
    .workgroup_processor_mode: 1
  - .args:
      - .offset:         0
        .size:           104
        .value_kind:     by_value
    .group_segment_fixed_size: 0
    .kernarg_segment_align: 8
    .kernarg_segment_size: 104
    .language:       OpenCL C
    .language_version:
      - 2
      - 0
    .max_flat_workgroup_size: 128
    .name:           _ZN7rocprim17ROCPRIM_400000_NS6detail17trampoline_kernelINS0_14default_configENS1_22reduce_config_selectorIN6thrust23THRUST_200600_302600_NS5tupleIblNS6_9null_typeES8_S8_S8_S8_S8_S8_S8_EEEEZNS1_11reduce_implILb1ES3_NS6_12zip_iteratorINS7_INS6_11hip_rocprim26transform_input_iterator_tIbNSD_35transform_pair_of_input_iterators_tIbNS6_6detail15normal_iteratorINS6_10device_ptrIKsEEEESL_NS6_8equal_toIsEEEENSG_9not_fun_tINSD_8identityEEEEENSD_19counting_iterator_tIlEES8_S8_S8_S8_S8_S8_S8_S8_EEEEPS9_S9_NSD_9__find_if7functorIS9_EEEE10hipError_tPvRmT1_T2_T3_mT4_P12ihipStream_tbEUlT_E0_NS1_11comp_targetILNS1_3genE3ELNS1_11target_archE908ELNS1_3gpuE7ELNS1_3repE0EEENS1_30default_config_static_selectorELNS0_4arch9wavefront6targetE0EEEvS14_
    .private_segment_fixed_size: 0
    .sgpr_count:     0
    .sgpr_spill_count: 0
    .symbol:         _ZN7rocprim17ROCPRIM_400000_NS6detail17trampoline_kernelINS0_14default_configENS1_22reduce_config_selectorIN6thrust23THRUST_200600_302600_NS5tupleIblNS6_9null_typeES8_S8_S8_S8_S8_S8_S8_EEEEZNS1_11reduce_implILb1ES3_NS6_12zip_iteratorINS7_INS6_11hip_rocprim26transform_input_iterator_tIbNSD_35transform_pair_of_input_iterators_tIbNS6_6detail15normal_iteratorINS6_10device_ptrIKsEEEESL_NS6_8equal_toIsEEEENSG_9not_fun_tINSD_8identityEEEEENSD_19counting_iterator_tIlEES8_S8_S8_S8_S8_S8_S8_S8_EEEEPS9_S9_NSD_9__find_if7functorIS9_EEEE10hipError_tPvRmT1_T2_T3_mT4_P12ihipStream_tbEUlT_E0_NS1_11comp_targetILNS1_3genE3ELNS1_11target_archE908ELNS1_3gpuE7ELNS1_3repE0EEENS1_30default_config_static_selectorELNS0_4arch9wavefront6targetE0EEEvS14_.kd
    .uniform_work_group_size: 1
    .uses_dynamic_stack: false
    .vgpr_count:     0
    .vgpr_spill_count: 0
    .wavefront_size: 32
    .workgroup_processor_mode: 1
  - .args:
      - .offset:         0
        .size:           104
        .value_kind:     by_value
    .group_segment_fixed_size: 0
    .kernarg_segment_align: 8
    .kernarg_segment_size: 104
    .language:       OpenCL C
    .language_version:
      - 2
      - 0
    .max_flat_workgroup_size: 128
    .name:           _ZN7rocprim17ROCPRIM_400000_NS6detail17trampoline_kernelINS0_14default_configENS1_22reduce_config_selectorIN6thrust23THRUST_200600_302600_NS5tupleIblNS6_9null_typeES8_S8_S8_S8_S8_S8_S8_EEEEZNS1_11reduce_implILb1ES3_NS6_12zip_iteratorINS7_INS6_11hip_rocprim26transform_input_iterator_tIbNSD_35transform_pair_of_input_iterators_tIbNS6_6detail15normal_iteratorINS6_10device_ptrIKsEEEESL_NS6_8equal_toIsEEEENSG_9not_fun_tINSD_8identityEEEEENSD_19counting_iterator_tIlEES8_S8_S8_S8_S8_S8_S8_S8_EEEEPS9_S9_NSD_9__find_if7functorIS9_EEEE10hipError_tPvRmT1_T2_T3_mT4_P12ihipStream_tbEUlT_E0_NS1_11comp_targetILNS1_3genE2ELNS1_11target_archE906ELNS1_3gpuE6ELNS1_3repE0EEENS1_30default_config_static_selectorELNS0_4arch9wavefront6targetE0EEEvS14_
    .private_segment_fixed_size: 0
    .sgpr_count:     0
    .sgpr_spill_count: 0
    .symbol:         _ZN7rocprim17ROCPRIM_400000_NS6detail17trampoline_kernelINS0_14default_configENS1_22reduce_config_selectorIN6thrust23THRUST_200600_302600_NS5tupleIblNS6_9null_typeES8_S8_S8_S8_S8_S8_S8_EEEEZNS1_11reduce_implILb1ES3_NS6_12zip_iteratorINS7_INS6_11hip_rocprim26transform_input_iterator_tIbNSD_35transform_pair_of_input_iterators_tIbNS6_6detail15normal_iteratorINS6_10device_ptrIKsEEEESL_NS6_8equal_toIsEEEENSG_9not_fun_tINSD_8identityEEEEENSD_19counting_iterator_tIlEES8_S8_S8_S8_S8_S8_S8_S8_EEEEPS9_S9_NSD_9__find_if7functorIS9_EEEE10hipError_tPvRmT1_T2_T3_mT4_P12ihipStream_tbEUlT_E0_NS1_11comp_targetILNS1_3genE2ELNS1_11target_archE906ELNS1_3gpuE6ELNS1_3repE0EEENS1_30default_config_static_selectorELNS0_4arch9wavefront6targetE0EEEvS14_.kd
    .uniform_work_group_size: 1
    .uses_dynamic_stack: false
    .vgpr_count:     0
    .vgpr_spill_count: 0
    .wavefront_size: 32
    .workgroup_processor_mode: 1
  - .args:
      - .offset:         0
        .size:           104
        .value_kind:     by_value
    .group_segment_fixed_size: 0
    .kernarg_segment_align: 8
    .kernarg_segment_size: 104
    .language:       OpenCL C
    .language_version:
      - 2
      - 0
    .max_flat_workgroup_size: 256
    .name:           _ZN7rocprim17ROCPRIM_400000_NS6detail17trampoline_kernelINS0_14default_configENS1_22reduce_config_selectorIN6thrust23THRUST_200600_302600_NS5tupleIblNS6_9null_typeES8_S8_S8_S8_S8_S8_S8_EEEEZNS1_11reduce_implILb1ES3_NS6_12zip_iteratorINS7_INS6_11hip_rocprim26transform_input_iterator_tIbNSD_35transform_pair_of_input_iterators_tIbNS6_6detail15normal_iteratorINS6_10device_ptrIKsEEEESL_NS6_8equal_toIsEEEENSG_9not_fun_tINSD_8identityEEEEENSD_19counting_iterator_tIlEES8_S8_S8_S8_S8_S8_S8_S8_EEEEPS9_S9_NSD_9__find_if7functorIS9_EEEE10hipError_tPvRmT1_T2_T3_mT4_P12ihipStream_tbEUlT_E0_NS1_11comp_targetILNS1_3genE10ELNS1_11target_archE1201ELNS1_3gpuE5ELNS1_3repE0EEENS1_30default_config_static_selectorELNS0_4arch9wavefront6targetE0EEEvS14_
    .private_segment_fixed_size: 0
    .sgpr_count:     0
    .sgpr_spill_count: 0
    .symbol:         _ZN7rocprim17ROCPRIM_400000_NS6detail17trampoline_kernelINS0_14default_configENS1_22reduce_config_selectorIN6thrust23THRUST_200600_302600_NS5tupleIblNS6_9null_typeES8_S8_S8_S8_S8_S8_S8_EEEEZNS1_11reduce_implILb1ES3_NS6_12zip_iteratorINS7_INS6_11hip_rocprim26transform_input_iterator_tIbNSD_35transform_pair_of_input_iterators_tIbNS6_6detail15normal_iteratorINS6_10device_ptrIKsEEEESL_NS6_8equal_toIsEEEENSG_9not_fun_tINSD_8identityEEEEENSD_19counting_iterator_tIlEES8_S8_S8_S8_S8_S8_S8_S8_EEEEPS9_S9_NSD_9__find_if7functorIS9_EEEE10hipError_tPvRmT1_T2_T3_mT4_P12ihipStream_tbEUlT_E0_NS1_11comp_targetILNS1_3genE10ELNS1_11target_archE1201ELNS1_3gpuE5ELNS1_3repE0EEENS1_30default_config_static_selectorELNS0_4arch9wavefront6targetE0EEEvS14_.kd
    .uniform_work_group_size: 1
    .uses_dynamic_stack: false
    .vgpr_count:     0
    .vgpr_spill_count: 0
    .wavefront_size: 32
    .workgroup_processor_mode: 1
  - .args:
      - .offset:         0
        .size:           104
        .value_kind:     by_value
    .group_segment_fixed_size: 0
    .kernarg_segment_align: 8
    .kernarg_segment_size: 104
    .language:       OpenCL C
    .language_version:
      - 2
      - 0
    .max_flat_workgroup_size: 256
    .name:           _ZN7rocprim17ROCPRIM_400000_NS6detail17trampoline_kernelINS0_14default_configENS1_22reduce_config_selectorIN6thrust23THRUST_200600_302600_NS5tupleIblNS6_9null_typeES8_S8_S8_S8_S8_S8_S8_EEEEZNS1_11reduce_implILb1ES3_NS6_12zip_iteratorINS7_INS6_11hip_rocprim26transform_input_iterator_tIbNSD_35transform_pair_of_input_iterators_tIbNS6_6detail15normal_iteratorINS6_10device_ptrIKsEEEESL_NS6_8equal_toIsEEEENSG_9not_fun_tINSD_8identityEEEEENSD_19counting_iterator_tIlEES8_S8_S8_S8_S8_S8_S8_S8_EEEEPS9_S9_NSD_9__find_if7functorIS9_EEEE10hipError_tPvRmT1_T2_T3_mT4_P12ihipStream_tbEUlT_E0_NS1_11comp_targetILNS1_3genE10ELNS1_11target_archE1200ELNS1_3gpuE4ELNS1_3repE0EEENS1_30default_config_static_selectorELNS0_4arch9wavefront6targetE0EEEvS14_
    .private_segment_fixed_size: 0
    .sgpr_count:     0
    .sgpr_spill_count: 0
    .symbol:         _ZN7rocprim17ROCPRIM_400000_NS6detail17trampoline_kernelINS0_14default_configENS1_22reduce_config_selectorIN6thrust23THRUST_200600_302600_NS5tupleIblNS6_9null_typeES8_S8_S8_S8_S8_S8_S8_EEEEZNS1_11reduce_implILb1ES3_NS6_12zip_iteratorINS7_INS6_11hip_rocprim26transform_input_iterator_tIbNSD_35transform_pair_of_input_iterators_tIbNS6_6detail15normal_iteratorINS6_10device_ptrIKsEEEESL_NS6_8equal_toIsEEEENSG_9not_fun_tINSD_8identityEEEEENSD_19counting_iterator_tIlEES8_S8_S8_S8_S8_S8_S8_S8_EEEEPS9_S9_NSD_9__find_if7functorIS9_EEEE10hipError_tPvRmT1_T2_T3_mT4_P12ihipStream_tbEUlT_E0_NS1_11comp_targetILNS1_3genE10ELNS1_11target_archE1200ELNS1_3gpuE4ELNS1_3repE0EEENS1_30default_config_static_selectorELNS0_4arch9wavefront6targetE0EEEvS14_.kd
    .uniform_work_group_size: 1
    .uses_dynamic_stack: false
    .vgpr_count:     0
    .vgpr_spill_count: 0
    .wavefront_size: 32
    .workgroup_processor_mode: 1
  - .args:
      - .offset:         0
        .size:           104
        .value_kind:     by_value
    .group_segment_fixed_size: 0
    .kernarg_segment_align: 8
    .kernarg_segment_size: 104
    .language:       OpenCL C
    .language_version:
      - 2
      - 0
    .max_flat_workgroup_size: 256
    .name:           _ZN7rocprim17ROCPRIM_400000_NS6detail17trampoline_kernelINS0_14default_configENS1_22reduce_config_selectorIN6thrust23THRUST_200600_302600_NS5tupleIblNS6_9null_typeES8_S8_S8_S8_S8_S8_S8_EEEEZNS1_11reduce_implILb1ES3_NS6_12zip_iteratorINS7_INS6_11hip_rocprim26transform_input_iterator_tIbNSD_35transform_pair_of_input_iterators_tIbNS6_6detail15normal_iteratorINS6_10device_ptrIKsEEEESL_NS6_8equal_toIsEEEENSG_9not_fun_tINSD_8identityEEEEENSD_19counting_iterator_tIlEES8_S8_S8_S8_S8_S8_S8_S8_EEEEPS9_S9_NSD_9__find_if7functorIS9_EEEE10hipError_tPvRmT1_T2_T3_mT4_P12ihipStream_tbEUlT_E0_NS1_11comp_targetILNS1_3genE9ELNS1_11target_archE1100ELNS1_3gpuE3ELNS1_3repE0EEENS1_30default_config_static_selectorELNS0_4arch9wavefront6targetE0EEEvS14_
    .private_segment_fixed_size: 0
    .sgpr_count:     0
    .sgpr_spill_count: 0
    .symbol:         _ZN7rocprim17ROCPRIM_400000_NS6detail17trampoline_kernelINS0_14default_configENS1_22reduce_config_selectorIN6thrust23THRUST_200600_302600_NS5tupleIblNS6_9null_typeES8_S8_S8_S8_S8_S8_S8_EEEEZNS1_11reduce_implILb1ES3_NS6_12zip_iteratorINS7_INS6_11hip_rocprim26transform_input_iterator_tIbNSD_35transform_pair_of_input_iterators_tIbNS6_6detail15normal_iteratorINS6_10device_ptrIKsEEEESL_NS6_8equal_toIsEEEENSG_9not_fun_tINSD_8identityEEEEENSD_19counting_iterator_tIlEES8_S8_S8_S8_S8_S8_S8_S8_EEEEPS9_S9_NSD_9__find_if7functorIS9_EEEE10hipError_tPvRmT1_T2_T3_mT4_P12ihipStream_tbEUlT_E0_NS1_11comp_targetILNS1_3genE9ELNS1_11target_archE1100ELNS1_3gpuE3ELNS1_3repE0EEENS1_30default_config_static_selectorELNS0_4arch9wavefront6targetE0EEEvS14_.kd
    .uniform_work_group_size: 1
    .uses_dynamic_stack: false
    .vgpr_count:     0
    .vgpr_spill_count: 0
    .wavefront_size: 32
    .workgroup_processor_mode: 1
  - .args:
      - .offset:         0
        .size:           104
        .value_kind:     by_value
    .group_segment_fixed_size: 256
    .kernarg_segment_align: 8
    .kernarg_segment_size: 104
    .language:       OpenCL C
    .language_version:
      - 2
      - 0
    .max_flat_workgroup_size: 256
    .name:           _ZN7rocprim17ROCPRIM_400000_NS6detail17trampoline_kernelINS0_14default_configENS1_22reduce_config_selectorIN6thrust23THRUST_200600_302600_NS5tupleIblNS6_9null_typeES8_S8_S8_S8_S8_S8_S8_EEEEZNS1_11reduce_implILb1ES3_NS6_12zip_iteratorINS7_INS6_11hip_rocprim26transform_input_iterator_tIbNSD_35transform_pair_of_input_iterators_tIbNS6_6detail15normal_iteratorINS6_10device_ptrIKsEEEESL_NS6_8equal_toIsEEEENSG_9not_fun_tINSD_8identityEEEEENSD_19counting_iterator_tIlEES8_S8_S8_S8_S8_S8_S8_S8_EEEEPS9_S9_NSD_9__find_if7functorIS9_EEEE10hipError_tPvRmT1_T2_T3_mT4_P12ihipStream_tbEUlT_E0_NS1_11comp_targetILNS1_3genE8ELNS1_11target_archE1030ELNS1_3gpuE2ELNS1_3repE0EEENS1_30default_config_static_selectorELNS0_4arch9wavefront6targetE0EEEvS14_
    .private_segment_fixed_size: 0
    .sgpr_count:     30
    .sgpr_spill_count: 0
    .symbol:         _ZN7rocprim17ROCPRIM_400000_NS6detail17trampoline_kernelINS0_14default_configENS1_22reduce_config_selectorIN6thrust23THRUST_200600_302600_NS5tupleIblNS6_9null_typeES8_S8_S8_S8_S8_S8_S8_EEEEZNS1_11reduce_implILb1ES3_NS6_12zip_iteratorINS7_INS6_11hip_rocprim26transform_input_iterator_tIbNSD_35transform_pair_of_input_iterators_tIbNS6_6detail15normal_iteratorINS6_10device_ptrIKsEEEESL_NS6_8equal_toIsEEEENSG_9not_fun_tINSD_8identityEEEEENSD_19counting_iterator_tIlEES8_S8_S8_S8_S8_S8_S8_S8_EEEEPS9_S9_NSD_9__find_if7functorIS9_EEEE10hipError_tPvRmT1_T2_T3_mT4_P12ihipStream_tbEUlT_E0_NS1_11comp_targetILNS1_3genE8ELNS1_11target_archE1030ELNS1_3gpuE2ELNS1_3repE0EEENS1_30default_config_static_selectorELNS0_4arch9wavefront6targetE0EEEvS14_.kd
    .uniform_work_group_size: 1
    .uses_dynamic_stack: false
    .vgpr_count:     13
    .vgpr_spill_count: 0
    .wavefront_size: 32
    .workgroup_processor_mode: 1
  - .args:
      - .offset:         0
        .size:           88
        .value_kind:     by_value
    .group_segment_fixed_size: 0
    .kernarg_segment_align: 8
    .kernarg_segment_size: 88
    .language:       OpenCL C
    .language_version:
      - 2
      - 0
    .max_flat_workgroup_size: 128
    .name:           _ZN7rocprim17ROCPRIM_400000_NS6detail17trampoline_kernelINS0_14default_configENS1_22reduce_config_selectorIN6thrust23THRUST_200600_302600_NS5tupleIblNS6_9null_typeES8_S8_S8_S8_S8_S8_S8_EEEEZNS1_11reduce_implILb1ES3_NS6_12zip_iteratorINS7_INS6_11hip_rocprim26transform_input_iterator_tIbNSD_35transform_pair_of_input_iterators_tIbNS6_6detail15normal_iteratorINS6_10device_ptrIKsEEEESL_NS6_8equal_toIsEEEENSG_9not_fun_tINSD_8identityEEEEENSD_19counting_iterator_tIlEES8_S8_S8_S8_S8_S8_S8_S8_EEEEPS9_S9_NSD_9__find_if7functorIS9_EEEE10hipError_tPvRmT1_T2_T3_mT4_P12ihipStream_tbEUlT_E1_NS1_11comp_targetILNS1_3genE0ELNS1_11target_archE4294967295ELNS1_3gpuE0ELNS1_3repE0EEENS1_30default_config_static_selectorELNS0_4arch9wavefront6targetE0EEEvS14_
    .private_segment_fixed_size: 0
    .sgpr_count:     0
    .sgpr_spill_count: 0
    .symbol:         _ZN7rocprim17ROCPRIM_400000_NS6detail17trampoline_kernelINS0_14default_configENS1_22reduce_config_selectorIN6thrust23THRUST_200600_302600_NS5tupleIblNS6_9null_typeES8_S8_S8_S8_S8_S8_S8_EEEEZNS1_11reduce_implILb1ES3_NS6_12zip_iteratorINS7_INS6_11hip_rocprim26transform_input_iterator_tIbNSD_35transform_pair_of_input_iterators_tIbNS6_6detail15normal_iteratorINS6_10device_ptrIKsEEEESL_NS6_8equal_toIsEEEENSG_9not_fun_tINSD_8identityEEEEENSD_19counting_iterator_tIlEES8_S8_S8_S8_S8_S8_S8_S8_EEEEPS9_S9_NSD_9__find_if7functorIS9_EEEE10hipError_tPvRmT1_T2_T3_mT4_P12ihipStream_tbEUlT_E1_NS1_11comp_targetILNS1_3genE0ELNS1_11target_archE4294967295ELNS1_3gpuE0ELNS1_3repE0EEENS1_30default_config_static_selectorELNS0_4arch9wavefront6targetE0EEEvS14_.kd
    .uniform_work_group_size: 1
    .uses_dynamic_stack: false
    .vgpr_count:     0
    .vgpr_spill_count: 0
    .wavefront_size: 32
    .workgroup_processor_mode: 1
  - .args:
      - .offset:         0
        .size:           88
        .value_kind:     by_value
    .group_segment_fixed_size: 0
    .kernarg_segment_align: 8
    .kernarg_segment_size: 88
    .language:       OpenCL C
    .language_version:
      - 2
      - 0
    .max_flat_workgroup_size: 256
    .name:           _ZN7rocprim17ROCPRIM_400000_NS6detail17trampoline_kernelINS0_14default_configENS1_22reduce_config_selectorIN6thrust23THRUST_200600_302600_NS5tupleIblNS6_9null_typeES8_S8_S8_S8_S8_S8_S8_EEEEZNS1_11reduce_implILb1ES3_NS6_12zip_iteratorINS7_INS6_11hip_rocprim26transform_input_iterator_tIbNSD_35transform_pair_of_input_iterators_tIbNS6_6detail15normal_iteratorINS6_10device_ptrIKsEEEESL_NS6_8equal_toIsEEEENSG_9not_fun_tINSD_8identityEEEEENSD_19counting_iterator_tIlEES8_S8_S8_S8_S8_S8_S8_S8_EEEEPS9_S9_NSD_9__find_if7functorIS9_EEEE10hipError_tPvRmT1_T2_T3_mT4_P12ihipStream_tbEUlT_E1_NS1_11comp_targetILNS1_3genE5ELNS1_11target_archE942ELNS1_3gpuE9ELNS1_3repE0EEENS1_30default_config_static_selectorELNS0_4arch9wavefront6targetE0EEEvS14_
    .private_segment_fixed_size: 0
    .sgpr_count:     0
    .sgpr_spill_count: 0
    .symbol:         _ZN7rocprim17ROCPRIM_400000_NS6detail17trampoline_kernelINS0_14default_configENS1_22reduce_config_selectorIN6thrust23THRUST_200600_302600_NS5tupleIblNS6_9null_typeES8_S8_S8_S8_S8_S8_S8_EEEEZNS1_11reduce_implILb1ES3_NS6_12zip_iteratorINS7_INS6_11hip_rocprim26transform_input_iterator_tIbNSD_35transform_pair_of_input_iterators_tIbNS6_6detail15normal_iteratorINS6_10device_ptrIKsEEEESL_NS6_8equal_toIsEEEENSG_9not_fun_tINSD_8identityEEEEENSD_19counting_iterator_tIlEES8_S8_S8_S8_S8_S8_S8_S8_EEEEPS9_S9_NSD_9__find_if7functorIS9_EEEE10hipError_tPvRmT1_T2_T3_mT4_P12ihipStream_tbEUlT_E1_NS1_11comp_targetILNS1_3genE5ELNS1_11target_archE942ELNS1_3gpuE9ELNS1_3repE0EEENS1_30default_config_static_selectorELNS0_4arch9wavefront6targetE0EEEvS14_.kd
    .uniform_work_group_size: 1
    .uses_dynamic_stack: false
    .vgpr_count:     0
    .vgpr_spill_count: 0
    .wavefront_size: 32
    .workgroup_processor_mode: 1
  - .args:
      - .offset:         0
        .size:           88
        .value_kind:     by_value
    .group_segment_fixed_size: 0
    .kernarg_segment_align: 8
    .kernarg_segment_size: 88
    .language:       OpenCL C
    .language_version:
      - 2
      - 0
    .max_flat_workgroup_size: 256
    .name:           _ZN7rocprim17ROCPRIM_400000_NS6detail17trampoline_kernelINS0_14default_configENS1_22reduce_config_selectorIN6thrust23THRUST_200600_302600_NS5tupleIblNS6_9null_typeES8_S8_S8_S8_S8_S8_S8_EEEEZNS1_11reduce_implILb1ES3_NS6_12zip_iteratorINS7_INS6_11hip_rocprim26transform_input_iterator_tIbNSD_35transform_pair_of_input_iterators_tIbNS6_6detail15normal_iteratorINS6_10device_ptrIKsEEEESL_NS6_8equal_toIsEEEENSG_9not_fun_tINSD_8identityEEEEENSD_19counting_iterator_tIlEES8_S8_S8_S8_S8_S8_S8_S8_EEEEPS9_S9_NSD_9__find_if7functorIS9_EEEE10hipError_tPvRmT1_T2_T3_mT4_P12ihipStream_tbEUlT_E1_NS1_11comp_targetILNS1_3genE4ELNS1_11target_archE910ELNS1_3gpuE8ELNS1_3repE0EEENS1_30default_config_static_selectorELNS0_4arch9wavefront6targetE0EEEvS14_
    .private_segment_fixed_size: 0
    .sgpr_count:     0
    .sgpr_spill_count: 0
    .symbol:         _ZN7rocprim17ROCPRIM_400000_NS6detail17trampoline_kernelINS0_14default_configENS1_22reduce_config_selectorIN6thrust23THRUST_200600_302600_NS5tupleIblNS6_9null_typeES8_S8_S8_S8_S8_S8_S8_EEEEZNS1_11reduce_implILb1ES3_NS6_12zip_iteratorINS7_INS6_11hip_rocprim26transform_input_iterator_tIbNSD_35transform_pair_of_input_iterators_tIbNS6_6detail15normal_iteratorINS6_10device_ptrIKsEEEESL_NS6_8equal_toIsEEEENSG_9not_fun_tINSD_8identityEEEEENSD_19counting_iterator_tIlEES8_S8_S8_S8_S8_S8_S8_S8_EEEEPS9_S9_NSD_9__find_if7functorIS9_EEEE10hipError_tPvRmT1_T2_T3_mT4_P12ihipStream_tbEUlT_E1_NS1_11comp_targetILNS1_3genE4ELNS1_11target_archE910ELNS1_3gpuE8ELNS1_3repE0EEENS1_30default_config_static_selectorELNS0_4arch9wavefront6targetE0EEEvS14_.kd
    .uniform_work_group_size: 1
    .uses_dynamic_stack: false
    .vgpr_count:     0
    .vgpr_spill_count: 0
    .wavefront_size: 32
    .workgroup_processor_mode: 1
  - .args:
      - .offset:         0
        .size:           88
        .value_kind:     by_value
    .group_segment_fixed_size: 0
    .kernarg_segment_align: 8
    .kernarg_segment_size: 88
    .language:       OpenCL C
    .language_version:
      - 2
      - 0
    .max_flat_workgroup_size: 128
    .name:           _ZN7rocprim17ROCPRIM_400000_NS6detail17trampoline_kernelINS0_14default_configENS1_22reduce_config_selectorIN6thrust23THRUST_200600_302600_NS5tupleIblNS6_9null_typeES8_S8_S8_S8_S8_S8_S8_EEEEZNS1_11reduce_implILb1ES3_NS6_12zip_iteratorINS7_INS6_11hip_rocprim26transform_input_iterator_tIbNSD_35transform_pair_of_input_iterators_tIbNS6_6detail15normal_iteratorINS6_10device_ptrIKsEEEESL_NS6_8equal_toIsEEEENSG_9not_fun_tINSD_8identityEEEEENSD_19counting_iterator_tIlEES8_S8_S8_S8_S8_S8_S8_S8_EEEEPS9_S9_NSD_9__find_if7functorIS9_EEEE10hipError_tPvRmT1_T2_T3_mT4_P12ihipStream_tbEUlT_E1_NS1_11comp_targetILNS1_3genE3ELNS1_11target_archE908ELNS1_3gpuE7ELNS1_3repE0EEENS1_30default_config_static_selectorELNS0_4arch9wavefront6targetE0EEEvS14_
    .private_segment_fixed_size: 0
    .sgpr_count:     0
    .sgpr_spill_count: 0
    .symbol:         _ZN7rocprim17ROCPRIM_400000_NS6detail17trampoline_kernelINS0_14default_configENS1_22reduce_config_selectorIN6thrust23THRUST_200600_302600_NS5tupleIblNS6_9null_typeES8_S8_S8_S8_S8_S8_S8_EEEEZNS1_11reduce_implILb1ES3_NS6_12zip_iteratorINS7_INS6_11hip_rocprim26transform_input_iterator_tIbNSD_35transform_pair_of_input_iterators_tIbNS6_6detail15normal_iteratorINS6_10device_ptrIKsEEEESL_NS6_8equal_toIsEEEENSG_9not_fun_tINSD_8identityEEEEENSD_19counting_iterator_tIlEES8_S8_S8_S8_S8_S8_S8_S8_EEEEPS9_S9_NSD_9__find_if7functorIS9_EEEE10hipError_tPvRmT1_T2_T3_mT4_P12ihipStream_tbEUlT_E1_NS1_11comp_targetILNS1_3genE3ELNS1_11target_archE908ELNS1_3gpuE7ELNS1_3repE0EEENS1_30default_config_static_selectorELNS0_4arch9wavefront6targetE0EEEvS14_.kd
    .uniform_work_group_size: 1
    .uses_dynamic_stack: false
    .vgpr_count:     0
    .vgpr_spill_count: 0
    .wavefront_size: 32
    .workgroup_processor_mode: 1
  - .args:
      - .offset:         0
        .size:           88
        .value_kind:     by_value
    .group_segment_fixed_size: 0
    .kernarg_segment_align: 8
    .kernarg_segment_size: 88
    .language:       OpenCL C
    .language_version:
      - 2
      - 0
    .max_flat_workgroup_size: 128
    .name:           _ZN7rocprim17ROCPRIM_400000_NS6detail17trampoline_kernelINS0_14default_configENS1_22reduce_config_selectorIN6thrust23THRUST_200600_302600_NS5tupleIblNS6_9null_typeES8_S8_S8_S8_S8_S8_S8_EEEEZNS1_11reduce_implILb1ES3_NS6_12zip_iteratorINS7_INS6_11hip_rocprim26transform_input_iterator_tIbNSD_35transform_pair_of_input_iterators_tIbNS6_6detail15normal_iteratorINS6_10device_ptrIKsEEEESL_NS6_8equal_toIsEEEENSG_9not_fun_tINSD_8identityEEEEENSD_19counting_iterator_tIlEES8_S8_S8_S8_S8_S8_S8_S8_EEEEPS9_S9_NSD_9__find_if7functorIS9_EEEE10hipError_tPvRmT1_T2_T3_mT4_P12ihipStream_tbEUlT_E1_NS1_11comp_targetILNS1_3genE2ELNS1_11target_archE906ELNS1_3gpuE6ELNS1_3repE0EEENS1_30default_config_static_selectorELNS0_4arch9wavefront6targetE0EEEvS14_
    .private_segment_fixed_size: 0
    .sgpr_count:     0
    .sgpr_spill_count: 0
    .symbol:         _ZN7rocprim17ROCPRIM_400000_NS6detail17trampoline_kernelINS0_14default_configENS1_22reduce_config_selectorIN6thrust23THRUST_200600_302600_NS5tupleIblNS6_9null_typeES8_S8_S8_S8_S8_S8_S8_EEEEZNS1_11reduce_implILb1ES3_NS6_12zip_iteratorINS7_INS6_11hip_rocprim26transform_input_iterator_tIbNSD_35transform_pair_of_input_iterators_tIbNS6_6detail15normal_iteratorINS6_10device_ptrIKsEEEESL_NS6_8equal_toIsEEEENSG_9not_fun_tINSD_8identityEEEEENSD_19counting_iterator_tIlEES8_S8_S8_S8_S8_S8_S8_S8_EEEEPS9_S9_NSD_9__find_if7functorIS9_EEEE10hipError_tPvRmT1_T2_T3_mT4_P12ihipStream_tbEUlT_E1_NS1_11comp_targetILNS1_3genE2ELNS1_11target_archE906ELNS1_3gpuE6ELNS1_3repE0EEENS1_30default_config_static_selectorELNS0_4arch9wavefront6targetE0EEEvS14_.kd
    .uniform_work_group_size: 1
    .uses_dynamic_stack: false
    .vgpr_count:     0
    .vgpr_spill_count: 0
    .wavefront_size: 32
    .workgroup_processor_mode: 1
  - .args:
      - .offset:         0
        .size:           88
        .value_kind:     by_value
    .group_segment_fixed_size: 0
    .kernarg_segment_align: 8
    .kernarg_segment_size: 88
    .language:       OpenCL C
    .language_version:
      - 2
      - 0
    .max_flat_workgroup_size: 256
    .name:           _ZN7rocprim17ROCPRIM_400000_NS6detail17trampoline_kernelINS0_14default_configENS1_22reduce_config_selectorIN6thrust23THRUST_200600_302600_NS5tupleIblNS6_9null_typeES8_S8_S8_S8_S8_S8_S8_EEEEZNS1_11reduce_implILb1ES3_NS6_12zip_iteratorINS7_INS6_11hip_rocprim26transform_input_iterator_tIbNSD_35transform_pair_of_input_iterators_tIbNS6_6detail15normal_iteratorINS6_10device_ptrIKsEEEESL_NS6_8equal_toIsEEEENSG_9not_fun_tINSD_8identityEEEEENSD_19counting_iterator_tIlEES8_S8_S8_S8_S8_S8_S8_S8_EEEEPS9_S9_NSD_9__find_if7functorIS9_EEEE10hipError_tPvRmT1_T2_T3_mT4_P12ihipStream_tbEUlT_E1_NS1_11comp_targetILNS1_3genE10ELNS1_11target_archE1201ELNS1_3gpuE5ELNS1_3repE0EEENS1_30default_config_static_selectorELNS0_4arch9wavefront6targetE0EEEvS14_
    .private_segment_fixed_size: 0
    .sgpr_count:     0
    .sgpr_spill_count: 0
    .symbol:         _ZN7rocprim17ROCPRIM_400000_NS6detail17trampoline_kernelINS0_14default_configENS1_22reduce_config_selectorIN6thrust23THRUST_200600_302600_NS5tupleIblNS6_9null_typeES8_S8_S8_S8_S8_S8_S8_EEEEZNS1_11reduce_implILb1ES3_NS6_12zip_iteratorINS7_INS6_11hip_rocprim26transform_input_iterator_tIbNSD_35transform_pair_of_input_iterators_tIbNS6_6detail15normal_iteratorINS6_10device_ptrIKsEEEESL_NS6_8equal_toIsEEEENSG_9not_fun_tINSD_8identityEEEEENSD_19counting_iterator_tIlEES8_S8_S8_S8_S8_S8_S8_S8_EEEEPS9_S9_NSD_9__find_if7functorIS9_EEEE10hipError_tPvRmT1_T2_T3_mT4_P12ihipStream_tbEUlT_E1_NS1_11comp_targetILNS1_3genE10ELNS1_11target_archE1201ELNS1_3gpuE5ELNS1_3repE0EEENS1_30default_config_static_selectorELNS0_4arch9wavefront6targetE0EEEvS14_.kd
    .uniform_work_group_size: 1
    .uses_dynamic_stack: false
    .vgpr_count:     0
    .vgpr_spill_count: 0
    .wavefront_size: 32
    .workgroup_processor_mode: 1
  - .args:
      - .offset:         0
        .size:           88
        .value_kind:     by_value
    .group_segment_fixed_size: 0
    .kernarg_segment_align: 8
    .kernarg_segment_size: 88
    .language:       OpenCL C
    .language_version:
      - 2
      - 0
    .max_flat_workgroup_size: 256
    .name:           _ZN7rocprim17ROCPRIM_400000_NS6detail17trampoline_kernelINS0_14default_configENS1_22reduce_config_selectorIN6thrust23THRUST_200600_302600_NS5tupleIblNS6_9null_typeES8_S8_S8_S8_S8_S8_S8_EEEEZNS1_11reduce_implILb1ES3_NS6_12zip_iteratorINS7_INS6_11hip_rocprim26transform_input_iterator_tIbNSD_35transform_pair_of_input_iterators_tIbNS6_6detail15normal_iteratorINS6_10device_ptrIKsEEEESL_NS6_8equal_toIsEEEENSG_9not_fun_tINSD_8identityEEEEENSD_19counting_iterator_tIlEES8_S8_S8_S8_S8_S8_S8_S8_EEEEPS9_S9_NSD_9__find_if7functorIS9_EEEE10hipError_tPvRmT1_T2_T3_mT4_P12ihipStream_tbEUlT_E1_NS1_11comp_targetILNS1_3genE10ELNS1_11target_archE1200ELNS1_3gpuE4ELNS1_3repE0EEENS1_30default_config_static_selectorELNS0_4arch9wavefront6targetE0EEEvS14_
    .private_segment_fixed_size: 0
    .sgpr_count:     0
    .sgpr_spill_count: 0
    .symbol:         _ZN7rocprim17ROCPRIM_400000_NS6detail17trampoline_kernelINS0_14default_configENS1_22reduce_config_selectorIN6thrust23THRUST_200600_302600_NS5tupleIblNS6_9null_typeES8_S8_S8_S8_S8_S8_S8_EEEEZNS1_11reduce_implILb1ES3_NS6_12zip_iteratorINS7_INS6_11hip_rocprim26transform_input_iterator_tIbNSD_35transform_pair_of_input_iterators_tIbNS6_6detail15normal_iteratorINS6_10device_ptrIKsEEEESL_NS6_8equal_toIsEEEENSG_9not_fun_tINSD_8identityEEEEENSD_19counting_iterator_tIlEES8_S8_S8_S8_S8_S8_S8_S8_EEEEPS9_S9_NSD_9__find_if7functorIS9_EEEE10hipError_tPvRmT1_T2_T3_mT4_P12ihipStream_tbEUlT_E1_NS1_11comp_targetILNS1_3genE10ELNS1_11target_archE1200ELNS1_3gpuE4ELNS1_3repE0EEENS1_30default_config_static_selectorELNS0_4arch9wavefront6targetE0EEEvS14_.kd
    .uniform_work_group_size: 1
    .uses_dynamic_stack: false
    .vgpr_count:     0
    .vgpr_spill_count: 0
    .wavefront_size: 32
    .workgroup_processor_mode: 1
  - .args:
      - .offset:         0
        .size:           88
        .value_kind:     by_value
    .group_segment_fixed_size: 0
    .kernarg_segment_align: 8
    .kernarg_segment_size: 88
    .language:       OpenCL C
    .language_version:
      - 2
      - 0
    .max_flat_workgroup_size: 256
    .name:           _ZN7rocprim17ROCPRIM_400000_NS6detail17trampoline_kernelINS0_14default_configENS1_22reduce_config_selectorIN6thrust23THRUST_200600_302600_NS5tupleIblNS6_9null_typeES8_S8_S8_S8_S8_S8_S8_EEEEZNS1_11reduce_implILb1ES3_NS6_12zip_iteratorINS7_INS6_11hip_rocprim26transform_input_iterator_tIbNSD_35transform_pair_of_input_iterators_tIbNS6_6detail15normal_iteratorINS6_10device_ptrIKsEEEESL_NS6_8equal_toIsEEEENSG_9not_fun_tINSD_8identityEEEEENSD_19counting_iterator_tIlEES8_S8_S8_S8_S8_S8_S8_S8_EEEEPS9_S9_NSD_9__find_if7functorIS9_EEEE10hipError_tPvRmT1_T2_T3_mT4_P12ihipStream_tbEUlT_E1_NS1_11comp_targetILNS1_3genE9ELNS1_11target_archE1100ELNS1_3gpuE3ELNS1_3repE0EEENS1_30default_config_static_selectorELNS0_4arch9wavefront6targetE0EEEvS14_
    .private_segment_fixed_size: 0
    .sgpr_count:     0
    .sgpr_spill_count: 0
    .symbol:         _ZN7rocprim17ROCPRIM_400000_NS6detail17trampoline_kernelINS0_14default_configENS1_22reduce_config_selectorIN6thrust23THRUST_200600_302600_NS5tupleIblNS6_9null_typeES8_S8_S8_S8_S8_S8_S8_EEEEZNS1_11reduce_implILb1ES3_NS6_12zip_iteratorINS7_INS6_11hip_rocprim26transform_input_iterator_tIbNSD_35transform_pair_of_input_iterators_tIbNS6_6detail15normal_iteratorINS6_10device_ptrIKsEEEESL_NS6_8equal_toIsEEEENSG_9not_fun_tINSD_8identityEEEEENSD_19counting_iterator_tIlEES8_S8_S8_S8_S8_S8_S8_S8_EEEEPS9_S9_NSD_9__find_if7functorIS9_EEEE10hipError_tPvRmT1_T2_T3_mT4_P12ihipStream_tbEUlT_E1_NS1_11comp_targetILNS1_3genE9ELNS1_11target_archE1100ELNS1_3gpuE3ELNS1_3repE0EEENS1_30default_config_static_selectorELNS0_4arch9wavefront6targetE0EEEvS14_.kd
    .uniform_work_group_size: 1
    .uses_dynamic_stack: false
    .vgpr_count:     0
    .vgpr_spill_count: 0
    .wavefront_size: 32
    .workgroup_processor_mode: 1
  - .args:
      - .offset:         0
        .size:           88
        .value_kind:     by_value
    .group_segment_fixed_size: 640
    .kernarg_segment_align: 8
    .kernarg_segment_size: 88
    .language:       OpenCL C
    .language_version:
      - 2
      - 0
    .max_flat_workgroup_size: 256
    .name:           _ZN7rocprim17ROCPRIM_400000_NS6detail17trampoline_kernelINS0_14default_configENS1_22reduce_config_selectorIN6thrust23THRUST_200600_302600_NS5tupleIblNS6_9null_typeES8_S8_S8_S8_S8_S8_S8_EEEEZNS1_11reduce_implILb1ES3_NS6_12zip_iteratorINS7_INS6_11hip_rocprim26transform_input_iterator_tIbNSD_35transform_pair_of_input_iterators_tIbNS6_6detail15normal_iteratorINS6_10device_ptrIKsEEEESL_NS6_8equal_toIsEEEENSG_9not_fun_tINSD_8identityEEEEENSD_19counting_iterator_tIlEES8_S8_S8_S8_S8_S8_S8_S8_EEEEPS9_S9_NSD_9__find_if7functorIS9_EEEE10hipError_tPvRmT1_T2_T3_mT4_P12ihipStream_tbEUlT_E1_NS1_11comp_targetILNS1_3genE8ELNS1_11target_archE1030ELNS1_3gpuE2ELNS1_3repE0EEENS1_30default_config_static_selectorELNS0_4arch9wavefront6targetE0EEEvS14_
    .private_segment_fixed_size: 0
    .sgpr_count:     34
    .sgpr_spill_count: 0
    .symbol:         _ZN7rocprim17ROCPRIM_400000_NS6detail17trampoline_kernelINS0_14default_configENS1_22reduce_config_selectorIN6thrust23THRUST_200600_302600_NS5tupleIblNS6_9null_typeES8_S8_S8_S8_S8_S8_S8_EEEEZNS1_11reduce_implILb1ES3_NS6_12zip_iteratorINS7_INS6_11hip_rocprim26transform_input_iterator_tIbNSD_35transform_pair_of_input_iterators_tIbNS6_6detail15normal_iteratorINS6_10device_ptrIKsEEEESL_NS6_8equal_toIsEEEENSG_9not_fun_tINSD_8identityEEEEENSD_19counting_iterator_tIlEES8_S8_S8_S8_S8_S8_S8_S8_EEEEPS9_S9_NSD_9__find_if7functorIS9_EEEE10hipError_tPvRmT1_T2_T3_mT4_P12ihipStream_tbEUlT_E1_NS1_11comp_targetILNS1_3genE8ELNS1_11target_archE1030ELNS1_3gpuE2ELNS1_3repE0EEENS1_30default_config_static_selectorELNS0_4arch9wavefront6targetE0EEEvS14_.kd
    .uniform_work_group_size: 1
    .uses_dynamic_stack: false
    .vgpr_count:     27
    .vgpr_spill_count: 0
    .wavefront_size: 32
    .workgroup_processor_mode: 1
  - .args:
      - .offset:         0
        .size:           16
        .value_kind:     by_value
      - .offset:         16
        .size:           8
        .value_kind:     by_value
      - .offset:         24
        .size:           8
        .value_kind:     by_value
    .group_segment_fixed_size: 0
    .kernarg_segment_align: 8
    .kernarg_segment_size: 32
    .language:       OpenCL C
    .language_version:
      - 2
      - 0
    .max_flat_workgroup_size: 256
    .name:           _ZN6thrust23THRUST_200600_302600_NS11hip_rocprim14__parallel_for6kernelILj256ENS1_20__uninitialized_fill7functorINS0_10device_ptrIiEEiEEmLj1EEEvT0_T1_SA_
    .private_segment_fixed_size: 0
    .sgpr_count:     14
    .sgpr_spill_count: 0
    .symbol:         _ZN6thrust23THRUST_200600_302600_NS11hip_rocprim14__parallel_for6kernelILj256ENS1_20__uninitialized_fill7functorINS0_10device_ptrIiEEiEEmLj1EEEvT0_T1_SA_.kd
    .uniform_work_group_size: 1
    .uses_dynamic_stack: false
    .vgpr_count:     4
    .vgpr_spill_count: 0
    .wavefront_size: 32
    .workgroup_processor_mode: 1
  - .args:
      - .offset:         0
        .size:           64
        .value_kind:     by_value
    .group_segment_fixed_size: 0
    .kernarg_segment_align: 8
    .kernarg_segment_size: 64
    .language:       OpenCL C
    .language_version:
      - 2
      - 0
    .max_flat_workgroup_size: 512
    .name:           _ZN7rocprim17ROCPRIM_400000_NS6detail17trampoline_kernelINS0_14default_configENS1_21merge_config_selectorINS0_5tupleIJddEEENS0_10empty_typeEEEZNS1_10merge_implIS3_NS0_12zip_iteratorINS5_IJN6thrust23THRUST_200600_302600_NS6detail15normal_iteratorINSC_10device_ptrIKdEEEESI_EEEEESK_NSA_INS5_IJNSE_INSF_IdEEEESM_EEEEEPS7_SP_SP_NSC_11hip_rocprim7__merge17predicate_wrapperIddNSC_7greaterIdEEEEEE10hipError_tPvRmT0_T1_T2_T3_T4_T5_mmT6_P12ihipStream_tbEUlT_E_NS1_11comp_targetILNS1_3genE0ELNS1_11target_archE4294967295ELNS1_3gpuE0ELNS1_3repE0EEENS1_30default_config_static_selectorELNS0_4arch9wavefront6targetE0EEEvS10_
    .private_segment_fixed_size: 0
    .sgpr_count:     0
    .sgpr_spill_count: 0
    .symbol:         _ZN7rocprim17ROCPRIM_400000_NS6detail17trampoline_kernelINS0_14default_configENS1_21merge_config_selectorINS0_5tupleIJddEEENS0_10empty_typeEEEZNS1_10merge_implIS3_NS0_12zip_iteratorINS5_IJN6thrust23THRUST_200600_302600_NS6detail15normal_iteratorINSC_10device_ptrIKdEEEESI_EEEEESK_NSA_INS5_IJNSE_INSF_IdEEEESM_EEEEEPS7_SP_SP_NSC_11hip_rocprim7__merge17predicate_wrapperIddNSC_7greaterIdEEEEEE10hipError_tPvRmT0_T1_T2_T3_T4_T5_mmT6_P12ihipStream_tbEUlT_E_NS1_11comp_targetILNS1_3genE0ELNS1_11target_archE4294967295ELNS1_3gpuE0ELNS1_3repE0EEENS1_30default_config_static_selectorELNS0_4arch9wavefront6targetE0EEEvS10_.kd
    .uniform_work_group_size: 1
    .uses_dynamic_stack: false
    .vgpr_count:     0
    .vgpr_spill_count: 0
    .wavefront_size: 32
    .workgroup_processor_mode: 1
  - .args:
      - .offset:         0
        .size:           64
        .value_kind:     by_value
    .group_segment_fixed_size: 0
    .kernarg_segment_align: 8
    .kernarg_segment_size: 64
    .language:       OpenCL C
    .language_version:
      - 2
      - 0
    .max_flat_workgroup_size: 256
    .name:           _ZN7rocprim17ROCPRIM_400000_NS6detail17trampoline_kernelINS0_14default_configENS1_21merge_config_selectorINS0_5tupleIJddEEENS0_10empty_typeEEEZNS1_10merge_implIS3_NS0_12zip_iteratorINS5_IJN6thrust23THRUST_200600_302600_NS6detail15normal_iteratorINSC_10device_ptrIKdEEEESI_EEEEESK_NSA_INS5_IJNSE_INSF_IdEEEESM_EEEEEPS7_SP_SP_NSC_11hip_rocprim7__merge17predicate_wrapperIddNSC_7greaterIdEEEEEE10hipError_tPvRmT0_T1_T2_T3_T4_T5_mmT6_P12ihipStream_tbEUlT_E_NS1_11comp_targetILNS1_3genE5ELNS1_11target_archE942ELNS1_3gpuE9ELNS1_3repE0EEENS1_30default_config_static_selectorELNS0_4arch9wavefront6targetE0EEEvS10_
    .private_segment_fixed_size: 0
    .sgpr_count:     0
    .sgpr_spill_count: 0
    .symbol:         _ZN7rocprim17ROCPRIM_400000_NS6detail17trampoline_kernelINS0_14default_configENS1_21merge_config_selectorINS0_5tupleIJddEEENS0_10empty_typeEEEZNS1_10merge_implIS3_NS0_12zip_iteratorINS5_IJN6thrust23THRUST_200600_302600_NS6detail15normal_iteratorINSC_10device_ptrIKdEEEESI_EEEEESK_NSA_INS5_IJNSE_INSF_IdEEEESM_EEEEEPS7_SP_SP_NSC_11hip_rocprim7__merge17predicate_wrapperIddNSC_7greaterIdEEEEEE10hipError_tPvRmT0_T1_T2_T3_T4_T5_mmT6_P12ihipStream_tbEUlT_E_NS1_11comp_targetILNS1_3genE5ELNS1_11target_archE942ELNS1_3gpuE9ELNS1_3repE0EEENS1_30default_config_static_selectorELNS0_4arch9wavefront6targetE0EEEvS10_.kd
    .uniform_work_group_size: 1
    .uses_dynamic_stack: false
    .vgpr_count:     0
    .vgpr_spill_count: 0
    .wavefront_size: 32
    .workgroup_processor_mode: 1
  - .args:
      - .offset:         0
        .size:           64
        .value_kind:     by_value
    .group_segment_fixed_size: 0
    .kernarg_segment_align: 8
    .kernarg_segment_size: 64
    .language:       OpenCL C
    .language_version:
      - 2
      - 0
    .max_flat_workgroup_size: 512
    .name:           _ZN7rocprim17ROCPRIM_400000_NS6detail17trampoline_kernelINS0_14default_configENS1_21merge_config_selectorINS0_5tupleIJddEEENS0_10empty_typeEEEZNS1_10merge_implIS3_NS0_12zip_iteratorINS5_IJN6thrust23THRUST_200600_302600_NS6detail15normal_iteratorINSC_10device_ptrIKdEEEESI_EEEEESK_NSA_INS5_IJNSE_INSF_IdEEEESM_EEEEEPS7_SP_SP_NSC_11hip_rocprim7__merge17predicate_wrapperIddNSC_7greaterIdEEEEEE10hipError_tPvRmT0_T1_T2_T3_T4_T5_mmT6_P12ihipStream_tbEUlT_E_NS1_11comp_targetILNS1_3genE4ELNS1_11target_archE910ELNS1_3gpuE8ELNS1_3repE0EEENS1_30default_config_static_selectorELNS0_4arch9wavefront6targetE0EEEvS10_
    .private_segment_fixed_size: 0
    .sgpr_count:     0
    .sgpr_spill_count: 0
    .symbol:         _ZN7rocprim17ROCPRIM_400000_NS6detail17trampoline_kernelINS0_14default_configENS1_21merge_config_selectorINS0_5tupleIJddEEENS0_10empty_typeEEEZNS1_10merge_implIS3_NS0_12zip_iteratorINS5_IJN6thrust23THRUST_200600_302600_NS6detail15normal_iteratorINSC_10device_ptrIKdEEEESI_EEEEESK_NSA_INS5_IJNSE_INSF_IdEEEESM_EEEEEPS7_SP_SP_NSC_11hip_rocprim7__merge17predicate_wrapperIddNSC_7greaterIdEEEEEE10hipError_tPvRmT0_T1_T2_T3_T4_T5_mmT6_P12ihipStream_tbEUlT_E_NS1_11comp_targetILNS1_3genE4ELNS1_11target_archE910ELNS1_3gpuE8ELNS1_3repE0EEENS1_30default_config_static_selectorELNS0_4arch9wavefront6targetE0EEEvS10_.kd
    .uniform_work_group_size: 1
    .uses_dynamic_stack: false
    .vgpr_count:     0
    .vgpr_spill_count: 0
    .wavefront_size: 32
    .workgroup_processor_mode: 1
  - .args:
      - .offset:         0
        .size:           64
        .value_kind:     by_value
    .group_segment_fixed_size: 0
    .kernarg_segment_align: 8
    .kernarg_segment_size: 64
    .language:       OpenCL C
    .language_version:
      - 2
      - 0
    .max_flat_workgroup_size: 512
    .name:           _ZN7rocprim17ROCPRIM_400000_NS6detail17trampoline_kernelINS0_14default_configENS1_21merge_config_selectorINS0_5tupleIJddEEENS0_10empty_typeEEEZNS1_10merge_implIS3_NS0_12zip_iteratorINS5_IJN6thrust23THRUST_200600_302600_NS6detail15normal_iteratorINSC_10device_ptrIKdEEEESI_EEEEESK_NSA_INS5_IJNSE_INSF_IdEEEESM_EEEEEPS7_SP_SP_NSC_11hip_rocprim7__merge17predicate_wrapperIddNSC_7greaterIdEEEEEE10hipError_tPvRmT0_T1_T2_T3_T4_T5_mmT6_P12ihipStream_tbEUlT_E_NS1_11comp_targetILNS1_3genE3ELNS1_11target_archE908ELNS1_3gpuE7ELNS1_3repE0EEENS1_30default_config_static_selectorELNS0_4arch9wavefront6targetE0EEEvS10_
    .private_segment_fixed_size: 0
    .sgpr_count:     0
    .sgpr_spill_count: 0
    .symbol:         _ZN7rocprim17ROCPRIM_400000_NS6detail17trampoline_kernelINS0_14default_configENS1_21merge_config_selectorINS0_5tupleIJddEEENS0_10empty_typeEEEZNS1_10merge_implIS3_NS0_12zip_iteratorINS5_IJN6thrust23THRUST_200600_302600_NS6detail15normal_iteratorINSC_10device_ptrIKdEEEESI_EEEEESK_NSA_INS5_IJNSE_INSF_IdEEEESM_EEEEEPS7_SP_SP_NSC_11hip_rocprim7__merge17predicate_wrapperIddNSC_7greaterIdEEEEEE10hipError_tPvRmT0_T1_T2_T3_T4_T5_mmT6_P12ihipStream_tbEUlT_E_NS1_11comp_targetILNS1_3genE3ELNS1_11target_archE908ELNS1_3gpuE7ELNS1_3repE0EEENS1_30default_config_static_selectorELNS0_4arch9wavefront6targetE0EEEvS10_.kd
    .uniform_work_group_size: 1
    .uses_dynamic_stack: false
    .vgpr_count:     0
    .vgpr_spill_count: 0
    .wavefront_size: 32
    .workgroup_processor_mode: 1
  - .args:
      - .offset:         0
        .size:           64
        .value_kind:     by_value
    .group_segment_fixed_size: 0
    .kernarg_segment_align: 8
    .kernarg_segment_size: 64
    .language:       OpenCL C
    .language_version:
      - 2
      - 0
    .max_flat_workgroup_size: 512
    .name:           _ZN7rocprim17ROCPRIM_400000_NS6detail17trampoline_kernelINS0_14default_configENS1_21merge_config_selectorINS0_5tupleIJddEEENS0_10empty_typeEEEZNS1_10merge_implIS3_NS0_12zip_iteratorINS5_IJN6thrust23THRUST_200600_302600_NS6detail15normal_iteratorINSC_10device_ptrIKdEEEESI_EEEEESK_NSA_INS5_IJNSE_INSF_IdEEEESM_EEEEEPS7_SP_SP_NSC_11hip_rocprim7__merge17predicate_wrapperIddNSC_7greaterIdEEEEEE10hipError_tPvRmT0_T1_T2_T3_T4_T5_mmT6_P12ihipStream_tbEUlT_E_NS1_11comp_targetILNS1_3genE2ELNS1_11target_archE906ELNS1_3gpuE6ELNS1_3repE0EEENS1_30default_config_static_selectorELNS0_4arch9wavefront6targetE0EEEvS10_
    .private_segment_fixed_size: 0
    .sgpr_count:     0
    .sgpr_spill_count: 0
    .symbol:         _ZN7rocprim17ROCPRIM_400000_NS6detail17trampoline_kernelINS0_14default_configENS1_21merge_config_selectorINS0_5tupleIJddEEENS0_10empty_typeEEEZNS1_10merge_implIS3_NS0_12zip_iteratorINS5_IJN6thrust23THRUST_200600_302600_NS6detail15normal_iteratorINSC_10device_ptrIKdEEEESI_EEEEESK_NSA_INS5_IJNSE_INSF_IdEEEESM_EEEEEPS7_SP_SP_NSC_11hip_rocprim7__merge17predicate_wrapperIddNSC_7greaterIdEEEEEE10hipError_tPvRmT0_T1_T2_T3_T4_T5_mmT6_P12ihipStream_tbEUlT_E_NS1_11comp_targetILNS1_3genE2ELNS1_11target_archE906ELNS1_3gpuE6ELNS1_3repE0EEENS1_30default_config_static_selectorELNS0_4arch9wavefront6targetE0EEEvS10_.kd
    .uniform_work_group_size: 1
    .uses_dynamic_stack: false
    .vgpr_count:     0
    .vgpr_spill_count: 0
    .wavefront_size: 32
    .workgroup_processor_mode: 1
  - .args:
      - .offset:         0
        .size:           64
        .value_kind:     by_value
    .group_segment_fixed_size: 0
    .kernarg_segment_align: 8
    .kernarg_segment_size: 64
    .language:       OpenCL C
    .language_version:
      - 2
      - 0
    .max_flat_workgroup_size: 512
    .name:           _ZN7rocprim17ROCPRIM_400000_NS6detail17trampoline_kernelINS0_14default_configENS1_21merge_config_selectorINS0_5tupleIJddEEENS0_10empty_typeEEEZNS1_10merge_implIS3_NS0_12zip_iteratorINS5_IJN6thrust23THRUST_200600_302600_NS6detail15normal_iteratorINSC_10device_ptrIKdEEEESI_EEEEESK_NSA_INS5_IJNSE_INSF_IdEEEESM_EEEEEPS7_SP_SP_NSC_11hip_rocprim7__merge17predicate_wrapperIddNSC_7greaterIdEEEEEE10hipError_tPvRmT0_T1_T2_T3_T4_T5_mmT6_P12ihipStream_tbEUlT_E_NS1_11comp_targetILNS1_3genE10ELNS1_11target_archE1201ELNS1_3gpuE5ELNS1_3repE0EEENS1_30default_config_static_selectorELNS0_4arch9wavefront6targetE0EEEvS10_
    .private_segment_fixed_size: 0
    .sgpr_count:     0
    .sgpr_spill_count: 0
    .symbol:         _ZN7rocprim17ROCPRIM_400000_NS6detail17trampoline_kernelINS0_14default_configENS1_21merge_config_selectorINS0_5tupleIJddEEENS0_10empty_typeEEEZNS1_10merge_implIS3_NS0_12zip_iteratorINS5_IJN6thrust23THRUST_200600_302600_NS6detail15normal_iteratorINSC_10device_ptrIKdEEEESI_EEEEESK_NSA_INS5_IJNSE_INSF_IdEEEESM_EEEEEPS7_SP_SP_NSC_11hip_rocprim7__merge17predicate_wrapperIddNSC_7greaterIdEEEEEE10hipError_tPvRmT0_T1_T2_T3_T4_T5_mmT6_P12ihipStream_tbEUlT_E_NS1_11comp_targetILNS1_3genE10ELNS1_11target_archE1201ELNS1_3gpuE5ELNS1_3repE0EEENS1_30default_config_static_selectorELNS0_4arch9wavefront6targetE0EEEvS10_.kd
    .uniform_work_group_size: 1
    .uses_dynamic_stack: false
    .vgpr_count:     0
    .vgpr_spill_count: 0
    .wavefront_size: 32
    .workgroup_processor_mode: 1
  - .args:
      - .offset:         0
        .size:           64
        .value_kind:     by_value
    .group_segment_fixed_size: 0
    .kernarg_segment_align: 8
    .kernarg_segment_size: 64
    .language:       OpenCL C
    .language_version:
      - 2
      - 0
    .max_flat_workgroup_size: 256
    .name:           _ZN7rocprim17ROCPRIM_400000_NS6detail17trampoline_kernelINS0_14default_configENS1_21merge_config_selectorINS0_5tupleIJddEEENS0_10empty_typeEEEZNS1_10merge_implIS3_NS0_12zip_iteratorINS5_IJN6thrust23THRUST_200600_302600_NS6detail15normal_iteratorINSC_10device_ptrIKdEEEESI_EEEEESK_NSA_INS5_IJNSE_INSF_IdEEEESM_EEEEEPS7_SP_SP_NSC_11hip_rocprim7__merge17predicate_wrapperIddNSC_7greaterIdEEEEEE10hipError_tPvRmT0_T1_T2_T3_T4_T5_mmT6_P12ihipStream_tbEUlT_E_NS1_11comp_targetILNS1_3genE10ELNS1_11target_archE1200ELNS1_3gpuE4ELNS1_3repE0EEENS1_30default_config_static_selectorELNS0_4arch9wavefront6targetE0EEEvS10_
    .private_segment_fixed_size: 0
    .sgpr_count:     0
    .sgpr_spill_count: 0
    .symbol:         _ZN7rocprim17ROCPRIM_400000_NS6detail17trampoline_kernelINS0_14default_configENS1_21merge_config_selectorINS0_5tupleIJddEEENS0_10empty_typeEEEZNS1_10merge_implIS3_NS0_12zip_iteratorINS5_IJN6thrust23THRUST_200600_302600_NS6detail15normal_iteratorINSC_10device_ptrIKdEEEESI_EEEEESK_NSA_INS5_IJNSE_INSF_IdEEEESM_EEEEEPS7_SP_SP_NSC_11hip_rocprim7__merge17predicate_wrapperIddNSC_7greaterIdEEEEEE10hipError_tPvRmT0_T1_T2_T3_T4_T5_mmT6_P12ihipStream_tbEUlT_E_NS1_11comp_targetILNS1_3genE10ELNS1_11target_archE1200ELNS1_3gpuE4ELNS1_3repE0EEENS1_30default_config_static_selectorELNS0_4arch9wavefront6targetE0EEEvS10_.kd
    .uniform_work_group_size: 1
    .uses_dynamic_stack: false
    .vgpr_count:     0
    .vgpr_spill_count: 0
    .wavefront_size: 32
    .workgroup_processor_mode: 1
  - .args:
      - .offset:         0
        .size:           64
        .value_kind:     by_value
    .group_segment_fixed_size: 0
    .kernarg_segment_align: 8
    .kernarg_segment_size: 64
    .language:       OpenCL C
    .language_version:
      - 2
      - 0
    .max_flat_workgroup_size: 1024
    .name:           _ZN7rocprim17ROCPRIM_400000_NS6detail17trampoline_kernelINS0_14default_configENS1_21merge_config_selectorINS0_5tupleIJddEEENS0_10empty_typeEEEZNS1_10merge_implIS3_NS0_12zip_iteratorINS5_IJN6thrust23THRUST_200600_302600_NS6detail15normal_iteratorINSC_10device_ptrIKdEEEESI_EEEEESK_NSA_INS5_IJNSE_INSF_IdEEEESM_EEEEEPS7_SP_SP_NSC_11hip_rocprim7__merge17predicate_wrapperIddNSC_7greaterIdEEEEEE10hipError_tPvRmT0_T1_T2_T3_T4_T5_mmT6_P12ihipStream_tbEUlT_E_NS1_11comp_targetILNS1_3genE9ELNS1_11target_archE1100ELNS1_3gpuE3ELNS1_3repE0EEENS1_30default_config_static_selectorELNS0_4arch9wavefront6targetE0EEEvS10_
    .private_segment_fixed_size: 0
    .sgpr_count:     0
    .sgpr_spill_count: 0
    .symbol:         _ZN7rocprim17ROCPRIM_400000_NS6detail17trampoline_kernelINS0_14default_configENS1_21merge_config_selectorINS0_5tupleIJddEEENS0_10empty_typeEEEZNS1_10merge_implIS3_NS0_12zip_iteratorINS5_IJN6thrust23THRUST_200600_302600_NS6detail15normal_iteratorINSC_10device_ptrIKdEEEESI_EEEEESK_NSA_INS5_IJNSE_INSF_IdEEEESM_EEEEEPS7_SP_SP_NSC_11hip_rocprim7__merge17predicate_wrapperIddNSC_7greaterIdEEEEEE10hipError_tPvRmT0_T1_T2_T3_T4_T5_mmT6_P12ihipStream_tbEUlT_E_NS1_11comp_targetILNS1_3genE9ELNS1_11target_archE1100ELNS1_3gpuE3ELNS1_3repE0EEENS1_30default_config_static_selectorELNS0_4arch9wavefront6targetE0EEEvS10_.kd
    .uniform_work_group_size: 1
    .uses_dynamic_stack: false
    .vgpr_count:     0
    .vgpr_spill_count: 0
    .wavefront_size: 32
    .workgroup_processor_mode: 1
  - .args:
      - .offset:         0
        .size:           64
        .value_kind:     by_value
      - .offset:         64
        .size:           4
        .value_kind:     hidden_block_count_x
      - .offset:         68
        .size:           4
        .value_kind:     hidden_block_count_y
      - .offset:         72
        .size:           4
        .value_kind:     hidden_block_count_z
      - .offset:         76
        .size:           2
        .value_kind:     hidden_group_size_x
      - .offset:         78
        .size:           2
        .value_kind:     hidden_group_size_y
      - .offset:         80
        .size:           2
        .value_kind:     hidden_group_size_z
      - .offset:         82
        .size:           2
        .value_kind:     hidden_remainder_x
      - .offset:         84
        .size:           2
        .value_kind:     hidden_remainder_y
      - .offset:         86
        .size:           2
        .value_kind:     hidden_remainder_z
      - .offset:         104
        .size:           8
        .value_kind:     hidden_global_offset_x
      - .offset:         112
        .size:           8
        .value_kind:     hidden_global_offset_y
      - .offset:         120
        .size:           8
        .value_kind:     hidden_global_offset_z
      - .offset:         128
        .size:           2
        .value_kind:     hidden_grid_dims
    .group_segment_fixed_size: 0
    .kernarg_segment_align: 8
    .kernarg_segment_size: 320
    .language:       OpenCL C
    .language_version:
      - 2
      - 0
    .max_flat_workgroup_size: 256
    .name:           _ZN7rocprim17ROCPRIM_400000_NS6detail17trampoline_kernelINS0_14default_configENS1_21merge_config_selectorINS0_5tupleIJddEEENS0_10empty_typeEEEZNS1_10merge_implIS3_NS0_12zip_iteratorINS5_IJN6thrust23THRUST_200600_302600_NS6detail15normal_iteratorINSC_10device_ptrIKdEEEESI_EEEEESK_NSA_INS5_IJNSE_INSF_IdEEEESM_EEEEEPS7_SP_SP_NSC_11hip_rocprim7__merge17predicate_wrapperIddNSC_7greaterIdEEEEEE10hipError_tPvRmT0_T1_T2_T3_T4_T5_mmT6_P12ihipStream_tbEUlT_E_NS1_11comp_targetILNS1_3genE8ELNS1_11target_archE1030ELNS1_3gpuE2ELNS1_3repE0EEENS1_30default_config_static_selectorELNS0_4arch9wavefront6targetE0EEEvS10_
    .private_segment_fixed_size: 0
    .sgpr_count:     18
    .sgpr_spill_count: 0
    .symbol:         _ZN7rocprim17ROCPRIM_400000_NS6detail17trampoline_kernelINS0_14default_configENS1_21merge_config_selectorINS0_5tupleIJddEEENS0_10empty_typeEEEZNS1_10merge_implIS3_NS0_12zip_iteratorINS5_IJN6thrust23THRUST_200600_302600_NS6detail15normal_iteratorINSC_10device_ptrIKdEEEESI_EEEEESK_NSA_INS5_IJNSE_INSF_IdEEEESM_EEEEEPS7_SP_SP_NSC_11hip_rocprim7__merge17predicate_wrapperIddNSC_7greaterIdEEEEEE10hipError_tPvRmT0_T1_T2_T3_T4_T5_mmT6_P12ihipStream_tbEUlT_E_NS1_11comp_targetILNS1_3genE8ELNS1_11target_archE1030ELNS1_3gpuE2ELNS1_3repE0EEENS1_30default_config_static_selectorELNS0_4arch9wavefront6targetE0EEEvS10_.kd
    .uniform_work_group_size: 1
    .uses_dynamic_stack: false
    .vgpr_count:     13
    .vgpr_spill_count: 0
    .wavefront_size: 32
    .workgroup_processor_mode: 1
  - .args:
      - .offset:         0
        .size:           112
        .value_kind:     by_value
    .group_segment_fixed_size: 0
    .kernarg_segment_align: 8
    .kernarg_segment_size: 112
    .language:       OpenCL C
    .language_version:
      - 2
      - 0
    .max_flat_workgroup_size: 512
    .name:           _ZN7rocprim17ROCPRIM_400000_NS6detail17trampoline_kernelINS0_14default_configENS1_21merge_config_selectorINS0_5tupleIJddEEENS0_10empty_typeEEEZNS1_10merge_implIS3_NS0_12zip_iteratorINS5_IJN6thrust23THRUST_200600_302600_NS6detail15normal_iteratorINSC_10device_ptrIKdEEEESI_EEEEESK_NSA_INS5_IJNSE_INSF_IdEEEESM_EEEEEPS7_SP_SP_NSC_11hip_rocprim7__merge17predicate_wrapperIddNSC_7greaterIdEEEEEE10hipError_tPvRmT0_T1_T2_T3_T4_T5_mmT6_P12ihipStream_tbEUlT_E0_NS1_11comp_targetILNS1_3genE0ELNS1_11target_archE4294967295ELNS1_3gpuE0ELNS1_3repE0EEENS1_30default_config_static_selectorELNS0_4arch9wavefront6targetE0EEEvS10_
    .private_segment_fixed_size: 0
    .sgpr_count:     0
    .sgpr_spill_count: 0
    .symbol:         _ZN7rocprim17ROCPRIM_400000_NS6detail17trampoline_kernelINS0_14default_configENS1_21merge_config_selectorINS0_5tupleIJddEEENS0_10empty_typeEEEZNS1_10merge_implIS3_NS0_12zip_iteratorINS5_IJN6thrust23THRUST_200600_302600_NS6detail15normal_iteratorINSC_10device_ptrIKdEEEESI_EEEEESK_NSA_INS5_IJNSE_INSF_IdEEEESM_EEEEEPS7_SP_SP_NSC_11hip_rocprim7__merge17predicate_wrapperIddNSC_7greaterIdEEEEEE10hipError_tPvRmT0_T1_T2_T3_T4_T5_mmT6_P12ihipStream_tbEUlT_E0_NS1_11comp_targetILNS1_3genE0ELNS1_11target_archE4294967295ELNS1_3gpuE0ELNS1_3repE0EEENS1_30default_config_static_selectorELNS0_4arch9wavefront6targetE0EEEvS10_.kd
    .uniform_work_group_size: 1
    .uses_dynamic_stack: false
    .vgpr_count:     0
    .vgpr_spill_count: 0
    .wavefront_size: 32
    .workgroup_processor_mode: 1
  - .args:
      - .offset:         0
        .size:           112
        .value_kind:     by_value
    .group_segment_fixed_size: 0
    .kernarg_segment_align: 8
    .kernarg_segment_size: 112
    .language:       OpenCL C
    .language_version:
      - 2
      - 0
    .max_flat_workgroup_size: 256
    .name:           _ZN7rocprim17ROCPRIM_400000_NS6detail17trampoline_kernelINS0_14default_configENS1_21merge_config_selectorINS0_5tupleIJddEEENS0_10empty_typeEEEZNS1_10merge_implIS3_NS0_12zip_iteratorINS5_IJN6thrust23THRUST_200600_302600_NS6detail15normal_iteratorINSC_10device_ptrIKdEEEESI_EEEEESK_NSA_INS5_IJNSE_INSF_IdEEEESM_EEEEEPS7_SP_SP_NSC_11hip_rocprim7__merge17predicate_wrapperIddNSC_7greaterIdEEEEEE10hipError_tPvRmT0_T1_T2_T3_T4_T5_mmT6_P12ihipStream_tbEUlT_E0_NS1_11comp_targetILNS1_3genE5ELNS1_11target_archE942ELNS1_3gpuE9ELNS1_3repE0EEENS1_30default_config_static_selectorELNS0_4arch9wavefront6targetE0EEEvS10_
    .private_segment_fixed_size: 0
    .sgpr_count:     0
    .sgpr_spill_count: 0
    .symbol:         _ZN7rocprim17ROCPRIM_400000_NS6detail17trampoline_kernelINS0_14default_configENS1_21merge_config_selectorINS0_5tupleIJddEEENS0_10empty_typeEEEZNS1_10merge_implIS3_NS0_12zip_iteratorINS5_IJN6thrust23THRUST_200600_302600_NS6detail15normal_iteratorINSC_10device_ptrIKdEEEESI_EEEEESK_NSA_INS5_IJNSE_INSF_IdEEEESM_EEEEEPS7_SP_SP_NSC_11hip_rocprim7__merge17predicate_wrapperIddNSC_7greaterIdEEEEEE10hipError_tPvRmT0_T1_T2_T3_T4_T5_mmT6_P12ihipStream_tbEUlT_E0_NS1_11comp_targetILNS1_3genE5ELNS1_11target_archE942ELNS1_3gpuE9ELNS1_3repE0EEENS1_30default_config_static_selectorELNS0_4arch9wavefront6targetE0EEEvS10_.kd
    .uniform_work_group_size: 1
    .uses_dynamic_stack: false
    .vgpr_count:     0
    .vgpr_spill_count: 0
    .wavefront_size: 32
    .workgroup_processor_mode: 1
  - .args:
      - .offset:         0
        .size:           112
        .value_kind:     by_value
    .group_segment_fixed_size: 0
    .kernarg_segment_align: 8
    .kernarg_segment_size: 112
    .language:       OpenCL C
    .language_version:
      - 2
      - 0
    .max_flat_workgroup_size: 512
    .name:           _ZN7rocprim17ROCPRIM_400000_NS6detail17trampoline_kernelINS0_14default_configENS1_21merge_config_selectorINS0_5tupleIJddEEENS0_10empty_typeEEEZNS1_10merge_implIS3_NS0_12zip_iteratorINS5_IJN6thrust23THRUST_200600_302600_NS6detail15normal_iteratorINSC_10device_ptrIKdEEEESI_EEEEESK_NSA_INS5_IJNSE_INSF_IdEEEESM_EEEEEPS7_SP_SP_NSC_11hip_rocprim7__merge17predicate_wrapperIddNSC_7greaterIdEEEEEE10hipError_tPvRmT0_T1_T2_T3_T4_T5_mmT6_P12ihipStream_tbEUlT_E0_NS1_11comp_targetILNS1_3genE4ELNS1_11target_archE910ELNS1_3gpuE8ELNS1_3repE0EEENS1_30default_config_static_selectorELNS0_4arch9wavefront6targetE0EEEvS10_
    .private_segment_fixed_size: 0
    .sgpr_count:     0
    .sgpr_spill_count: 0
    .symbol:         _ZN7rocprim17ROCPRIM_400000_NS6detail17trampoline_kernelINS0_14default_configENS1_21merge_config_selectorINS0_5tupleIJddEEENS0_10empty_typeEEEZNS1_10merge_implIS3_NS0_12zip_iteratorINS5_IJN6thrust23THRUST_200600_302600_NS6detail15normal_iteratorINSC_10device_ptrIKdEEEESI_EEEEESK_NSA_INS5_IJNSE_INSF_IdEEEESM_EEEEEPS7_SP_SP_NSC_11hip_rocprim7__merge17predicate_wrapperIddNSC_7greaterIdEEEEEE10hipError_tPvRmT0_T1_T2_T3_T4_T5_mmT6_P12ihipStream_tbEUlT_E0_NS1_11comp_targetILNS1_3genE4ELNS1_11target_archE910ELNS1_3gpuE8ELNS1_3repE0EEENS1_30default_config_static_selectorELNS0_4arch9wavefront6targetE0EEEvS10_.kd
    .uniform_work_group_size: 1
    .uses_dynamic_stack: false
    .vgpr_count:     0
    .vgpr_spill_count: 0
    .wavefront_size: 32
    .workgroup_processor_mode: 1
  - .args:
      - .offset:         0
        .size:           112
        .value_kind:     by_value
    .group_segment_fixed_size: 0
    .kernarg_segment_align: 8
    .kernarg_segment_size: 112
    .language:       OpenCL C
    .language_version:
      - 2
      - 0
    .max_flat_workgroup_size: 512
    .name:           _ZN7rocprim17ROCPRIM_400000_NS6detail17trampoline_kernelINS0_14default_configENS1_21merge_config_selectorINS0_5tupleIJddEEENS0_10empty_typeEEEZNS1_10merge_implIS3_NS0_12zip_iteratorINS5_IJN6thrust23THRUST_200600_302600_NS6detail15normal_iteratorINSC_10device_ptrIKdEEEESI_EEEEESK_NSA_INS5_IJNSE_INSF_IdEEEESM_EEEEEPS7_SP_SP_NSC_11hip_rocprim7__merge17predicate_wrapperIddNSC_7greaterIdEEEEEE10hipError_tPvRmT0_T1_T2_T3_T4_T5_mmT6_P12ihipStream_tbEUlT_E0_NS1_11comp_targetILNS1_3genE3ELNS1_11target_archE908ELNS1_3gpuE7ELNS1_3repE0EEENS1_30default_config_static_selectorELNS0_4arch9wavefront6targetE0EEEvS10_
    .private_segment_fixed_size: 0
    .sgpr_count:     0
    .sgpr_spill_count: 0
    .symbol:         _ZN7rocprim17ROCPRIM_400000_NS6detail17trampoline_kernelINS0_14default_configENS1_21merge_config_selectorINS0_5tupleIJddEEENS0_10empty_typeEEEZNS1_10merge_implIS3_NS0_12zip_iteratorINS5_IJN6thrust23THRUST_200600_302600_NS6detail15normal_iteratorINSC_10device_ptrIKdEEEESI_EEEEESK_NSA_INS5_IJNSE_INSF_IdEEEESM_EEEEEPS7_SP_SP_NSC_11hip_rocprim7__merge17predicate_wrapperIddNSC_7greaterIdEEEEEE10hipError_tPvRmT0_T1_T2_T3_T4_T5_mmT6_P12ihipStream_tbEUlT_E0_NS1_11comp_targetILNS1_3genE3ELNS1_11target_archE908ELNS1_3gpuE7ELNS1_3repE0EEENS1_30default_config_static_selectorELNS0_4arch9wavefront6targetE0EEEvS10_.kd
    .uniform_work_group_size: 1
    .uses_dynamic_stack: false
    .vgpr_count:     0
    .vgpr_spill_count: 0
    .wavefront_size: 32
    .workgroup_processor_mode: 1
  - .args:
      - .offset:         0
        .size:           112
        .value_kind:     by_value
    .group_segment_fixed_size: 0
    .kernarg_segment_align: 8
    .kernarg_segment_size: 112
    .language:       OpenCL C
    .language_version:
      - 2
      - 0
    .max_flat_workgroup_size: 512
    .name:           _ZN7rocprim17ROCPRIM_400000_NS6detail17trampoline_kernelINS0_14default_configENS1_21merge_config_selectorINS0_5tupleIJddEEENS0_10empty_typeEEEZNS1_10merge_implIS3_NS0_12zip_iteratorINS5_IJN6thrust23THRUST_200600_302600_NS6detail15normal_iteratorINSC_10device_ptrIKdEEEESI_EEEEESK_NSA_INS5_IJNSE_INSF_IdEEEESM_EEEEEPS7_SP_SP_NSC_11hip_rocprim7__merge17predicate_wrapperIddNSC_7greaterIdEEEEEE10hipError_tPvRmT0_T1_T2_T3_T4_T5_mmT6_P12ihipStream_tbEUlT_E0_NS1_11comp_targetILNS1_3genE2ELNS1_11target_archE906ELNS1_3gpuE6ELNS1_3repE0EEENS1_30default_config_static_selectorELNS0_4arch9wavefront6targetE0EEEvS10_
    .private_segment_fixed_size: 0
    .sgpr_count:     0
    .sgpr_spill_count: 0
    .symbol:         _ZN7rocprim17ROCPRIM_400000_NS6detail17trampoline_kernelINS0_14default_configENS1_21merge_config_selectorINS0_5tupleIJddEEENS0_10empty_typeEEEZNS1_10merge_implIS3_NS0_12zip_iteratorINS5_IJN6thrust23THRUST_200600_302600_NS6detail15normal_iteratorINSC_10device_ptrIKdEEEESI_EEEEESK_NSA_INS5_IJNSE_INSF_IdEEEESM_EEEEEPS7_SP_SP_NSC_11hip_rocprim7__merge17predicate_wrapperIddNSC_7greaterIdEEEEEE10hipError_tPvRmT0_T1_T2_T3_T4_T5_mmT6_P12ihipStream_tbEUlT_E0_NS1_11comp_targetILNS1_3genE2ELNS1_11target_archE906ELNS1_3gpuE6ELNS1_3repE0EEENS1_30default_config_static_selectorELNS0_4arch9wavefront6targetE0EEEvS10_.kd
    .uniform_work_group_size: 1
    .uses_dynamic_stack: false
    .vgpr_count:     0
    .vgpr_spill_count: 0
    .wavefront_size: 32
    .workgroup_processor_mode: 1
  - .args:
      - .offset:         0
        .size:           112
        .value_kind:     by_value
    .group_segment_fixed_size: 0
    .kernarg_segment_align: 8
    .kernarg_segment_size: 112
    .language:       OpenCL C
    .language_version:
      - 2
      - 0
    .max_flat_workgroup_size: 512
    .name:           _ZN7rocprim17ROCPRIM_400000_NS6detail17trampoline_kernelINS0_14default_configENS1_21merge_config_selectorINS0_5tupleIJddEEENS0_10empty_typeEEEZNS1_10merge_implIS3_NS0_12zip_iteratorINS5_IJN6thrust23THRUST_200600_302600_NS6detail15normal_iteratorINSC_10device_ptrIKdEEEESI_EEEEESK_NSA_INS5_IJNSE_INSF_IdEEEESM_EEEEEPS7_SP_SP_NSC_11hip_rocprim7__merge17predicate_wrapperIddNSC_7greaterIdEEEEEE10hipError_tPvRmT0_T1_T2_T3_T4_T5_mmT6_P12ihipStream_tbEUlT_E0_NS1_11comp_targetILNS1_3genE10ELNS1_11target_archE1201ELNS1_3gpuE5ELNS1_3repE0EEENS1_30default_config_static_selectorELNS0_4arch9wavefront6targetE0EEEvS10_
    .private_segment_fixed_size: 0
    .sgpr_count:     0
    .sgpr_spill_count: 0
    .symbol:         _ZN7rocprim17ROCPRIM_400000_NS6detail17trampoline_kernelINS0_14default_configENS1_21merge_config_selectorINS0_5tupleIJddEEENS0_10empty_typeEEEZNS1_10merge_implIS3_NS0_12zip_iteratorINS5_IJN6thrust23THRUST_200600_302600_NS6detail15normal_iteratorINSC_10device_ptrIKdEEEESI_EEEEESK_NSA_INS5_IJNSE_INSF_IdEEEESM_EEEEEPS7_SP_SP_NSC_11hip_rocprim7__merge17predicate_wrapperIddNSC_7greaterIdEEEEEE10hipError_tPvRmT0_T1_T2_T3_T4_T5_mmT6_P12ihipStream_tbEUlT_E0_NS1_11comp_targetILNS1_3genE10ELNS1_11target_archE1201ELNS1_3gpuE5ELNS1_3repE0EEENS1_30default_config_static_selectorELNS0_4arch9wavefront6targetE0EEEvS10_.kd
    .uniform_work_group_size: 1
    .uses_dynamic_stack: false
    .vgpr_count:     0
    .vgpr_spill_count: 0
    .wavefront_size: 32
    .workgroup_processor_mode: 1
  - .args:
      - .offset:         0
        .size:           112
        .value_kind:     by_value
    .group_segment_fixed_size: 0
    .kernarg_segment_align: 8
    .kernarg_segment_size: 112
    .language:       OpenCL C
    .language_version:
      - 2
      - 0
    .max_flat_workgroup_size: 256
    .name:           _ZN7rocprim17ROCPRIM_400000_NS6detail17trampoline_kernelINS0_14default_configENS1_21merge_config_selectorINS0_5tupleIJddEEENS0_10empty_typeEEEZNS1_10merge_implIS3_NS0_12zip_iteratorINS5_IJN6thrust23THRUST_200600_302600_NS6detail15normal_iteratorINSC_10device_ptrIKdEEEESI_EEEEESK_NSA_INS5_IJNSE_INSF_IdEEEESM_EEEEEPS7_SP_SP_NSC_11hip_rocprim7__merge17predicate_wrapperIddNSC_7greaterIdEEEEEE10hipError_tPvRmT0_T1_T2_T3_T4_T5_mmT6_P12ihipStream_tbEUlT_E0_NS1_11comp_targetILNS1_3genE10ELNS1_11target_archE1200ELNS1_3gpuE4ELNS1_3repE0EEENS1_30default_config_static_selectorELNS0_4arch9wavefront6targetE0EEEvS10_
    .private_segment_fixed_size: 0
    .sgpr_count:     0
    .sgpr_spill_count: 0
    .symbol:         _ZN7rocprim17ROCPRIM_400000_NS6detail17trampoline_kernelINS0_14default_configENS1_21merge_config_selectorINS0_5tupleIJddEEENS0_10empty_typeEEEZNS1_10merge_implIS3_NS0_12zip_iteratorINS5_IJN6thrust23THRUST_200600_302600_NS6detail15normal_iteratorINSC_10device_ptrIKdEEEESI_EEEEESK_NSA_INS5_IJNSE_INSF_IdEEEESM_EEEEEPS7_SP_SP_NSC_11hip_rocprim7__merge17predicate_wrapperIddNSC_7greaterIdEEEEEE10hipError_tPvRmT0_T1_T2_T3_T4_T5_mmT6_P12ihipStream_tbEUlT_E0_NS1_11comp_targetILNS1_3genE10ELNS1_11target_archE1200ELNS1_3gpuE4ELNS1_3repE0EEENS1_30default_config_static_selectorELNS0_4arch9wavefront6targetE0EEEvS10_.kd
    .uniform_work_group_size: 1
    .uses_dynamic_stack: false
    .vgpr_count:     0
    .vgpr_spill_count: 0
    .wavefront_size: 32
    .workgroup_processor_mode: 1
  - .args:
      - .offset:         0
        .size:           112
        .value_kind:     by_value
    .group_segment_fixed_size: 0
    .kernarg_segment_align: 8
    .kernarg_segment_size: 112
    .language:       OpenCL C
    .language_version:
      - 2
      - 0
    .max_flat_workgroup_size: 1024
    .name:           _ZN7rocprim17ROCPRIM_400000_NS6detail17trampoline_kernelINS0_14default_configENS1_21merge_config_selectorINS0_5tupleIJddEEENS0_10empty_typeEEEZNS1_10merge_implIS3_NS0_12zip_iteratorINS5_IJN6thrust23THRUST_200600_302600_NS6detail15normal_iteratorINSC_10device_ptrIKdEEEESI_EEEEESK_NSA_INS5_IJNSE_INSF_IdEEEESM_EEEEEPS7_SP_SP_NSC_11hip_rocprim7__merge17predicate_wrapperIddNSC_7greaterIdEEEEEE10hipError_tPvRmT0_T1_T2_T3_T4_T5_mmT6_P12ihipStream_tbEUlT_E0_NS1_11comp_targetILNS1_3genE9ELNS1_11target_archE1100ELNS1_3gpuE3ELNS1_3repE0EEENS1_30default_config_static_selectorELNS0_4arch9wavefront6targetE0EEEvS10_
    .private_segment_fixed_size: 0
    .sgpr_count:     0
    .sgpr_spill_count: 0
    .symbol:         _ZN7rocprim17ROCPRIM_400000_NS6detail17trampoline_kernelINS0_14default_configENS1_21merge_config_selectorINS0_5tupleIJddEEENS0_10empty_typeEEEZNS1_10merge_implIS3_NS0_12zip_iteratorINS5_IJN6thrust23THRUST_200600_302600_NS6detail15normal_iteratorINSC_10device_ptrIKdEEEESI_EEEEESK_NSA_INS5_IJNSE_INSF_IdEEEESM_EEEEEPS7_SP_SP_NSC_11hip_rocprim7__merge17predicate_wrapperIddNSC_7greaterIdEEEEEE10hipError_tPvRmT0_T1_T2_T3_T4_T5_mmT6_P12ihipStream_tbEUlT_E0_NS1_11comp_targetILNS1_3genE9ELNS1_11target_archE1100ELNS1_3gpuE3ELNS1_3repE0EEENS1_30default_config_static_selectorELNS0_4arch9wavefront6targetE0EEEvS10_.kd
    .uniform_work_group_size: 1
    .uses_dynamic_stack: false
    .vgpr_count:     0
    .vgpr_spill_count: 0
    .wavefront_size: 32
    .workgroup_processor_mode: 1
  - .args:
      - .offset:         0
        .size:           112
        .value_kind:     by_value
    .group_segment_fixed_size: 33792
    .kernarg_segment_align: 8
    .kernarg_segment_size: 112
    .language:       OpenCL C
    .language_version:
      - 2
      - 0
    .max_flat_workgroup_size: 256
    .name:           _ZN7rocprim17ROCPRIM_400000_NS6detail17trampoline_kernelINS0_14default_configENS1_21merge_config_selectorINS0_5tupleIJddEEENS0_10empty_typeEEEZNS1_10merge_implIS3_NS0_12zip_iteratorINS5_IJN6thrust23THRUST_200600_302600_NS6detail15normal_iteratorINSC_10device_ptrIKdEEEESI_EEEEESK_NSA_INS5_IJNSE_INSF_IdEEEESM_EEEEEPS7_SP_SP_NSC_11hip_rocprim7__merge17predicate_wrapperIddNSC_7greaterIdEEEEEE10hipError_tPvRmT0_T1_T2_T3_T4_T5_mmT6_P12ihipStream_tbEUlT_E0_NS1_11comp_targetILNS1_3genE8ELNS1_11target_archE1030ELNS1_3gpuE2ELNS1_3repE0EEENS1_30default_config_static_selectorELNS0_4arch9wavefront6targetE0EEEvS10_
    .private_segment_fixed_size: 0
    .sgpr_count:     28
    .sgpr_spill_count: 0
    .symbol:         _ZN7rocprim17ROCPRIM_400000_NS6detail17trampoline_kernelINS0_14default_configENS1_21merge_config_selectorINS0_5tupleIJddEEENS0_10empty_typeEEEZNS1_10merge_implIS3_NS0_12zip_iteratorINS5_IJN6thrust23THRUST_200600_302600_NS6detail15normal_iteratorINSC_10device_ptrIKdEEEESI_EEEEESK_NSA_INS5_IJNSE_INSF_IdEEEESM_EEEEEPS7_SP_SP_NSC_11hip_rocprim7__merge17predicate_wrapperIddNSC_7greaterIdEEEEEE10hipError_tPvRmT0_T1_T2_T3_T4_T5_mmT6_P12ihipStream_tbEUlT_E0_NS1_11comp_targetILNS1_3genE8ELNS1_11target_archE1030ELNS1_3gpuE2ELNS1_3repE0EEENS1_30default_config_static_selectorELNS0_4arch9wavefront6targetE0EEEvS10_.kd
    .uniform_work_group_size: 1
    .uses_dynamic_stack: false
    .vgpr_count:     63
    .vgpr_spill_count: 0
    .wavefront_size: 32
    .workgroup_processor_mode: 1
  - .args:
      - .offset:         0
        .size:           64
        .value_kind:     by_value
    .group_segment_fixed_size: 0
    .kernarg_segment_align: 8
    .kernarg_segment_size: 64
    .language:       OpenCL C
    .language_version:
      - 2
      - 0
    .max_flat_workgroup_size: 256
    .name:           _ZN7rocprim17ROCPRIM_400000_NS6detail17trampoline_kernelINS0_14default_configENS1_21merge_config_selectorINS0_5tupleIJffEEENS0_10empty_typeEEEZNS1_10merge_implIS3_NS0_12zip_iteratorINS5_IJN6thrust23THRUST_200600_302600_NS6detail15normal_iteratorINSC_10device_ptrIKfEEEESI_EEEEESK_NSA_INS5_IJNSE_INSF_IfEEEESM_EEEEEPS7_SP_SP_NSC_11hip_rocprim7__merge17predicate_wrapperIffNSC_7greaterIfEEEEEE10hipError_tPvRmT0_T1_T2_T3_T4_T5_mmT6_P12ihipStream_tbEUlT_E_NS1_11comp_targetILNS1_3genE0ELNS1_11target_archE4294967295ELNS1_3gpuE0ELNS1_3repE0EEENS1_30default_config_static_selectorELNS0_4arch9wavefront6targetE0EEEvS10_
    .private_segment_fixed_size: 0
    .sgpr_count:     0
    .sgpr_spill_count: 0
    .symbol:         _ZN7rocprim17ROCPRIM_400000_NS6detail17trampoline_kernelINS0_14default_configENS1_21merge_config_selectorINS0_5tupleIJffEEENS0_10empty_typeEEEZNS1_10merge_implIS3_NS0_12zip_iteratorINS5_IJN6thrust23THRUST_200600_302600_NS6detail15normal_iteratorINSC_10device_ptrIKfEEEESI_EEEEESK_NSA_INS5_IJNSE_INSF_IfEEEESM_EEEEEPS7_SP_SP_NSC_11hip_rocprim7__merge17predicate_wrapperIffNSC_7greaterIfEEEEEE10hipError_tPvRmT0_T1_T2_T3_T4_T5_mmT6_P12ihipStream_tbEUlT_E_NS1_11comp_targetILNS1_3genE0ELNS1_11target_archE4294967295ELNS1_3gpuE0ELNS1_3repE0EEENS1_30default_config_static_selectorELNS0_4arch9wavefront6targetE0EEEvS10_.kd
    .uniform_work_group_size: 1
    .uses_dynamic_stack: false
    .vgpr_count:     0
    .vgpr_spill_count: 0
    .wavefront_size: 32
    .workgroup_processor_mode: 1
  - .args:
      - .offset:         0
        .size:           64
        .value_kind:     by_value
    .group_segment_fixed_size: 0
    .kernarg_segment_align: 8
    .kernarg_segment_size: 64
    .language:       OpenCL C
    .language_version:
      - 2
      - 0
    .max_flat_workgroup_size: 256
    .name:           _ZN7rocprim17ROCPRIM_400000_NS6detail17trampoline_kernelINS0_14default_configENS1_21merge_config_selectorINS0_5tupleIJffEEENS0_10empty_typeEEEZNS1_10merge_implIS3_NS0_12zip_iteratorINS5_IJN6thrust23THRUST_200600_302600_NS6detail15normal_iteratorINSC_10device_ptrIKfEEEESI_EEEEESK_NSA_INS5_IJNSE_INSF_IfEEEESM_EEEEEPS7_SP_SP_NSC_11hip_rocprim7__merge17predicate_wrapperIffNSC_7greaterIfEEEEEE10hipError_tPvRmT0_T1_T2_T3_T4_T5_mmT6_P12ihipStream_tbEUlT_E_NS1_11comp_targetILNS1_3genE5ELNS1_11target_archE942ELNS1_3gpuE9ELNS1_3repE0EEENS1_30default_config_static_selectorELNS0_4arch9wavefront6targetE0EEEvS10_
    .private_segment_fixed_size: 0
    .sgpr_count:     0
    .sgpr_spill_count: 0
    .symbol:         _ZN7rocprim17ROCPRIM_400000_NS6detail17trampoline_kernelINS0_14default_configENS1_21merge_config_selectorINS0_5tupleIJffEEENS0_10empty_typeEEEZNS1_10merge_implIS3_NS0_12zip_iteratorINS5_IJN6thrust23THRUST_200600_302600_NS6detail15normal_iteratorINSC_10device_ptrIKfEEEESI_EEEEESK_NSA_INS5_IJNSE_INSF_IfEEEESM_EEEEEPS7_SP_SP_NSC_11hip_rocprim7__merge17predicate_wrapperIffNSC_7greaterIfEEEEEE10hipError_tPvRmT0_T1_T2_T3_T4_T5_mmT6_P12ihipStream_tbEUlT_E_NS1_11comp_targetILNS1_3genE5ELNS1_11target_archE942ELNS1_3gpuE9ELNS1_3repE0EEENS1_30default_config_static_selectorELNS0_4arch9wavefront6targetE0EEEvS10_.kd
    .uniform_work_group_size: 1
    .uses_dynamic_stack: false
    .vgpr_count:     0
    .vgpr_spill_count: 0
    .wavefront_size: 32
    .workgroup_processor_mode: 1
  - .args:
      - .offset:         0
        .size:           64
        .value_kind:     by_value
    .group_segment_fixed_size: 0
    .kernarg_segment_align: 8
    .kernarg_segment_size: 64
    .language:       OpenCL C
    .language_version:
      - 2
      - 0
    .max_flat_workgroup_size: 256
    .name:           _ZN7rocprim17ROCPRIM_400000_NS6detail17trampoline_kernelINS0_14default_configENS1_21merge_config_selectorINS0_5tupleIJffEEENS0_10empty_typeEEEZNS1_10merge_implIS3_NS0_12zip_iteratorINS5_IJN6thrust23THRUST_200600_302600_NS6detail15normal_iteratorINSC_10device_ptrIKfEEEESI_EEEEESK_NSA_INS5_IJNSE_INSF_IfEEEESM_EEEEEPS7_SP_SP_NSC_11hip_rocprim7__merge17predicate_wrapperIffNSC_7greaterIfEEEEEE10hipError_tPvRmT0_T1_T2_T3_T4_T5_mmT6_P12ihipStream_tbEUlT_E_NS1_11comp_targetILNS1_3genE4ELNS1_11target_archE910ELNS1_3gpuE8ELNS1_3repE0EEENS1_30default_config_static_selectorELNS0_4arch9wavefront6targetE0EEEvS10_
    .private_segment_fixed_size: 0
    .sgpr_count:     0
    .sgpr_spill_count: 0
    .symbol:         _ZN7rocprim17ROCPRIM_400000_NS6detail17trampoline_kernelINS0_14default_configENS1_21merge_config_selectorINS0_5tupleIJffEEENS0_10empty_typeEEEZNS1_10merge_implIS3_NS0_12zip_iteratorINS5_IJN6thrust23THRUST_200600_302600_NS6detail15normal_iteratorINSC_10device_ptrIKfEEEESI_EEEEESK_NSA_INS5_IJNSE_INSF_IfEEEESM_EEEEEPS7_SP_SP_NSC_11hip_rocprim7__merge17predicate_wrapperIffNSC_7greaterIfEEEEEE10hipError_tPvRmT0_T1_T2_T3_T4_T5_mmT6_P12ihipStream_tbEUlT_E_NS1_11comp_targetILNS1_3genE4ELNS1_11target_archE910ELNS1_3gpuE8ELNS1_3repE0EEENS1_30default_config_static_selectorELNS0_4arch9wavefront6targetE0EEEvS10_.kd
    .uniform_work_group_size: 1
    .uses_dynamic_stack: false
    .vgpr_count:     0
    .vgpr_spill_count: 0
    .wavefront_size: 32
    .workgroup_processor_mode: 1
  - .args:
      - .offset:         0
        .size:           64
        .value_kind:     by_value
    .group_segment_fixed_size: 0
    .kernarg_segment_align: 8
    .kernarg_segment_size: 64
    .language:       OpenCL C
    .language_version:
      - 2
      - 0
    .max_flat_workgroup_size: 256
    .name:           _ZN7rocprim17ROCPRIM_400000_NS6detail17trampoline_kernelINS0_14default_configENS1_21merge_config_selectorINS0_5tupleIJffEEENS0_10empty_typeEEEZNS1_10merge_implIS3_NS0_12zip_iteratorINS5_IJN6thrust23THRUST_200600_302600_NS6detail15normal_iteratorINSC_10device_ptrIKfEEEESI_EEEEESK_NSA_INS5_IJNSE_INSF_IfEEEESM_EEEEEPS7_SP_SP_NSC_11hip_rocprim7__merge17predicate_wrapperIffNSC_7greaterIfEEEEEE10hipError_tPvRmT0_T1_T2_T3_T4_T5_mmT6_P12ihipStream_tbEUlT_E_NS1_11comp_targetILNS1_3genE3ELNS1_11target_archE908ELNS1_3gpuE7ELNS1_3repE0EEENS1_30default_config_static_selectorELNS0_4arch9wavefront6targetE0EEEvS10_
    .private_segment_fixed_size: 0
    .sgpr_count:     0
    .sgpr_spill_count: 0
    .symbol:         _ZN7rocprim17ROCPRIM_400000_NS6detail17trampoline_kernelINS0_14default_configENS1_21merge_config_selectorINS0_5tupleIJffEEENS0_10empty_typeEEEZNS1_10merge_implIS3_NS0_12zip_iteratorINS5_IJN6thrust23THRUST_200600_302600_NS6detail15normal_iteratorINSC_10device_ptrIKfEEEESI_EEEEESK_NSA_INS5_IJNSE_INSF_IfEEEESM_EEEEEPS7_SP_SP_NSC_11hip_rocprim7__merge17predicate_wrapperIffNSC_7greaterIfEEEEEE10hipError_tPvRmT0_T1_T2_T3_T4_T5_mmT6_P12ihipStream_tbEUlT_E_NS1_11comp_targetILNS1_3genE3ELNS1_11target_archE908ELNS1_3gpuE7ELNS1_3repE0EEENS1_30default_config_static_selectorELNS0_4arch9wavefront6targetE0EEEvS10_.kd
    .uniform_work_group_size: 1
    .uses_dynamic_stack: false
    .vgpr_count:     0
    .vgpr_spill_count: 0
    .wavefront_size: 32
    .workgroup_processor_mode: 1
  - .args:
      - .offset:         0
        .size:           64
        .value_kind:     by_value
    .group_segment_fixed_size: 0
    .kernarg_segment_align: 8
    .kernarg_segment_size: 64
    .language:       OpenCL C
    .language_version:
      - 2
      - 0
    .max_flat_workgroup_size: 256
    .name:           _ZN7rocprim17ROCPRIM_400000_NS6detail17trampoline_kernelINS0_14default_configENS1_21merge_config_selectorINS0_5tupleIJffEEENS0_10empty_typeEEEZNS1_10merge_implIS3_NS0_12zip_iteratorINS5_IJN6thrust23THRUST_200600_302600_NS6detail15normal_iteratorINSC_10device_ptrIKfEEEESI_EEEEESK_NSA_INS5_IJNSE_INSF_IfEEEESM_EEEEEPS7_SP_SP_NSC_11hip_rocprim7__merge17predicate_wrapperIffNSC_7greaterIfEEEEEE10hipError_tPvRmT0_T1_T2_T3_T4_T5_mmT6_P12ihipStream_tbEUlT_E_NS1_11comp_targetILNS1_3genE2ELNS1_11target_archE906ELNS1_3gpuE6ELNS1_3repE0EEENS1_30default_config_static_selectorELNS0_4arch9wavefront6targetE0EEEvS10_
    .private_segment_fixed_size: 0
    .sgpr_count:     0
    .sgpr_spill_count: 0
    .symbol:         _ZN7rocprim17ROCPRIM_400000_NS6detail17trampoline_kernelINS0_14default_configENS1_21merge_config_selectorINS0_5tupleIJffEEENS0_10empty_typeEEEZNS1_10merge_implIS3_NS0_12zip_iteratorINS5_IJN6thrust23THRUST_200600_302600_NS6detail15normal_iteratorINSC_10device_ptrIKfEEEESI_EEEEESK_NSA_INS5_IJNSE_INSF_IfEEEESM_EEEEEPS7_SP_SP_NSC_11hip_rocprim7__merge17predicate_wrapperIffNSC_7greaterIfEEEEEE10hipError_tPvRmT0_T1_T2_T3_T4_T5_mmT6_P12ihipStream_tbEUlT_E_NS1_11comp_targetILNS1_3genE2ELNS1_11target_archE906ELNS1_3gpuE6ELNS1_3repE0EEENS1_30default_config_static_selectorELNS0_4arch9wavefront6targetE0EEEvS10_.kd
    .uniform_work_group_size: 1
    .uses_dynamic_stack: false
    .vgpr_count:     0
    .vgpr_spill_count: 0
    .wavefront_size: 32
    .workgroup_processor_mode: 1
  - .args:
      - .offset:         0
        .size:           64
        .value_kind:     by_value
    .group_segment_fixed_size: 0
    .kernarg_segment_align: 8
    .kernarg_segment_size: 64
    .language:       OpenCL C
    .language_version:
      - 2
      - 0
    .max_flat_workgroup_size: 512
    .name:           _ZN7rocprim17ROCPRIM_400000_NS6detail17trampoline_kernelINS0_14default_configENS1_21merge_config_selectorINS0_5tupleIJffEEENS0_10empty_typeEEEZNS1_10merge_implIS3_NS0_12zip_iteratorINS5_IJN6thrust23THRUST_200600_302600_NS6detail15normal_iteratorINSC_10device_ptrIKfEEEESI_EEEEESK_NSA_INS5_IJNSE_INSF_IfEEEESM_EEEEEPS7_SP_SP_NSC_11hip_rocprim7__merge17predicate_wrapperIffNSC_7greaterIfEEEEEE10hipError_tPvRmT0_T1_T2_T3_T4_T5_mmT6_P12ihipStream_tbEUlT_E_NS1_11comp_targetILNS1_3genE10ELNS1_11target_archE1201ELNS1_3gpuE5ELNS1_3repE0EEENS1_30default_config_static_selectorELNS0_4arch9wavefront6targetE0EEEvS10_
    .private_segment_fixed_size: 0
    .sgpr_count:     0
    .sgpr_spill_count: 0
    .symbol:         _ZN7rocprim17ROCPRIM_400000_NS6detail17trampoline_kernelINS0_14default_configENS1_21merge_config_selectorINS0_5tupleIJffEEENS0_10empty_typeEEEZNS1_10merge_implIS3_NS0_12zip_iteratorINS5_IJN6thrust23THRUST_200600_302600_NS6detail15normal_iteratorINSC_10device_ptrIKfEEEESI_EEEEESK_NSA_INS5_IJNSE_INSF_IfEEEESM_EEEEEPS7_SP_SP_NSC_11hip_rocprim7__merge17predicate_wrapperIffNSC_7greaterIfEEEEEE10hipError_tPvRmT0_T1_T2_T3_T4_T5_mmT6_P12ihipStream_tbEUlT_E_NS1_11comp_targetILNS1_3genE10ELNS1_11target_archE1201ELNS1_3gpuE5ELNS1_3repE0EEENS1_30default_config_static_selectorELNS0_4arch9wavefront6targetE0EEEvS10_.kd
    .uniform_work_group_size: 1
    .uses_dynamic_stack: false
    .vgpr_count:     0
    .vgpr_spill_count: 0
    .wavefront_size: 32
    .workgroup_processor_mode: 1
  - .args:
      - .offset:         0
        .size:           64
        .value_kind:     by_value
    .group_segment_fixed_size: 0
    .kernarg_segment_align: 8
    .kernarg_segment_size: 64
    .language:       OpenCL C
    .language_version:
      - 2
      - 0
    .max_flat_workgroup_size: 1024
    .name:           _ZN7rocprim17ROCPRIM_400000_NS6detail17trampoline_kernelINS0_14default_configENS1_21merge_config_selectorINS0_5tupleIJffEEENS0_10empty_typeEEEZNS1_10merge_implIS3_NS0_12zip_iteratorINS5_IJN6thrust23THRUST_200600_302600_NS6detail15normal_iteratorINSC_10device_ptrIKfEEEESI_EEEEESK_NSA_INS5_IJNSE_INSF_IfEEEESM_EEEEEPS7_SP_SP_NSC_11hip_rocprim7__merge17predicate_wrapperIffNSC_7greaterIfEEEEEE10hipError_tPvRmT0_T1_T2_T3_T4_T5_mmT6_P12ihipStream_tbEUlT_E_NS1_11comp_targetILNS1_3genE10ELNS1_11target_archE1200ELNS1_3gpuE4ELNS1_3repE0EEENS1_30default_config_static_selectorELNS0_4arch9wavefront6targetE0EEEvS10_
    .private_segment_fixed_size: 0
    .sgpr_count:     0
    .sgpr_spill_count: 0
    .symbol:         _ZN7rocprim17ROCPRIM_400000_NS6detail17trampoline_kernelINS0_14default_configENS1_21merge_config_selectorINS0_5tupleIJffEEENS0_10empty_typeEEEZNS1_10merge_implIS3_NS0_12zip_iteratorINS5_IJN6thrust23THRUST_200600_302600_NS6detail15normal_iteratorINSC_10device_ptrIKfEEEESI_EEEEESK_NSA_INS5_IJNSE_INSF_IfEEEESM_EEEEEPS7_SP_SP_NSC_11hip_rocprim7__merge17predicate_wrapperIffNSC_7greaterIfEEEEEE10hipError_tPvRmT0_T1_T2_T3_T4_T5_mmT6_P12ihipStream_tbEUlT_E_NS1_11comp_targetILNS1_3genE10ELNS1_11target_archE1200ELNS1_3gpuE4ELNS1_3repE0EEENS1_30default_config_static_selectorELNS0_4arch9wavefront6targetE0EEEvS10_.kd
    .uniform_work_group_size: 1
    .uses_dynamic_stack: false
    .vgpr_count:     0
    .vgpr_spill_count: 0
    .wavefront_size: 32
    .workgroup_processor_mode: 1
  - .args:
      - .offset:         0
        .size:           64
        .value_kind:     by_value
    .group_segment_fixed_size: 0
    .kernarg_segment_align: 8
    .kernarg_segment_size: 64
    .language:       OpenCL C
    .language_version:
      - 2
      - 0
    .max_flat_workgroup_size: 1024
    .name:           _ZN7rocprim17ROCPRIM_400000_NS6detail17trampoline_kernelINS0_14default_configENS1_21merge_config_selectorINS0_5tupleIJffEEENS0_10empty_typeEEEZNS1_10merge_implIS3_NS0_12zip_iteratorINS5_IJN6thrust23THRUST_200600_302600_NS6detail15normal_iteratorINSC_10device_ptrIKfEEEESI_EEEEESK_NSA_INS5_IJNSE_INSF_IfEEEESM_EEEEEPS7_SP_SP_NSC_11hip_rocprim7__merge17predicate_wrapperIffNSC_7greaterIfEEEEEE10hipError_tPvRmT0_T1_T2_T3_T4_T5_mmT6_P12ihipStream_tbEUlT_E_NS1_11comp_targetILNS1_3genE9ELNS1_11target_archE1100ELNS1_3gpuE3ELNS1_3repE0EEENS1_30default_config_static_selectorELNS0_4arch9wavefront6targetE0EEEvS10_
    .private_segment_fixed_size: 0
    .sgpr_count:     0
    .sgpr_spill_count: 0
    .symbol:         _ZN7rocprim17ROCPRIM_400000_NS6detail17trampoline_kernelINS0_14default_configENS1_21merge_config_selectorINS0_5tupleIJffEEENS0_10empty_typeEEEZNS1_10merge_implIS3_NS0_12zip_iteratorINS5_IJN6thrust23THRUST_200600_302600_NS6detail15normal_iteratorINSC_10device_ptrIKfEEEESI_EEEEESK_NSA_INS5_IJNSE_INSF_IfEEEESM_EEEEEPS7_SP_SP_NSC_11hip_rocprim7__merge17predicate_wrapperIffNSC_7greaterIfEEEEEE10hipError_tPvRmT0_T1_T2_T3_T4_T5_mmT6_P12ihipStream_tbEUlT_E_NS1_11comp_targetILNS1_3genE9ELNS1_11target_archE1100ELNS1_3gpuE3ELNS1_3repE0EEENS1_30default_config_static_selectorELNS0_4arch9wavefront6targetE0EEEvS10_.kd
    .uniform_work_group_size: 1
    .uses_dynamic_stack: false
    .vgpr_count:     0
    .vgpr_spill_count: 0
    .wavefront_size: 32
    .workgroup_processor_mode: 1
  - .args:
      - .offset:         0
        .size:           64
        .value_kind:     by_value
      - .offset:         64
        .size:           4
        .value_kind:     hidden_block_count_x
      - .offset:         68
        .size:           4
        .value_kind:     hidden_block_count_y
      - .offset:         72
        .size:           4
        .value_kind:     hidden_block_count_z
      - .offset:         76
        .size:           2
        .value_kind:     hidden_group_size_x
      - .offset:         78
        .size:           2
        .value_kind:     hidden_group_size_y
      - .offset:         80
        .size:           2
        .value_kind:     hidden_group_size_z
      - .offset:         82
        .size:           2
        .value_kind:     hidden_remainder_x
      - .offset:         84
        .size:           2
        .value_kind:     hidden_remainder_y
      - .offset:         86
        .size:           2
        .value_kind:     hidden_remainder_z
      - .offset:         104
        .size:           8
        .value_kind:     hidden_global_offset_x
      - .offset:         112
        .size:           8
        .value_kind:     hidden_global_offset_y
      - .offset:         120
        .size:           8
        .value_kind:     hidden_global_offset_z
      - .offset:         128
        .size:           2
        .value_kind:     hidden_grid_dims
    .group_segment_fixed_size: 0
    .kernarg_segment_align: 8
    .kernarg_segment_size: 320
    .language:       OpenCL C
    .language_version:
      - 2
      - 0
    .max_flat_workgroup_size: 256
    .name:           _ZN7rocprim17ROCPRIM_400000_NS6detail17trampoline_kernelINS0_14default_configENS1_21merge_config_selectorINS0_5tupleIJffEEENS0_10empty_typeEEEZNS1_10merge_implIS3_NS0_12zip_iteratorINS5_IJN6thrust23THRUST_200600_302600_NS6detail15normal_iteratorINSC_10device_ptrIKfEEEESI_EEEEESK_NSA_INS5_IJNSE_INSF_IfEEEESM_EEEEEPS7_SP_SP_NSC_11hip_rocprim7__merge17predicate_wrapperIffNSC_7greaterIfEEEEEE10hipError_tPvRmT0_T1_T2_T3_T4_T5_mmT6_P12ihipStream_tbEUlT_E_NS1_11comp_targetILNS1_3genE8ELNS1_11target_archE1030ELNS1_3gpuE2ELNS1_3repE0EEENS1_30default_config_static_selectorELNS0_4arch9wavefront6targetE0EEEvS10_
    .private_segment_fixed_size: 0
    .sgpr_count:     18
    .sgpr_spill_count: 0
    .symbol:         _ZN7rocprim17ROCPRIM_400000_NS6detail17trampoline_kernelINS0_14default_configENS1_21merge_config_selectorINS0_5tupleIJffEEENS0_10empty_typeEEEZNS1_10merge_implIS3_NS0_12zip_iteratorINS5_IJN6thrust23THRUST_200600_302600_NS6detail15normal_iteratorINSC_10device_ptrIKfEEEESI_EEEEESK_NSA_INS5_IJNSE_INSF_IfEEEESM_EEEEEPS7_SP_SP_NSC_11hip_rocprim7__merge17predicate_wrapperIffNSC_7greaterIfEEEEEE10hipError_tPvRmT0_T1_T2_T3_T4_T5_mmT6_P12ihipStream_tbEUlT_E_NS1_11comp_targetILNS1_3genE8ELNS1_11target_archE1030ELNS1_3gpuE2ELNS1_3repE0EEENS1_30default_config_static_selectorELNS0_4arch9wavefront6targetE0EEEvS10_.kd
    .uniform_work_group_size: 1
    .uses_dynamic_stack: false
    .vgpr_count:     13
    .vgpr_spill_count: 0
    .wavefront_size: 32
    .workgroup_processor_mode: 1
  - .args:
      - .offset:         0
        .size:           112
        .value_kind:     by_value
    .group_segment_fixed_size: 0
    .kernarg_segment_align: 8
    .kernarg_segment_size: 112
    .language:       OpenCL C
    .language_version:
      - 2
      - 0
    .max_flat_workgroup_size: 256
    .name:           _ZN7rocprim17ROCPRIM_400000_NS6detail17trampoline_kernelINS0_14default_configENS1_21merge_config_selectorINS0_5tupleIJffEEENS0_10empty_typeEEEZNS1_10merge_implIS3_NS0_12zip_iteratorINS5_IJN6thrust23THRUST_200600_302600_NS6detail15normal_iteratorINSC_10device_ptrIKfEEEESI_EEEEESK_NSA_INS5_IJNSE_INSF_IfEEEESM_EEEEEPS7_SP_SP_NSC_11hip_rocprim7__merge17predicate_wrapperIffNSC_7greaterIfEEEEEE10hipError_tPvRmT0_T1_T2_T3_T4_T5_mmT6_P12ihipStream_tbEUlT_E0_NS1_11comp_targetILNS1_3genE0ELNS1_11target_archE4294967295ELNS1_3gpuE0ELNS1_3repE0EEENS1_30default_config_static_selectorELNS0_4arch9wavefront6targetE0EEEvS10_
    .private_segment_fixed_size: 0
    .sgpr_count:     0
    .sgpr_spill_count: 0
    .symbol:         _ZN7rocprim17ROCPRIM_400000_NS6detail17trampoline_kernelINS0_14default_configENS1_21merge_config_selectorINS0_5tupleIJffEEENS0_10empty_typeEEEZNS1_10merge_implIS3_NS0_12zip_iteratorINS5_IJN6thrust23THRUST_200600_302600_NS6detail15normal_iteratorINSC_10device_ptrIKfEEEESI_EEEEESK_NSA_INS5_IJNSE_INSF_IfEEEESM_EEEEEPS7_SP_SP_NSC_11hip_rocprim7__merge17predicate_wrapperIffNSC_7greaterIfEEEEEE10hipError_tPvRmT0_T1_T2_T3_T4_T5_mmT6_P12ihipStream_tbEUlT_E0_NS1_11comp_targetILNS1_3genE0ELNS1_11target_archE4294967295ELNS1_3gpuE0ELNS1_3repE0EEENS1_30default_config_static_selectorELNS0_4arch9wavefront6targetE0EEEvS10_.kd
    .uniform_work_group_size: 1
    .uses_dynamic_stack: false
    .vgpr_count:     0
    .vgpr_spill_count: 0
    .wavefront_size: 32
    .workgroup_processor_mode: 1
  - .args:
      - .offset:         0
        .size:           112
        .value_kind:     by_value
    .group_segment_fixed_size: 0
    .kernarg_segment_align: 8
    .kernarg_segment_size: 112
    .language:       OpenCL C
    .language_version:
      - 2
      - 0
    .max_flat_workgroup_size: 256
    .name:           _ZN7rocprim17ROCPRIM_400000_NS6detail17trampoline_kernelINS0_14default_configENS1_21merge_config_selectorINS0_5tupleIJffEEENS0_10empty_typeEEEZNS1_10merge_implIS3_NS0_12zip_iteratorINS5_IJN6thrust23THRUST_200600_302600_NS6detail15normal_iteratorINSC_10device_ptrIKfEEEESI_EEEEESK_NSA_INS5_IJNSE_INSF_IfEEEESM_EEEEEPS7_SP_SP_NSC_11hip_rocprim7__merge17predicate_wrapperIffNSC_7greaterIfEEEEEE10hipError_tPvRmT0_T1_T2_T3_T4_T5_mmT6_P12ihipStream_tbEUlT_E0_NS1_11comp_targetILNS1_3genE5ELNS1_11target_archE942ELNS1_3gpuE9ELNS1_3repE0EEENS1_30default_config_static_selectorELNS0_4arch9wavefront6targetE0EEEvS10_
    .private_segment_fixed_size: 0
    .sgpr_count:     0
    .sgpr_spill_count: 0
    .symbol:         _ZN7rocprim17ROCPRIM_400000_NS6detail17trampoline_kernelINS0_14default_configENS1_21merge_config_selectorINS0_5tupleIJffEEENS0_10empty_typeEEEZNS1_10merge_implIS3_NS0_12zip_iteratorINS5_IJN6thrust23THRUST_200600_302600_NS6detail15normal_iteratorINSC_10device_ptrIKfEEEESI_EEEEESK_NSA_INS5_IJNSE_INSF_IfEEEESM_EEEEEPS7_SP_SP_NSC_11hip_rocprim7__merge17predicate_wrapperIffNSC_7greaterIfEEEEEE10hipError_tPvRmT0_T1_T2_T3_T4_T5_mmT6_P12ihipStream_tbEUlT_E0_NS1_11comp_targetILNS1_3genE5ELNS1_11target_archE942ELNS1_3gpuE9ELNS1_3repE0EEENS1_30default_config_static_selectorELNS0_4arch9wavefront6targetE0EEEvS10_.kd
    .uniform_work_group_size: 1
    .uses_dynamic_stack: false
    .vgpr_count:     0
    .vgpr_spill_count: 0
    .wavefront_size: 32
    .workgroup_processor_mode: 1
  - .args:
      - .offset:         0
        .size:           112
        .value_kind:     by_value
    .group_segment_fixed_size: 0
    .kernarg_segment_align: 8
    .kernarg_segment_size: 112
    .language:       OpenCL C
    .language_version:
      - 2
      - 0
    .max_flat_workgroup_size: 256
    .name:           _ZN7rocprim17ROCPRIM_400000_NS6detail17trampoline_kernelINS0_14default_configENS1_21merge_config_selectorINS0_5tupleIJffEEENS0_10empty_typeEEEZNS1_10merge_implIS3_NS0_12zip_iteratorINS5_IJN6thrust23THRUST_200600_302600_NS6detail15normal_iteratorINSC_10device_ptrIKfEEEESI_EEEEESK_NSA_INS5_IJNSE_INSF_IfEEEESM_EEEEEPS7_SP_SP_NSC_11hip_rocprim7__merge17predicate_wrapperIffNSC_7greaterIfEEEEEE10hipError_tPvRmT0_T1_T2_T3_T4_T5_mmT6_P12ihipStream_tbEUlT_E0_NS1_11comp_targetILNS1_3genE4ELNS1_11target_archE910ELNS1_3gpuE8ELNS1_3repE0EEENS1_30default_config_static_selectorELNS0_4arch9wavefront6targetE0EEEvS10_
    .private_segment_fixed_size: 0
    .sgpr_count:     0
    .sgpr_spill_count: 0
    .symbol:         _ZN7rocprim17ROCPRIM_400000_NS6detail17trampoline_kernelINS0_14default_configENS1_21merge_config_selectorINS0_5tupleIJffEEENS0_10empty_typeEEEZNS1_10merge_implIS3_NS0_12zip_iteratorINS5_IJN6thrust23THRUST_200600_302600_NS6detail15normal_iteratorINSC_10device_ptrIKfEEEESI_EEEEESK_NSA_INS5_IJNSE_INSF_IfEEEESM_EEEEEPS7_SP_SP_NSC_11hip_rocprim7__merge17predicate_wrapperIffNSC_7greaterIfEEEEEE10hipError_tPvRmT0_T1_T2_T3_T4_T5_mmT6_P12ihipStream_tbEUlT_E0_NS1_11comp_targetILNS1_3genE4ELNS1_11target_archE910ELNS1_3gpuE8ELNS1_3repE0EEENS1_30default_config_static_selectorELNS0_4arch9wavefront6targetE0EEEvS10_.kd
    .uniform_work_group_size: 1
    .uses_dynamic_stack: false
    .vgpr_count:     0
    .vgpr_spill_count: 0
    .wavefront_size: 32
    .workgroup_processor_mode: 1
  - .args:
      - .offset:         0
        .size:           112
        .value_kind:     by_value
    .group_segment_fixed_size: 0
    .kernarg_segment_align: 8
    .kernarg_segment_size: 112
    .language:       OpenCL C
    .language_version:
      - 2
      - 0
    .max_flat_workgroup_size: 256
    .name:           _ZN7rocprim17ROCPRIM_400000_NS6detail17trampoline_kernelINS0_14default_configENS1_21merge_config_selectorINS0_5tupleIJffEEENS0_10empty_typeEEEZNS1_10merge_implIS3_NS0_12zip_iteratorINS5_IJN6thrust23THRUST_200600_302600_NS6detail15normal_iteratorINSC_10device_ptrIKfEEEESI_EEEEESK_NSA_INS5_IJNSE_INSF_IfEEEESM_EEEEEPS7_SP_SP_NSC_11hip_rocprim7__merge17predicate_wrapperIffNSC_7greaterIfEEEEEE10hipError_tPvRmT0_T1_T2_T3_T4_T5_mmT6_P12ihipStream_tbEUlT_E0_NS1_11comp_targetILNS1_3genE3ELNS1_11target_archE908ELNS1_3gpuE7ELNS1_3repE0EEENS1_30default_config_static_selectorELNS0_4arch9wavefront6targetE0EEEvS10_
    .private_segment_fixed_size: 0
    .sgpr_count:     0
    .sgpr_spill_count: 0
    .symbol:         _ZN7rocprim17ROCPRIM_400000_NS6detail17trampoline_kernelINS0_14default_configENS1_21merge_config_selectorINS0_5tupleIJffEEENS0_10empty_typeEEEZNS1_10merge_implIS3_NS0_12zip_iteratorINS5_IJN6thrust23THRUST_200600_302600_NS6detail15normal_iteratorINSC_10device_ptrIKfEEEESI_EEEEESK_NSA_INS5_IJNSE_INSF_IfEEEESM_EEEEEPS7_SP_SP_NSC_11hip_rocprim7__merge17predicate_wrapperIffNSC_7greaterIfEEEEEE10hipError_tPvRmT0_T1_T2_T3_T4_T5_mmT6_P12ihipStream_tbEUlT_E0_NS1_11comp_targetILNS1_3genE3ELNS1_11target_archE908ELNS1_3gpuE7ELNS1_3repE0EEENS1_30default_config_static_selectorELNS0_4arch9wavefront6targetE0EEEvS10_.kd
    .uniform_work_group_size: 1
    .uses_dynamic_stack: false
    .vgpr_count:     0
    .vgpr_spill_count: 0
    .wavefront_size: 32
    .workgroup_processor_mode: 1
  - .args:
      - .offset:         0
        .size:           112
        .value_kind:     by_value
    .group_segment_fixed_size: 0
    .kernarg_segment_align: 8
    .kernarg_segment_size: 112
    .language:       OpenCL C
    .language_version:
      - 2
      - 0
    .max_flat_workgroup_size: 256
    .name:           _ZN7rocprim17ROCPRIM_400000_NS6detail17trampoline_kernelINS0_14default_configENS1_21merge_config_selectorINS0_5tupleIJffEEENS0_10empty_typeEEEZNS1_10merge_implIS3_NS0_12zip_iteratorINS5_IJN6thrust23THRUST_200600_302600_NS6detail15normal_iteratorINSC_10device_ptrIKfEEEESI_EEEEESK_NSA_INS5_IJNSE_INSF_IfEEEESM_EEEEEPS7_SP_SP_NSC_11hip_rocprim7__merge17predicate_wrapperIffNSC_7greaterIfEEEEEE10hipError_tPvRmT0_T1_T2_T3_T4_T5_mmT6_P12ihipStream_tbEUlT_E0_NS1_11comp_targetILNS1_3genE2ELNS1_11target_archE906ELNS1_3gpuE6ELNS1_3repE0EEENS1_30default_config_static_selectorELNS0_4arch9wavefront6targetE0EEEvS10_
    .private_segment_fixed_size: 0
    .sgpr_count:     0
    .sgpr_spill_count: 0
    .symbol:         _ZN7rocprim17ROCPRIM_400000_NS6detail17trampoline_kernelINS0_14default_configENS1_21merge_config_selectorINS0_5tupleIJffEEENS0_10empty_typeEEEZNS1_10merge_implIS3_NS0_12zip_iteratorINS5_IJN6thrust23THRUST_200600_302600_NS6detail15normal_iteratorINSC_10device_ptrIKfEEEESI_EEEEESK_NSA_INS5_IJNSE_INSF_IfEEEESM_EEEEEPS7_SP_SP_NSC_11hip_rocprim7__merge17predicate_wrapperIffNSC_7greaterIfEEEEEE10hipError_tPvRmT0_T1_T2_T3_T4_T5_mmT6_P12ihipStream_tbEUlT_E0_NS1_11comp_targetILNS1_3genE2ELNS1_11target_archE906ELNS1_3gpuE6ELNS1_3repE0EEENS1_30default_config_static_selectorELNS0_4arch9wavefront6targetE0EEEvS10_.kd
    .uniform_work_group_size: 1
    .uses_dynamic_stack: false
    .vgpr_count:     0
    .vgpr_spill_count: 0
    .wavefront_size: 32
    .workgroup_processor_mode: 1
  - .args:
      - .offset:         0
        .size:           112
        .value_kind:     by_value
    .group_segment_fixed_size: 0
    .kernarg_segment_align: 8
    .kernarg_segment_size: 112
    .language:       OpenCL C
    .language_version:
      - 2
      - 0
    .max_flat_workgroup_size: 512
    .name:           _ZN7rocprim17ROCPRIM_400000_NS6detail17trampoline_kernelINS0_14default_configENS1_21merge_config_selectorINS0_5tupleIJffEEENS0_10empty_typeEEEZNS1_10merge_implIS3_NS0_12zip_iteratorINS5_IJN6thrust23THRUST_200600_302600_NS6detail15normal_iteratorINSC_10device_ptrIKfEEEESI_EEEEESK_NSA_INS5_IJNSE_INSF_IfEEEESM_EEEEEPS7_SP_SP_NSC_11hip_rocprim7__merge17predicate_wrapperIffNSC_7greaterIfEEEEEE10hipError_tPvRmT0_T1_T2_T3_T4_T5_mmT6_P12ihipStream_tbEUlT_E0_NS1_11comp_targetILNS1_3genE10ELNS1_11target_archE1201ELNS1_3gpuE5ELNS1_3repE0EEENS1_30default_config_static_selectorELNS0_4arch9wavefront6targetE0EEEvS10_
    .private_segment_fixed_size: 0
    .sgpr_count:     0
    .sgpr_spill_count: 0
    .symbol:         _ZN7rocprim17ROCPRIM_400000_NS6detail17trampoline_kernelINS0_14default_configENS1_21merge_config_selectorINS0_5tupleIJffEEENS0_10empty_typeEEEZNS1_10merge_implIS3_NS0_12zip_iteratorINS5_IJN6thrust23THRUST_200600_302600_NS6detail15normal_iteratorINSC_10device_ptrIKfEEEESI_EEEEESK_NSA_INS5_IJNSE_INSF_IfEEEESM_EEEEEPS7_SP_SP_NSC_11hip_rocprim7__merge17predicate_wrapperIffNSC_7greaterIfEEEEEE10hipError_tPvRmT0_T1_T2_T3_T4_T5_mmT6_P12ihipStream_tbEUlT_E0_NS1_11comp_targetILNS1_3genE10ELNS1_11target_archE1201ELNS1_3gpuE5ELNS1_3repE0EEENS1_30default_config_static_selectorELNS0_4arch9wavefront6targetE0EEEvS10_.kd
    .uniform_work_group_size: 1
    .uses_dynamic_stack: false
    .vgpr_count:     0
    .vgpr_spill_count: 0
    .wavefront_size: 32
    .workgroup_processor_mode: 1
  - .args:
      - .offset:         0
        .size:           112
        .value_kind:     by_value
    .group_segment_fixed_size: 0
    .kernarg_segment_align: 8
    .kernarg_segment_size: 112
    .language:       OpenCL C
    .language_version:
      - 2
      - 0
    .max_flat_workgroup_size: 1024
    .name:           _ZN7rocprim17ROCPRIM_400000_NS6detail17trampoline_kernelINS0_14default_configENS1_21merge_config_selectorINS0_5tupleIJffEEENS0_10empty_typeEEEZNS1_10merge_implIS3_NS0_12zip_iteratorINS5_IJN6thrust23THRUST_200600_302600_NS6detail15normal_iteratorINSC_10device_ptrIKfEEEESI_EEEEESK_NSA_INS5_IJNSE_INSF_IfEEEESM_EEEEEPS7_SP_SP_NSC_11hip_rocprim7__merge17predicate_wrapperIffNSC_7greaterIfEEEEEE10hipError_tPvRmT0_T1_T2_T3_T4_T5_mmT6_P12ihipStream_tbEUlT_E0_NS1_11comp_targetILNS1_3genE10ELNS1_11target_archE1200ELNS1_3gpuE4ELNS1_3repE0EEENS1_30default_config_static_selectorELNS0_4arch9wavefront6targetE0EEEvS10_
    .private_segment_fixed_size: 0
    .sgpr_count:     0
    .sgpr_spill_count: 0
    .symbol:         _ZN7rocprim17ROCPRIM_400000_NS6detail17trampoline_kernelINS0_14default_configENS1_21merge_config_selectorINS0_5tupleIJffEEENS0_10empty_typeEEEZNS1_10merge_implIS3_NS0_12zip_iteratorINS5_IJN6thrust23THRUST_200600_302600_NS6detail15normal_iteratorINSC_10device_ptrIKfEEEESI_EEEEESK_NSA_INS5_IJNSE_INSF_IfEEEESM_EEEEEPS7_SP_SP_NSC_11hip_rocprim7__merge17predicate_wrapperIffNSC_7greaterIfEEEEEE10hipError_tPvRmT0_T1_T2_T3_T4_T5_mmT6_P12ihipStream_tbEUlT_E0_NS1_11comp_targetILNS1_3genE10ELNS1_11target_archE1200ELNS1_3gpuE4ELNS1_3repE0EEENS1_30default_config_static_selectorELNS0_4arch9wavefront6targetE0EEEvS10_.kd
    .uniform_work_group_size: 1
    .uses_dynamic_stack: false
    .vgpr_count:     0
    .vgpr_spill_count: 0
    .wavefront_size: 32
    .workgroup_processor_mode: 1
  - .args:
      - .offset:         0
        .size:           112
        .value_kind:     by_value
    .group_segment_fixed_size: 0
    .kernarg_segment_align: 8
    .kernarg_segment_size: 112
    .language:       OpenCL C
    .language_version:
      - 2
      - 0
    .max_flat_workgroup_size: 1024
    .name:           _ZN7rocprim17ROCPRIM_400000_NS6detail17trampoline_kernelINS0_14default_configENS1_21merge_config_selectorINS0_5tupleIJffEEENS0_10empty_typeEEEZNS1_10merge_implIS3_NS0_12zip_iteratorINS5_IJN6thrust23THRUST_200600_302600_NS6detail15normal_iteratorINSC_10device_ptrIKfEEEESI_EEEEESK_NSA_INS5_IJNSE_INSF_IfEEEESM_EEEEEPS7_SP_SP_NSC_11hip_rocprim7__merge17predicate_wrapperIffNSC_7greaterIfEEEEEE10hipError_tPvRmT0_T1_T2_T3_T4_T5_mmT6_P12ihipStream_tbEUlT_E0_NS1_11comp_targetILNS1_3genE9ELNS1_11target_archE1100ELNS1_3gpuE3ELNS1_3repE0EEENS1_30default_config_static_selectorELNS0_4arch9wavefront6targetE0EEEvS10_
    .private_segment_fixed_size: 0
    .sgpr_count:     0
    .sgpr_spill_count: 0
    .symbol:         _ZN7rocprim17ROCPRIM_400000_NS6detail17trampoline_kernelINS0_14default_configENS1_21merge_config_selectorINS0_5tupleIJffEEENS0_10empty_typeEEEZNS1_10merge_implIS3_NS0_12zip_iteratorINS5_IJN6thrust23THRUST_200600_302600_NS6detail15normal_iteratorINSC_10device_ptrIKfEEEESI_EEEEESK_NSA_INS5_IJNSE_INSF_IfEEEESM_EEEEEPS7_SP_SP_NSC_11hip_rocprim7__merge17predicate_wrapperIffNSC_7greaterIfEEEEEE10hipError_tPvRmT0_T1_T2_T3_T4_T5_mmT6_P12ihipStream_tbEUlT_E0_NS1_11comp_targetILNS1_3genE9ELNS1_11target_archE1100ELNS1_3gpuE3ELNS1_3repE0EEENS1_30default_config_static_selectorELNS0_4arch9wavefront6targetE0EEEvS10_.kd
    .uniform_work_group_size: 1
    .uses_dynamic_stack: false
    .vgpr_count:     0
    .vgpr_spill_count: 0
    .wavefront_size: 32
    .workgroup_processor_mode: 1
  - .args:
      - .offset:         0
        .size:           112
        .value_kind:     by_value
    .group_segment_fixed_size: 33792
    .kernarg_segment_align: 8
    .kernarg_segment_size: 112
    .language:       OpenCL C
    .language_version:
      - 2
      - 0
    .max_flat_workgroup_size: 256
    .name:           _ZN7rocprim17ROCPRIM_400000_NS6detail17trampoline_kernelINS0_14default_configENS1_21merge_config_selectorINS0_5tupleIJffEEENS0_10empty_typeEEEZNS1_10merge_implIS3_NS0_12zip_iteratorINS5_IJN6thrust23THRUST_200600_302600_NS6detail15normal_iteratorINSC_10device_ptrIKfEEEESI_EEEEESK_NSA_INS5_IJNSE_INSF_IfEEEESM_EEEEEPS7_SP_SP_NSC_11hip_rocprim7__merge17predicate_wrapperIffNSC_7greaterIfEEEEEE10hipError_tPvRmT0_T1_T2_T3_T4_T5_mmT6_P12ihipStream_tbEUlT_E0_NS1_11comp_targetILNS1_3genE8ELNS1_11target_archE1030ELNS1_3gpuE2ELNS1_3repE0EEENS1_30default_config_static_selectorELNS0_4arch9wavefront6targetE0EEEvS10_
    .private_segment_fixed_size: 0
    .sgpr_count:     30
    .sgpr_spill_count: 0
    .symbol:         _ZN7rocprim17ROCPRIM_400000_NS6detail17trampoline_kernelINS0_14default_configENS1_21merge_config_selectorINS0_5tupleIJffEEENS0_10empty_typeEEEZNS1_10merge_implIS3_NS0_12zip_iteratorINS5_IJN6thrust23THRUST_200600_302600_NS6detail15normal_iteratorINSC_10device_ptrIKfEEEESI_EEEEESK_NSA_INS5_IJNSE_INSF_IfEEEESM_EEEEEPS7_SP_SP_NSC_11hip_rocprim7__merge17predicate_wrapperIffNSC_7greaterIfEEEEEE10hipError_tPvRmT0_T1_T2_T3_T4_T5_mmT6_P12ihipStream_tbEUlT_E0_NS1_11comp_targetILNS1_3genE8ELNS1_11target_archE1030ELNS1_3gpuE2ELNS1_3repE0EEENS1_30default_config_static_selectorELNS0_4arch9wavefront6targetE0EEEvS10_.kd
    .uniform_work_group_size: 1
    .uses_dynamic_stack: false
    .vgpr_count:     77
    .vgpr_spill_count: 0
    .wavefront_size: 32
    .workgroup_processor_mode: 1
  - .args:
      - .offset:         0
        .size:           64
        .value_kind:     by_value
    .group_segment_fixed_size: 0
    .kernarg_segment_align: 8
    .kernarg_segment_size: 64
    .language:       OpenCL C
    .language_version:
      - 2
      - 0
    .max_flat_workgroup_size: 512
    .name:           _ZN7rocprim17ROCPRIM_400000_NS6detail17trampoline_kernelINS0_14default_configENS1_21merge_config_selectorINS0_5tupleIJyyEEENS0_10empty_typeEEEZNS1_10merge_implIS3_NS0_12zip_iteratorINS5_IJN6thrust23THRUST_200600_302600_NS6detail15normal_iteratorINSC_10device_ptrIKyEEEESI_EEEEESK_NSA_INS5_IJNSE_INSF_IyEEEESM_EEEEEPS7_SP_SP_NSC_11hip_rocprim7__merge17predicate_wrapperIyyNSC_7greaterImEEEEEE10hipError_tPvRmT0_T1_T2_T3_T4_T5_mmT6_P12ihipStream_tbEUlT_E_NS1_11comp_targetILNS1_3genE0ELNS1_11target_archE4294967295ELNS1_3gpuE0ELNS1_3repE0EEENS1_30default_config_static_selectorELNS0_4arch9wavefront6targetE0EEEvS10_
    .private_segment_fixed_size: 0
    .sgpr_count:     0
    .sgpr_spill_count: 0
    .symbol:         _ZN7rocprim17ROCPRIM_400000_NS6detail17trampoline_kernelINS0_14default_configENS1_21merge_config_selectorINS0_5tupleIJyyEEENS0_10empty_typeEEEZNS1_10merge_implIS3_NS0_12zip_iteratorINS5_IJN6thrust23THRUST_200600_302600_NS6detail15normal_iteratorINSC_10device_ptrIKyEEEESI_EEEEESK_NSA_INS5_IJNSE_INSF_IyEEEESM_EEEEEPS7_SP_SP_NSC_11hip_rocprim7__merge17predicate_wrapperIyyNSC_7greaterImEEEEEE10hipError_tPvRmT0_T1_T2_T3_T4_T5_mmT6_P12ihipStream_tbEUlT_E_NS1_11comp_targetILNS1_3genE0ELNS1_11target_archE4294967295ELNS1_3gpuE0ELNS1_3repE0EEENS1_30default_config_static_selectorELNS0_4arch9wavefront6targetE0EEEvS10_.kd
    .uniform_work_group_size: 1
    .uses_dynamic_stack: false
    .vgpr_count:     0
    .vgpr_spill_count: 0
    .wavefront_size: 32
    .workgroup_processor_mode: 1
  - .args:
      - .offset:         0
        .size:           64
        .value_kind:     by_value
    .group_segment_fixed_size: 0
    .kernarg_segment_align: 8
    .kernarg_segment_size: 64
    .language:       OpenCL C
    .language_version:
      - 2
      - 0
    .max_flat_workgroup_size: 256
    .name:           _ZN7rocprim17ROCPRIM_400000_NS6detail17trampoline_kernelINS0_14default_configENS1_21merge_config_selectorINS0_5tupleIJyyEEENS0_10empty_typeEEEZNS1_10merge_implIS3_NS0_12zip_iteratorINS5_IJN6thrust23THRUST_200600_302600_NS6detail15normal_iteratorINSC_10device_ptrIKyEEEESI_EEEEESK_NSA_INS5_IJNSE_INSF_IyEEEESM_EEEEEPS7_SP_SP_NSC_11hip_rocprim7__merge17predicate_wrapperIyyNSC_7greaterImEEEEEE10hipError_tPvRmT0_T1_T2_T3_T4_T5_mmT6_P12ihipStream_tbEUlT_E_NS1_11comp_targetILNS1_3genE5ELNS1_11target_archE942ELNS1_3gpuE9ELNS1_3repE0EEENS1_30default_config_static_selectorELNS0_4arch9wavefront6targetE0EEEvS10_
    .private_segment_fixed_size: 0
    .sgpr_count:     0
    .sgpr_spill_count: 0
    .symbol:         _ZN7rocprim17ROCPRIM_400000_NS6detail17trampoline_kernelINS0_14default_configENS1_21merge_config_selectorINS0_5tupleIJyyEEENS0_10empty_typeEEEZNS1_10merge_implIS3_NS0_12zip_iteratorINS5_IJN6thrust23THRUST_200600_302600_NS6detail15normal_iteratorINSC_10device_ptrIKyEEEESI_EEEEESK_NSA_INS5_IJNSE_INSF_IyEEEESM_EEEEEPS7_SP_SP_NSC_11hip_rocprim7__merge17predicate_wrapperIyyNSC_7greaterImEEEEEE10hipError_tPvRmT0_T1_T2_T3_T4_T5_mmT6_P12ihipStream_tbEUlT_E_NS1_11comp_targetILNS1_3genE5ELNS1_11target_archE942ELNS1_3gpuE9ELNS1_3repE0EEENS1_30default_config_static_selectorELNS0_4arch9wavefront6targetE0EEEvS10_.kd
    .uniform_work_group_size: 1
    .uses_dynamic_stack: false
    .vgpr_count:     0
    .vgpr_spill_count: 0
    .wavefront_size: 32
    .workgroup_processor_mode: 1
  - .args:
      - .offset:         0
        .size:           64
        .value_kind:     by_value
    .group_segment_fixed_size: 0
    .kernarg_segment_align: 8
    .kernarg_segment_size: 64
    .language:       OpenCL C
    .language_version:
      - 2
      - 0
    .max_flat_workgroup_size: 512
    .name:           _ZN7rocprim17ROCPRIM_400000_NS6detail17trampoline_kernelINS0_14default_configENS1_21merge_config_selectorINS0_5tupleIJyyEEENS0_10empty_typeEEEZNS1_10merge_implIS3_NS0_12zip_iteratorINS5_IJN6thrust23THRUST_200600_302600_NS6detail15normal_iteratorINSC_10device_ptrIKyEEEESI_EEEEESK_NSA_INS5_IJNSE_INSF_IyEEEESM_EEEEEPS7_SP_SP_NSC_11hip_rocprim7__merge17predicate_wrapperIyyNSC_7greaterImEEEEEE10hipError_tPvRmT0_T1_T2_T3_T4_T5_mmT6_P12ihipStream_tbEUlT_E_NS1_11comp_targetILNS1_3genE4ELNS1_11target_archE910ELNS1_3gpuE8ELNS1_3repE0EEENS1_30default_config_static_selectorELNS0_4arch9wavefront6targetE0EEEvS10_
    .private_segment_fixed_size: 0
    .sgpr_count:     0
    .sgpr_spill_count: 0
    .symbol:         _ZN7rocprim17ROCPRIM_400000_NS6detail17trampoline_kernelINS0_14default_configENS1_21merge_config_selectorINS0_5tupleIJyyEEENS0_10empty_typeEEEZNS1_10merge_implIS3_NS0_12zip_iteratorINS5_IJN6thrust23THRUST_200600_302600_NS6detail15normal_iteratorINSC_10device_ptrIKyEEEESI_EEEEESK_NSA_INS5_IJNSE_INSF_IyEEEESM_EEEEEPS7_SP_SP_NSC_11hip_rocprim7__merge17predicate_wrapperIyyNSC_7greaterImEEEEEE10hipError_tPvRmT0_T1_T2_T3_T4_T5_mmT6_P12ihipStream_tbEUlT_E_NS1_11comp_targetILNS1_3genE4ELNS1_11target_archE910ELNS1_3gpuE8ELNS1_3repE0EEENS1_30default_config_static_selectorELNS0_4arch9wavefront6targetE0EEEvS10_.kd
    .uniform_work_group_size: 1
    .uses_dynamic_stack: false
    .vgpr_count:     0
    .vgpr_spill_count: 0
    .wavefront_size: 32
    .workgroup_processor_mode: 1
  - .args:
      - .offset:         0
        .size:           64
        .value_kind:     by_value
    .group_segment_fixed_size: 0
    .kernarg_segment_align: 8
    .kernarg_segment_size: 64
    .language:       OpenCL C
    .language_version:
      - 2
      - 0
    .max_flat_workgroup_size: 512
    .name:           _ZN7rocprim17ROCPRIM_400000_NS6detail17trampoline_kernelINS0_14default_configENS1_21merge_config_selectorINS0_5tupleIJyyEEENS0_10empty_typeEEEZNS1_10merge_implIS3_NS0_12zip_iteratorINS5_IJN6thrust23THRUST_200600_302600_NS6detail15normal_iteratorINSC_10device_ptrIKyEEEESI_EEEEESK_NSA_INS5_IJNSE_INSF_IyEEEESM_EEEEEPS7_SP_SP_NSC_11hip_rocprim7__merge17predicate_wrapperIyyNSC_7greaterImEEEEEE10hipError_tPvRmT0_T1_T2_T3_T4_T5_mmT6_P12ihipStream_tbEUlT_E_NS1_11comp_targetILNS1_3genE3ELNS1_11target_archE908ELNS1_3gpuE7ELNS1_3repE0EEENS1_30default_config_static_selectorELNS0_4arch9wavefront6targetE0EEEvS10_
    .private_segment_fixed_size: 0
    .sgpr_count:     0
    .sgpr_spill_count: 0
    .symbol:         _ZN7rocprim17ROCPRIM_400000_NS6detail17trampoline_kernelINS0_14default_configENS1_21merge_config_selectorINS0_5tupleIJyyEEENS0_10empty_typeEEEZNS1_10merge_implIS3_NS0_12zip_iteratorINS5_IJN6thrust23THRUST_200600_302600_NS6detail15normal_iteratorINSC_10device_ptrIKyEEEESI_EEEEESK_NSA_INS5_IJNSE_INSF_IyEEEESM_EEEEEPS7_SP_SP_NSC_11hip_rocprim7__merge17predicate_wrapperIyyNSC_7greaterImEEEEEE10hipError_tPvRmT0_T1_T2_T3_T4_T5_mmT6_P12ihipStream_tbEUlT_E_NS1_11comp_targetILNS1_3genE3ELNS1_11target_archE908ELNS1_3gpuE7ELNS1_3repE0EEENS1_30default_config_static_selectorELNS0_4arch9wavefront6targetE0EEEvS10_.kd
    .uniform_work_group_size: 1
    .uses_dynamic_stack: false
    .vgpr_count:     0
    .vgpr_spill_count: 0
    .wavefront_size: 32
    .workgroup_processor_mode: 1
  - .args:
      - .offset:         0
        .size:           64
        .value_kind:     by_value
    .group_segment_fixed_size: 0
    .kernarg_segment_align: 8
    .kernarg_segment_size: 64
    .language:       OpenCL C
    .language_version:
      - 2
      - 0
    .max_flat_workgroup_size: 512
    .name:           _ZN7rocprim17ROCPRIM_400000_NS6detail17trampoline_kernelINS0_14default_configENS1_21merge_config_selectorINS0_5tupleIJyyEEENS0_10empty_typeEEEZNS1_10merge_implIS3_NS0_12zip_iteratorINS5_IJN6thrust23THRUST_200600_302600_NS6detail15normal_iteratorINSC_10device_ptrIKyEEEESI_EEEEESK_NSA_INS5_IJNSE_INSF_IyEEEESM_EEEEEPS7_SP_SP_NSC_11hip_rocprim7__merge17predicate_wrapperIyyNSC_7greaterImEEEEEE10hipError_tPvRmT0_T1_T2_T3_T4_T5_mmT6_P12ihipStream_tbEUlT_E_NS1_11comp_targetILNS1_3genE2ELNS1_11target_archE906ELNS1_3gpuE6ELNS1_3repE0EEENS1_30default_config_static_selectorELNS0_4arch9wavefront6targetE0EEEvS10_
    .private_segment_fixed_size: 0
    .sgpr_count:     0
    .sgpr_spill_count: 0
    .symbol:         _ZN7rocprim17ROCPRIM_400000_NS6detail17trampoline_kernelINS0_14default_configENS1_21merge_config_selectorINS0_5tupleIJyyEEENS0_10empty_typeEEEZNS1_10merge_implIS3_NS0_12zip_iteratorINS5_IJN6thrust23THRUST_200600_302600_NS6detail15normal_iteratorINSC_10device_ptrIKyEEEESI_EEEEESK_NSA_INS5_IJNSE_INSF_IyEEEESM_EEEEEPS7_SP_SP_NSC_11hip_rocprim7__merge17predicate_wrapperIyyNSC_7greaterImEEEEEE10hipError_tPvRmT0_T1_T2_T3_T4_T5_mmT6_P12ihipStream_tbEUlT_E_NS1_11comp_targetILNS1_3genE2ELNS1_11target_archE906ELNS1_3gpuE6ELNS1_3repE0EEENS1_30default_config_static_selectorELNS0_4arch9wavefront6targetE0EEEvS10_.kd
    .uniform_work_group_size: 1
    .uses_dynamic_stack: false
    .vgpr_count:     0
    .vgpr_spill_count: 0
    .wavefront_size: 32
    .workgroup_processor_mode: 1
  - .args:
      - .offset:         0
        .size:           64
        .value_kind:     by_value
    .group_segment_fixed_size: 0
    .kernarg_segment_align: 8
    .kernarg_segment_size: 64
    .language:       OpenCL C
    .language_version:
      - 2
      - 0
    .max_flat_workgroup_size: 512
    .name:           _ZN7rocprim17ROCPRIM_400000_NS6detail17trampoline_kernelINS0_14default_configENS1_21merge_config_selectorINS0_5tupleIJyyEEENS0_10empty_typeEEEZNS1_10merge_implIS3_NS0_12zip_iteratorINS5_IJN6thrust23THRUST_200600_302600_NS6detail15normal_iteratorINSC_10device_ptrIKyEEEESI_EEEEESK_NSA_INS5_IJNSE_INSF_IyEEEESM_EEEEEPS7_SP_SP_NSC_11hip_rocprim7__merge17predicate_wrapperIyyNSC_7greaterImEEEEEE10hipError_tPvRmT0_T1_T2_T3_T4_T5_mmT6_P12ihipStream_tbEUlT_E_NS1_11comp_targetILNS1_3genE10ELNS1_11target_archE1201ELNS1_3gpuE5ELNS1_3repE0EEENS1_30default_config_static_selectorELNS0_4arch9wavefront6targetE0EEEvS10_
    .private_segment_fixed_size: 0
    .sgpr_count:     0
    .sgpr_spill_count: 0
    .symbol:         _ZN7rocprim17ROCPRIM_400000_NS6detail17trampoline_kernelINS0_14default_configENS1_21merge_config_selectorINS0_5tupleIJyyEEENS0_10empty_typeEEEZNS1_10merge_implIS3_NS0_12zip_iteratorINS5_IJN6thrust23THRUST_200600_302600_NS6detail15normal_iteratorINSC_10device_ptrIKyEEEESI_EEEEESK_NSA_INS5_IJNSE_INSF_IyEEEESM_EEEEEPS7_SP_SP_NSC_11hip_rocprim7__merge17predicate_wrapperIyyNSC_7greaterImEEEEEE10hipError_tPvRmT0_T1_T2_T3_T4_T5_mmT6_P12ihipStream_tbEUlT_E_NS1_11comp_targetILNS1_3genE10ELNS1_11target_archE1201ELNS1_3gpuE5ELNS1_3repE0EEENS1_30default_config_static_selectorELNS0_4arch9wavefront6targetE0EEEvS10_.kd
    .uniform_work_group_size: 1
    .uses_dynamic_stack: false
    .vgpr_count:     0
    .vgpr_spill_count: 0
    .wavefront_size: 32
    .workgroup_processor_mode: 1
  - .args:
      - .offset:         0
        .size:           64
        .value_kind:     by_value
    .group_segment_fixed_size: 0
    .kernarg_segment_align: 8
    .kernarg_segment_size: 64
    .language:       OpenCL C
    .language_version:
      - 2
      - 0
    .max_flat_workgroup_size: 256
    .name:           _ZN7rocprim17ROCPRIM_400000_NS6detail17trampoline_kernelINS0_14default_configENS1_21merge_config_selectorINS0_5tupleIJyyEEENS0_10empty_typeEEEZNS1_10merge_implIS3_NS0_12zip_iteratorINS5_IJN6thrust23THRUST_200600_302600_NS6detail15normal_iteratorINSC_10device_ptrIKyEEEESI_EEEEESK_NSA_INS5_IJNSE_INSF_IyEEEESM_EEEEEPS7_SP_SP_NSC_11hip_rocprim7__merge17predicate_wrapperIyyNSC_7greaterImEEEEEE10hipError_tPvRmT0_T1_T2_T3_T4_T5_mmT6_P12ihipStream_tbEUlT_E_NS1_11comp_targetILNS1_3genE10ELNS1_11target_archE1200ELNS1_3gpuE4ELNS1_3repE0EEENS1_30default_config_static_selectorELNS0_4arch9wavefront6targetE0EEEvS10_
    .private_segment_fixed_size: 0
    .sgpr_count:     0
    .sgpr_spill_count: 0
    .symbol:         _ZN7rocprim17ROCPRIM_400000_NS6detail17trampoline_kernelINS0_14default_configENS1_21merge_config_selectorINS0_5tupleIJyyEEENS0_10empty_typeEEEZNS1_10merge_implIS3_NS0_12zip_iteratorINS5_IJN6thrust23THRUST_200600_302600_NS6detail15normal_iteratorINSC_10device_ptrIKyEEEESI_EEEEESK_NSA_INS5_IJNSE_INSF_IyEEEESM_EEEEEPS7_SP_SP_NSC_11hip_rocprim7__merge17predicate_wrapperIyyNSC_7greaterImEEEEEE10hipError_tPvRmT0_T1_T2_T3_T4_T5_mmT6_P12ihipStream_tbEUlT_E_NS1_11comp_targetILNS1_3genE10ELNS1_11target_archE1200ELNS1_3gpuE4ELNS1_3repE0EEENS1_30default_config_static_selectorELNS0_4arch9wavefront6targetE0EEEvS10_.kd
    .uniform_work_group_size: 1
    .uses_dynamic_stack: false
    .vgpr_count:     0
    .vgpr_spill_count: 0
    .wavefront_size: 32
    .workgroup_processor_mode: 1
  - .args:
      - .offset:         0
        .size:           64
        .value_kind:     by_value
    .group_segment_fixed_size: 0
    .kernarg_segment_align: 8
    .kernarg_segment_size: 64
    .language:       OpenCL C
    .language_version:
      - 2
      - 0
    .max_flat_workgroup_size: 1024
    .name:           _ZN7rocprim17ROCPRIM_400000_NS6detail17trampoline_kernelINS0_14default_configENS1_21merge_config_selectorINS0_5tupleIJyyEEENS0_10empty_typeEEEZNS1_10merge_implIS3_NS0_12zip_iteratorINS5_IJN6thrust23THRUST_200600_302600_NS6detail15normal_iteratorINSC_10device_ptrIKyEEEESI_EEEEESK_NSA_INS5_IJNSE_INSF_IyEEEESM_EEEEEPS7_SP_SP_NSC_11hip_rocprim7__merge17predicate_wrapperIyyNSC_7greaterImEEEEEE10hipError_tPvRmT0_T1_T2_T3_T4_T5_mmT6_P12ihipStream_tbEUlT_E_NS1_11comp_targetILNS1_3genE9ELNS1_11target_archE1100ELNS1_3gpuE3ELNS1_3repE0EEENS1_30default_config_static_selectorELNS0_4arch9wavefront6targetE0EEEvS10_
    .private_segment_fixed_size: 0
    .sgpr_count:     0
    .sgpr_spill_count: 0
    .symbol:         _ZN7rocprim17ROCPRIM_400000_NS6detail17trampoline_kernelINS0_14default_configENS1_21merge_config_selectorINS0_5tupleIJyyEEENS0_10empty_typeEEEZNS1_10merge_implIS3_NS0_12zip_iteratorINS5_IJN6thrust23THRUST_200600_302600_NS6detail15normal_iteratorINSC_10device_ptrIKyEEEESI_EEEEESK_NSA_INS5_IJNSE_INSF_IyEEEESM_EEEEEPS7_SP_SP_NSC_11hip_rocprim7__merge17predicate_wrapperIyyNSC_7greaterImEEEEEE10hipError_tPvRmT0_T1_T2_T3_T4_T5_mmT6_P12ihipStream_tbEUlT_E_NS1_11comp_targetILNS1_3genE9ELNS1_11target_archE1100ELNS1_3gpuE3ELNS1_3repE0EEENS1_30default_config_static_selectorELNS0_4arch9wavefront6targetE0EEEvS10_.kd
    .uniform_work_group_size: 1
    .uses_dynamic_stack: false
    .vgpr_count:     0
    .vgpr_spill_count: 0
    .wavefront_size: 32
    .workgroup_processor_mode: 1
  - .args:
      - .offset:         0
        .size:           64
        .value_kind:     by_value
      - .offset:         64
        .size:           4
        .value_kind:     hidden_block_count_x
      - .offset:         68
        .size:           4
        .value_kind:     hidden_block_count_y
      - .offset:         72
        .size:           4
        .value_kind:     hidden_block_count_z
      - .offset:         76
        .size:           2
        .value_kind:     hidden_group_size_x
      - .offset:         78
        .size:           2
        .value_kind:     hidden_group_size_y
      - .offset:         80
        .size:           2
        .value_kind:     hidden_group_size_z
      - .offset:         82
        .size:           2
        .value_kind:     hidden_remainder_x
      - .offset:         84
        .size:           2
        .value_kind:     hidden_remainder_y
      - .offset:         86
        .size:           2
        .value_kind:     hidden_remainder_z
      - .offset:         104
        .size:           8
        .value_kind:     hidden_global_offset_x
      - .offset:         112
        .size:           8
        .value_kind:     hidden_global_offset_y
      - .offset:         120
        .size:           8
        .value_kind:     hidden_global_offset_z
      - .offset:         128
        .size:           2
        .value_kind:     hidden_grid_dims
    .group_segment_fixed_size: 0
    .kernarg_segment_align: 8
    .kernarg_segment_size: 320
    .language:       OpenCL C
    .language_version:
      - 2
      - 0
    .max_flat_workgroup_size: 256
    .name:           _ZN7rocprim17ROCPRIM_400000_NS6detail17trampoline_kernelINS0_14default_configENS1_21merge_config_selectorINS0_5tupleIJyyEEENS0_10empty_typeEEEZNS1_10merge_implIS3_NS0_12zip_iteratorINS5_IJN6thrust23THRUST_200600_302600_NS6detail15normal_iteratorINSC_10device_ptrIKyEEEESI_EEEEESK_NSA_INS5_IJNSE_INSF_IyEEEESM_EEEEEPS7_SP_SP_NSC_11hip_rocprim7__merge17predicate_wrapperIyyNSC_7greaterImEEEEEE10hipError_tPvRmT0_T1_T2_T3_T4_T5_mmT6_P12ihipStream_tbEUlT_E_NS1_11comp_targetILNS1_3genE8ELNS1_11target_archE1030ELNS1_3gpuE2ELNS1_3repE0EEENS1_30default_config_static_selectorELNS0_4arch9wavefront6targetE0EEEvS10_
    .private_segment_fixed_size: 0
    .sgpr_count:     18
    .sgpr_spill_count: 0
    .symbol:         _ZN7rocprim17ROCPRIM_400000_NS6detail17trampoline_kernelINS0_14default_configENS1_21merge_config_selectorINS0_5tupleIJyyEEENS0_10empty_typeEEEZNS1_10merge_implIS3_NS0_12zip_iteratorINS5_IJN6thrust23THRUST_200600_302600_NS6detail15normal_iteratorINSC_10device_ptrIKyEEEESI_EEEEESK_NSA_INS5_IJNSE_INSF_IyEEEESM_EEEEEPS7_SP_SP_NSC_11hip_rocprim7__merge17predicate_wrapperIyyNSC_7greaterImEEEEEE10hipError_tPvRmT0_T1_T2_T3_T4_T5_mmT6_P12ihipStream_tbEUlT_E_NS1_11comp_targetILNS1_3genE8ELNS1_11target_archE1030ELNS1_3gpuE2ELNS1_3repE0EEENS1_30default_config_static_selectorELNS0_4arch9wavefront6targetE0EEEvS10_.kd
    .uniform_work_group_size: 1
    .uses_dynamic_stack: false
    .vgpr_count:     14
    .vgpr_spill_count: 0
    .wavefront_size: 32
    .workgroup_processor_mode: 1
  - .args:
      - .offset:         0
        .size:           112
        .value_kind:     by_value
    .group_segment_fixed_size: 0
    .kernarg_segment_align: 8
    .kernarg_segment_size: 112
    .language:       OpenCL C
    .language_version:
      - 2
      - 0
    .max_flat_workgroup_size: 512
    .name:           _ZN7rocprim17ROCPRIM_400000_NS6detail17trampoline_kernelINS0_14default_configENS1_21merge_config_selectorINS0_5tupleIJyyEEENS0_10empty_typeEEEZNS1_10merge_implIS3_NS0_12zip_iteratorINS5_IJN6thrust23THRUST_200600_302600_NS6detail15normal_iteratorINSC_10device_ptrIKyEEEESI_EEEEESK_NSA_INS5_IJNSE_INSF_IyEEEESM_EEEEEPS7_SP_SP_NSC_11hip_rocprim7__merge17predicate_wrapperIyyNSC_7greaterImEEEEEE10hipError_tPvRmT0_T1_T2_T3_T4_T5_mmT6_P12ihipStream_tbEUlT_E0_NS1_11comp_targetILNS1_3genE0ELNS1_11target_archE4294967295ELNS1_3gpuE0ELNS1_3repE0EEENS1_30default_config_static_selectorELNS0_4arch9wavefront6targetE0EEEvS10_
    .private_segment_fixed_size: 0
    .sgpr_count:     0
    .sgpr_spill_count: 0
    .symbol:         _ZN7rocprim17ROCPRIM_400000_NS6detail17trampoline_kernelINS0_14default_configENS1_21merge_config_selectorINS0_5tupleIJyyEEENS0_10empty_typeEEEZNS1_10merge_implIS3_NS0_12zip_iteratorINS5_IJN6thrust23THRUST_200600_302600_NS6detail15normal_iteratorINSC_10device_ptrIKyEEEESI_EEEEESK_NSA_INS5_IJNSE_INSF_IyEEEESM_EEEEEPS7_SP_SP_NSC_11hip_rocprim7__merge17predicate_wrapperIyyNSC_7greaterImEEEEEE10hipError_tPvRmT0_T1_T2_T3_T4_T5_mmT6_P12ihipStream_tbEUlT_E0_NS1_11comp_targetILNS1_3genE0ELNS1_11target_archE4294967295ELNS1_3gpuE0ELNS1_3repE0EEENS1_30default_config_static_selectorELNS0_4arch9wavefront6targetE0EEEvS10_.kd
    .uniform_work_group_size: 1
    .uses_dynamic_stack: false
    .vgpr_count:     0
    .vgpr_spill_count: 0
    .wavefront_size: 32
    .workgroup_processor_mode: 1
  - .args:
      - .offset:         0
        .size:           112
        .value_kind:     by_value
    .group_segment_fixed_size: 0
    .kernarg_segment_align: 8
    .kernarg_segment_size: 112
    .language:       OpenCL C
    .language_version:
      - 2
      - 0
    .max_flat_workgroup_size: 256
    .name:           _ZN7rocprim17ROCPRIM_400000_NS6detail17trampoline_kernelINS0_14default_configENS1_21merge_config_selectorINS0_5tupleIJyyEEENS0_10empty_typeEEEZNS1_10merge_implIS3_NS0_12zip_iteratorINS5_IJN6thrust23THRUST_200600_302600_NS6detail15normal_iteratorINSC_10device_ptrIKyEEEESI_EEEEESK_NSA_INS5_IJNSE_INSF_IyEEEESM_EEEEEPS7_SP_SP_NSC_11hip_rocprim7__merge17predicate_wrapperIyyNSC_7greaterImEEEEEE10hipError_tPvRmT0_T1_T2_T3_T4_T5_mmT6_P12ihipStream_tbEUlT_E0_NS1_11comp_targetILNS1_3genE5ELNS1_11target_archE942ELNS1_3gpuE9ELNS1_3repE0EEENS1_30default_config_static_selectorELNS0_4arch9wavefront6targetE0EEEvS10_
    .private_segment_fixed_size: 0
    .sgpr_count:     0
    .sgpr_spill_count: 0
    .symbol:         _ZN7rocprim17ROCPRIM_400000_NS6detail17trampoline_kernelINS0_14default_configENS1_21merge_config_selectorINS0_5tupleIJyyEEENS0_10empty_typeEEEZNS1_10merge_implIS3_NS0_12zip_iteratorINS5_IJN6thrust23THRUST_200600_302600_NS6detail15normal_iteratorINSC_10device_ptrIKyEEEESI_EEEEESK_NSA_INS5_IJNSE_INSF_IyEEEESM_EEEEEPS7_SP_SP_NSC_11hip_rocprim7__merge17predicate_wrapperIyyNSC_7greaterImEEEEEE10hipError_tPvRmT0_T1_T2_T3_T4_T5_mmT6_P12ihipStream_tbEUlT_E0_NS1_11comp_targetILNS1_3genE5ELNS1_11target_archE942ELNS1_3gpuE9ELNS1_3repE0EEENS1_30default_config_static_selectorELNS0_4arch9wavefront6targetE0EEEvS10_.kd
    .uniform_work_group_size: 1
    .uses_dynamic_stack: false
    .vgpr_count:     0
    .vgpr_spill_count: 0
    .wavefront_size: 32
    .workgroup_processor_mode: 1
  - .args:
      - .offset:         0
        .size:           112
        .value_kind:     by_value
    .group_segment_fixed_size: 0
    .kernarg_segment_align: 8
    .kernarg_segment_size: 112
    .language:       OpenCL C
    .language_version:
      - 2
      - 0
    .max_flat_workgroup_size: 512
    .name:           _ZN7rocprim17ROCPRIM_400000_NS6detail17trampoline_kernelINS0_14default_configENS1_21merge_config_selectorINS0_5tupleIJyyEEENS0_10empty_typeEEEZNS1_10merge_implIS3_NS0_12zip_iteratorINS5_IJN6thrust23THRUST_200600_302600_NS6detail15normal_iteratorINSC_10device_ptrIKyEEEESI_EEEEESK_NSA_INS5_IJNSE_INSF_IyEEEESM_EEEEEPS7_SP_SP_NSC_11hip_rocprim7__merge17predicate_wrapperIyyNSC_7greaterImEEEEEE10hipError_tPvRmT0_T1_T2_T3_T4_T5_mmT6_P12ihipStream_tbEUlT_E0_NS1_11comp_targetILNS1_3genE4ELNS1_11target_archE910ELNS1_3gpuE8ELNS1_3repE0EEENS1_30default_config_static_selectorELNS0_4arch9wavefront6targetE0EEEvS10_
    .private_segment_fixed_size: 0
    .sgpr_count:     0
    .sgpr_spill_count: 0
    .symbol:         _ZN7rocprim17ROCPRIM_400000_NS6detail17trampoline_kernelINS0_14default_configENS1_21merge_config_selectorINS0_5tupleIJyyEEENS0_10empty_typeEEEZNS1_10merge_implIS3_NS0_12zip_iteratorINS5_IJN6thrust23THRUST_200600_302600_NS6detail15normal_iteratorINSC_10device_ptrIKyEEEESI_EEEEESK_NSA_INS5_IJNSE_INSF_IyEEEESM_EEEEEPS7_SP_SP_NSC_11hip_rocprim7__merge17predicate_wrapperIyyNSC_7greaterImEEEEEE10hipError_tPvRmT0_T1_T2_T3_T4_T5_mmT6_P12ihipStream_tbEUlT_E0_NS1_11comp_targetILNS1_3genE4ELNS1_11target_archE910ELNS1_3gpuE8ELNS1_3repE0EEENS1_30default_config_static_selectorELNS0_4arch9wavefront6targetE0EEEvS10_.kd
    .uniform_work_group_size: 1
    .uses_dynamic_stack: false
    .vgpr_count:     0
    .vgpr_spill_count: 0
    .wavefront_size: 32
    .workgroup_processor_mode: 1
  - .args:
      - .offset:         0
        .size:           112
        .value_kind:     by_value
    .group_segment_fixed_size: 0
    .kernarg_segment_align: 8
    .kernarg_segment_size: 112
    .language:       OpenCL C
    .language_version:
      - 2
      - 0
    .max_flat_workgroup_size: 512
    .name:           _ZN7rocprim17ROCPRIM_400000_NS6detail17trampoline_kernelINS0_14default_configENS1_21merge_config_selectorINS0_5tupleIJyyEEENS0_10empty_typeEEEZNS1_10merge_implIS3_NS0_12zip_iteratorINS5_IJN6thrust23THRUST_200600_302600_NS6detail15normal_iteratorINSC_10device_ptrIKyEEEESI_EEEEESK_NSA_INS5_IJNSE_INSF_IyEEEESM_EEEEEPS7_SP_SP_NSC_11hip_rocprim7__merge17predicate_wrapperIyyNSC_7greaterImEEEEEE10hipError_tPvRmT0_T1_T2_T3_T4_T5_mmT6_P12ihipStream_tbEUlT_E0_NS1_11comp_targetILNS1_3genE3ELNS1_11target_archE908ELNS1_3gpuE7ELNS1_3repE0EEENS1_30default_config_static_selectorELNS0_4arch9wavefront6targetE0EEEvS10_
    .private_segment_fixed_size: 0
    .sgpr_count:     0
    .sgpr_spill_count: 0
    .symbol:         _ZN7rocprim17ROCPRIM_400000_NS6detail17trampoline_kernelINS0_14default_configENS1_21merge_config_selectorINS0_5tupleIJyyEEENS0_10empty_typeEEEZNS1_10merge_implIS3_NS0_12zip_iteratorINS5_IJN6thrust23THRUST_200600_302600_NS6detail15normal_iteratorINSC_10device_ptrIKyEEEESI_EEEEESK_NSA_INS5_IJNSE_INSF_IyEEEESM_EEEEEPS7_SP_SP_NSC_11hip_rocprim7__merge17predicate_wrapperIyyNSC_7greaterImEEEEEE10hipError_tPvRmT0_T1_T2_T3_T4_T5_mmT6_P12ihipStream_tbEUlT_E0_NS1_11comp_targetILNS1_3genE3ELNS1_11target_archE908ELNS1_3gpuE7ELNS1_3repE0EEENS1_30default_config_static_selectorELNS0_4arch9wavefront6targetE0EEEvS10_.kd
    .uniform_work_group_size: 1
    .uses_dynamic_stack: false
    .vgpr_count:     0
    .vgpr_spill_count: 0
    .wavefront_size: 32
    .workgroup_processor_mode: 1
  - .args:
      - .offset:         0
        .size:           112
        .value_kind:     by_value
    .group_segment_fixed_size: 0
    .kernarg_segment_align: 8
    .kernarg_segment_size: 112
    .language:       OpenCL C
    .language_version:
      - 2
      - 0
    .max_flat_workgroup_size: 512
    .name:           _ZN7rocprim17ROCPRIM_400000_NS6detail17trampoline_kernelINS0_14default_configENS1_21merge_config_selectorINS0_5tupleIJyyEEENS0_10empty_typeEEEZNS1_10merge_implIS3_NS0_12zip_iteratorINS5_IJN6thrust23THRUST_200600_302600_NS6detail15normal_iteratorINSC_10device_ptrIKyEEEESI_EEEEESK_NSA_INS5_IJNSE_INSF_IyEEEESM_EEEEEPS7_SP_SP_NSC_11hip_rocprim7__merge17predicate_wrapperIyyNSC_7greaterImEEEEEE10hipError_tPvRmT0_T1_T2_T3_T4_T5_mmT6_P12ihipStream_tbEUlT_E0_NS1_11comp_targetILNS1_3genE2ELNS1_11target_archE906ELNS1_3gpuE6ELNS1_3repE0EEENS1_30default_config_static_selectorELNS0_4arch9wavefront6targetE0EEEvS10_
    .private_segment_fixed_size: 0
    .sgpr_count:     0
    .sgpr_spill_count: 0
    .symbol:         _ZN7rocprim17ROCPRIM_400000_NS6detail17trampoline_kernelINS0_14default_configENS1_21merge_config_selectorINS0_5tupleIJyyEEENS0_10empty_typeEEEZNS1_10merge_implIS3_NS0_12zip_iteratorINS5_IJN6thrust23THRUST_200600_302600_NS6detail15normal_iteratorINSC_10device_ptrIKyEEEESI_EEEEESK_NSA_INS5_IJNSE_INSF_IyEEEESM_EEEEEPS7_SP_SP_NSC_11hip_rocprim7__merge17predicate_wrapperIyyNSC_7greaterImEEEEEE10hipError_tPvRmT0_T1_T2_T3_T4_T5_mmT6_P12ihipStream_tbEUlT_E0_NS1_11comp_targetILNS1_3genE2ELNS1_11target_archE906ELNS1_3gpuE6ELNS1_3repE0EEENS1_30default_config_static_selectorELNS0_4arch9wavefront6targetE0EEEvS10_.kd
    .uniform_work_group_size: 1
    .uses_dynamic_stack: false
    .vgpr_count:     0
    .vgpr_spill_count: 0
    .wavefront_size: 32
    .workgroup_processor_mode: 1
  - .args:
      - .offset:         0
        .size:           112
        .value_kind:     by_value
    .group_segment_fixed_size: 0
    .kernarg_segment_align: 8
    .kernarg_segment_size: 112
    .language:       OpenCL C
    .language_version:
      - 2
      - 0
    .max_flat_workgroup_size: 512
    .name:           _ZN7rocprim17ROCPRIM_400000_NS6detail17trampoline_kernelINS0_14default_configENS1_21merge_config_selectorINS0_5tupleIJyyEEENS0_10empty_typeEEEZNS1_10merge_implIS3_NS0_12zip_iteratorINS5_IJN6thrust23THRUST_200600_302600_NS6detail15normal_iteratorINSC_10device_ptrIKyEEEESI_EEEEESK_NSA_INS5_IJNSE_INSF_IyEEEESM_EEEEEPS7_SP_SP_NSC_11hip_rocprim7__merge17predicate_wrapperIyyNSC_7greaterImEEEEEE10hipError_tPvRmT0_T1_T2_T3_T4_T5_mmT6_P12ihipStream_tbEUlT_E0_NS1_11comp_targetILNS1_3genE10ELNS1_11target_archE1201ELNS1_3gpuE5ELNS1_3repE0EEENS1_30default_config_static_selectorELNS0_4arch9wavefront6targetE0EEEvS10_
    .private_segment_fixed_size: 0
    .sgpr_count:     0
    .sgpr_spill_count: 0
    .symbol:         _ZN7rocprim17ROCPRIM_400000_NS6detail17trampoline_kernelINS0_14default_configENS1_21merge_config_selectorINS0_5tupleIJyyEEENS0_10empty_typeEEEZNS1_10merge_implIS3_NS0_12zip_iteratorINS5_IJN6thrust23THRUST_200600_302600_NS6detail15normal_iteratorINSC_10device_ptrIKyEEEESI_EEEEESK_NSA_INS5_IJNSE_INSF_IyEEEESM_EEEEEPS7_SP_SP_NSC_11hip_rocprim7__merge17predicate_wrapperIyyNSC_7greaterImEEEEEE10hipError_tPvRmT0_T1_T2_T3_T4_T5_mmT6_P12ihipStream_tbEUlT_E0_NS1_11comp_targetILNS1_3genE10ELNS1_11target_archE1201ELNS1_3gpuE5ELNS1_3repE0EEENS1_30default_config_static_selectorELNS0_4arch9wavefront6targetE0EEEvS10_.kd
    .uniform_work_group_size: 1
    .uses_dynamic_stack: false
    .vgpr_count:     0
    .vgpr_spill_count: 0
    .wavefront_size: 32
    .workgroup_processor_mode: 1
  - .args:
      - .offset:         0
        .size:           112
        .value_kind:     by_value
    .group_segment_fixed_size: 0
    .kernarg_segment_align: 8
    .kernarg_segment_size: 112
    .language:       OpenCL C
    .language_version:
      - 2
      - 0
    .max_flat_workgroup_size: 256
    .name:           _ZN7rocprim17ROCPRIM_400000_NS6detail17trampoline_kernelINS0_14default_configENS1_21merge_config_selectorINS0_5tupleIJyyEEENS0_10empty_typeEEEZNS1_10merge_implIS3_NS0_12zip_iteratorINS5_IJN6thrust23THRUST_200600_302600_NS6detail15normal_iteratorINSC_10device_ptrIKyEEEESI_EEEEESK_NSA_INS5_IJNSE_INSF_IyEEEESM_EEEEEPS7_SP_SP_NSC_11hip_rocprim7__merge17predicate_wrapperIyyNSC_7greaterImEEEEEE10hipError_tPvRmT0_T1_T2_T3_T4_T5_mmT6_P12ihipStream_tbEUlT_E0_NS1_11comp_targetILNS1_3genE10ELNS1_11target_archE1200ELNS1_3gpuE4ELNS1_3repE0EEENS1_30default_config_static_selectorELNS0_4arch9wavefront6targetE0EEEvS10_
    .private_segment_fixed_size: 0
    .sgpr_count:     0
    .sgpr_spill_count: 0
    .symbol:         _ZN7rocprim17ROCPRIM_400000_NS6detail17trampoline_kernelINS0_14default_configENS1_21merge_config_selectorINS0_5tupleIJyyEEENS0_10empty_typeEEEZNS1_10merge_implIS3_NS0_12zip_iteratorINS5_IJN6thrust23THRUST_200600_302600_NS6detail15normal_iteratorINSC_10device_ptrIKyEEEESI_EEEEESK_NSA_INS5_IJNSE_INSF_IyEEEESM_EEEEEPS7_SP_SP_NSC_11hip_rocprim7__merge17predicate_wrapperIyyNSC_7greaterImEEEEEE10hipError_tPvRmT0_T1_T2_T3_T4_T5_mmT6_P12ihipStream_tbEUlT_E0_NS1_11comp_targetILNS1_3genE10ELNS1_11target_archE1200ELNS1_3gpuE4ELNS1_3repE0EEENS1_30default_config_static_selectorELNS0_4arch9wavefront6targetE0EEEvS10_.kd
    .uniform_work_group_size: 1
    .uses_dynamic_stack: false
    .vgpr_count:     0
    .vgpr_spill_count: 0
    .wavefront_size: 32
    .workgroup_processor_mode: 1
  - .args:
      - .offset:         0
        .size:           112
        .value_kind:     by_value
    .group_segment_fixed_size: 0
    .kernarg_segment_align: 8
    .kernarg_segment_size: 112
    .language:       OpenCL C
    .language_version:
      - 2
      - 0
    .max_flat_workgroup_size: 1024
    .name:           _ZN7rocprim17ROCPRIM_400000_NS6detail17trampoline_kernelINS0_14default_configENS1_21merge_config_selectorINS0_5tupleIJyyEEENS0_10empty_typeEEEZNS1_10merge_implIS3_NS0_12zip_iteratorINS5_IJN6thrust23THRUST_200600_302600_NS6detail15normal_iteratorINSC_10device_ptrIKyEEEESI_EEEEESK_NSA_INS5_IJNSE_INSF_IyEEEESM_EEEEEPS7_SP_SP_NSC_11hip_rocprim7__merge17predicate_wrapperIyyNSC_7greaterImEEEEEE10hipError_tPvRmT0_T1_T2_T3_T4_T5_mmT6_P12ihipStream_tbEUlT_E0_NS1_11comp_targetILNS1_3genE9ELNS1_11target_archE1100ELNS1_3gpuE3ELNS1_3repE0EEENS1_30default_config_static_selectorELNS0_4arch9wavefront6targetE0EEEvS10_
    .private_segment_fixed_size: 0
    .sgpr_count:     0
    .sgpr_spill_count: 0
    .symbol:         _ZN7rocprim17ROCPRIM_400000_NS6detail17trampoline_kernelINS0_14default_configENS1_21merge_config_selectorINS0_5tupleIJyyEEENS0_10empty_typeEEEZNS1_10merge_implIS3_NS0_12zip_iteratorINS5_IJN6thrust23THRUST_200600_302600_NS6detail15normal_iteratorINSC_10device_ptrIKyEEEESI_EEEEESK_NSA_INS5_IJNSE_INSF_IyEEEESM_EEEEEPS7_SP_SP_NSC_11hip_rocprim7__merge17predicate_wrapperIyyNSC_7greaterImEEEEEE10hipError_tPvRmT0_T1_T2_T3_T4_T5_mmT6_P12ihipStream_tbEUlT_E0_NS1_11comp_targetILNS1_3genE9ELNS1_11target_archE1100ELNS1_3gpuE3ELNS1_3repE0EEENS1_30default_config_static_selectorELNS0_4arch9wavefront6targetE0EEEvS10_.kd
    .uniform_work_group_size: 1
    .uses_dynamic_stack: false
    .vgpr_count:     0
    .vgpr_spill_count: 0
    .wavefront_size: 32
    .workgroup_processor_mode: 1
  - .args:
      - .offset:         0
        .size:           112
        .value_kind:     by_value
    .group_segment_fixed_size: 33792
    .kernarg_segment_align: 8
    .kernarg_segment_size: 112
    .language:       OpenCL C
    .language_version:
      - 2
      - 0
    .max_flat_workgroup_size: 256
    .name:           _ZN7rocprim17ROCPRIM_400000_NS6detail17trampoline_kernelINS0_14default_configENS1_21merge_config_selectorINS0_5tupleIJyyEEENS0_10empty_typeEEEZNS1_10merge_implIS3_NS0_12zip_iteratorINS5_IJN6thrust23THRUST_200600_302600_NS6detail15normal_iteratorINSC_10device_ptrIKyEEEESI_EEEEESK_NSA_INS5_IJNSE_INSF_IyEEEESM_EEEEEPS7_SP_SP_NSC_11hip_rocprim7__merge17predicate_wrapperIyyNSC_7greaterImEEEEEE10hipError_tPvRmT0_T1_T2_T3_T4_T5_mmT6_P12ihipStream_tbEUlT_E0_NS1_11comp_targetILNS1_3genE8ELNS1_11target_archE1030ELNS1_3gpuE2ELNS1_3repE0EEENS1_30default_config_static_selectorELNS0_4arch9wavefront6targetE0EEEvS10_
    .private_segment_fixed_size: 0
    .sgpr_count:     28
    .sgpr_spill_count: 0
    .symbol:         _ZN7rocprim17ROCPRIM_400000_NS6detail17trampoline_kernelINS0_14default_configENS1_21merge_config_selectorINS0_5tupleIJyyEEENS0_10empty_typeEEEZNS1_10merge_implIS3_NS0_12zip_iteratorINS5_IJN6thrust23THRUST_200600_302600_NS6detail15normal_iteratorINSC_10device_ptrIKyEEEESI_EEEEESK_NSA_INS5_IJNSE_INSF_IyEEEESM_EEEEEPS7_SP_SP_NSC_11hip_rocprim7__merge17predicate_wrapperIyyNSC_7greaterImEEEEEE10hipError_tPvRmT0_T1_T2_T3_T4_T5_mmT6_P12ihipStream_tbEUlT_E0_NS1_11comp_targetILNS1_3genE8ELNS1_11target_archE1030ELNS1_3gpuE2ELNS1_3repE0EEENS1_30default_config_static_selectorELNS0_4arch9wavefront6targetE0EEEvS10_.kd
    .uniform_work_group_size: 1
    .uses_dynamic_stack: false
    .vgpr_count:     63
    .vgpr_spill_count: 0
    .wavefront_size: 32
    .workgroup_processor_mode: 1
  - .args:
      - .offset:         0
        .size:           64
        .value_kind:     by_value
    .group_segment_fixed_size: 0
    .kernarg_segment_align: 8
    .kernarg_segment_size: 64
    .language:       OpenCL C
    .language_version:
      - 2
      - 0
    .max_flat_workgroup_size: 256
    .name:           _ZN7rocprim17ROCPRIM_400000_NS6detail17trampoline_kernelINS0_14default_configENS1_21merge_config_selectorINS0_5tupleIJjjEEENS0_10empty_typeEEEZNS1_10merge_implIS3_NS0_12zip_iteratorINS5_IJN6thrust23THRUST_200600_302600_NS6detail15normal_iteratorINSC_10device_ptrIKjEEEESI_EEEEESK_NSA_INS5_IJNSE_INSF_IjEEEESM_EEEEEPS7_SP_SP_NSC_11hip_rocprim7__merge17predicate_wrapperIjjNSC_7greaterIjEEEEEE10hipError_tPvRmT0_T1_T2_T3_T4_T5_mmT6_P12ihipStream_tbEUlT_E_NS1_11comp_targetILNS1_3genE0ELNS1_11target_archE4294967295ELNS1_3gpuE0ELNS1_3repE0EEENS1_30default_config_static_selectorELNS0_4arch9wavefront6targetE0EEEvS10_
    .private_segment_fixed_size: 0
    .sgpr_count:     0
    .sgpr_spill_count: 0
    .symbol:         _ZN7rocprim17ROCPRIM_400000_NS6detail17trampoline_kernelINS0_14default_configENS1_21merge_config_selectorINS0_5tupleIJjjEEENS0_10empty_typeEEEZNS1_10merge_implIS3_NS0_12zip_iteratorINS5_IJN6thrust23THRUST_200600_302600_NS6detail15normal_iteratorINSC_10device_ptrIKjEEEESI_EEEEESK_NSA_INS5_IJNSE_INSF_IjEEEESM_EEEEEPS7_SP_SP_NSC_11hip_rocprim7__merge17predicate_wrapperIjjNSC_7greaterIjEEEEEE10hipError_tPvRmT0_T1_T2_T3_T4_T5_mmT6_P12ihipStream_tbEUlT_E_NS1_11comp_targetILNS1_3genE0ELNS1_11target_archE4294967295ELNS1_3gpuE0ELNS1_3repE0EEENS1_30default_config_static_selectorELNS0_4arch9wavefront6targetE0EEEvS10_.kd
    .uniform_work_group_size: 1
    .uses_dynamic_stack: false
    .vgpr_count:     0
    .vgpr_spill_count: 0
    .wavefront_size: 32
    .workgroup_processor_mode: 1
  - .args:
      - .offset:         0
        .size:           64
        .value_kind:     by_value
    .group_segment_fixed_size: 0
    .kernarg_segment_align: 8
    .kernarg_segment_size: 64
    .language:       OpenCL C
    .language_version:
      - 2
      - 0
    .max_flat_workgroup_size: 256
    .name:           _ZN7rocprim17ROCPRIM_400000_NS6detail17trampoline_kernelINS0_14default_configENS1_21merge_config_selectorINS0_5tupleIJjjEEENS0_10empty_typeEEEZNS1_10merge_implIS3_NS0_12zip_iteratorINS5_IJN6thrust23THRUST_200600_302600_NS6detail15normal_iteratorINSC_10device_ptrIKjEEEESI_EEEEESK_NSA_INS5_IJNSE_INSF_IjEEEESM_EEEEEPS7_SP_SP_NSC_11hip_rocprim7__merge17predicate_wrapperIjjNSC_7greaterIjEEEEEE10hipError_tPvRmT0_T1_T2_T3_T4_T5_mmT6_P12ihipStream_tbEUlT_E_NS1_11comp_targetILNS1_3genE5ELNS1_11target_archE942ELNS1_3gpuE9ELNS1_3repE0EEENS1_30default_config_static_selectorELNS0_4arch9wavefront6targetE0EEEvS10_
    .private_segment_fixed_size: 0
    .sgpr_count:     0
    .sgpr_spill_count: 0
    .symbol:         _ZN7rocprim17ROCPRIM_400000_NS6detail17trampoline_kernelINS0_14default_configENS1_21merge_config_selectorINS0_5tupleIJjjEEENS0_10empty_typeEEEZNS1_10merge_implIS3_NS0_12zip_iteratorINS5_IJN6thrust23THRUST_200600_302600_NS6detail15normal_iteratorINSC_10device_ptrIKjEEEESI_EEEEESK_NSA_INS5_IJNSE_INSF_IjEEEESM_EEEEEPS7_SP_SP_NSC_11hip_rocprim7__merge17predicate_wrapperIjjNSC_7greaterIjEEEEEE10hipError_tPvRmT0_T1_T2_T3_T4_T5_mmT6_P12ihipStream_tbEUlT_E_NS1_11comp_targetILNS1_3genE5ELNS1_11target_archE942ELNS1_3gpuE9ELNS1_3repE0EEENS1_30default_config_static_selectorELNS0_4arch9wavefront6targetE0EEEvS10_.kd
    .uniform_work_group_size: 1
    .uses_dynamic_stack: false
    .vgpr_count:     0
    .vgpr_spill_count: 0
    .wavefront_size: 32
    .workgroup_processor_mode: 1
  - .args:
      - .offset:         0
        .size:           64
        .value_kind:     by_value
    .group_segment_fixed_size: 0
    .kernarg_segment_align: 8
    .kernarg_segment_size: 64
    .language:       OpenCL C
    .language_version:
      - 2
      - 0
    .max_flat_workgroup_size: 256
    .name:           _ZN7rocprim17ROCPRIM_400000_NS6detail17trampoline_kernelINS0_14default_configENS1_21merge_config_selectorINS0_5tupleIJjjEEENS0_10empty_typeEEEZNS1_10merge_implIS3_NS0_12zip_iteratorINS5_IJN6thrust23THRUST_200600_302600_NS6detail15normal_iteratorINSC_10device_ptrIKjEEEESI_EEEEESK_NSA_INS5_IJNSE_INSF_IjEEEESM_EEEEEPS7_SP_SP_NSC_11hip_rocprim7__merge17predicate_wrapperIjjNSC_7greaterIjEEEEEE10hipError_tPvRmT0_T1_T2_T3_T4_T5_mmT6_P12ihipStream_tbEUlT_E_NS1_11comp_targetILNS1_3genE4ELNS1_11target_archE910ELNS1_3gpuE8ELNS1_3repE0EEENS1_30default_config_static_selectorELNS0_4arch9wavefront6targetE0EEEvS10_
    .private_segment_fixed_size: 0
    .sgpr_count:     0
    .sgpr_spill_count: 0
    .symbol:         _ZN7rocprim17ROCPRIM_400000_NS6detail17trampoline_kernelINS0_14default_configENS1_21merge_config_selectorINS0_5tupleIJjjEEENS0_10empty_typeEEEZNS1_10merge_implIS3_NS0_12zip_iteratorINS5_IJN6thrust23THRUST_200600_302600_NS6detail15normal_iteratorINSC_10device_ptrIKjEEEESI_EEEEESK_NSA_INS5_IJNSE_INSF_IjEEEESM_EEEEEPS7_SP_SP_NSC_11hip_rocprim7__merge17predicate_wrapperIjjNSC_7greaterIjEEEEEE10hipError_tPvRmT0_T1_T2_T3_T4_T5_mmT6_P12ihipStream_tbEUlT_E_NS1_11comp_targetILNS1_3genE4ELNS1_11target_archE910ELNS1_3gpuE8ELNS1_3repE0EEENS1_30default_config_static_selectorELNS0_4arch9wavefront6targetE0EEEvS10_.kd
    .uniform_work_group_size: 1
    .uses_dynamic_stack: false
    .vgpr_count:     0
    .vgpr_spill_count: 0
    .wavefront_size: 32
    .workgroup_processor_mode: 1
  - .args:
      - .offset:         0
        .size:           64
        .value_kind:     by_value
    .group_segment_fixed_size: 0
    .kernarg_segment_align: 8
    .kernarg_segment_size: 64
    .language:       OpenCL C
    .language_version:
      - 2
      - 0
    .max_flat_workgroup_size: 256
    .name:           _ZN7rocprim17ROCPRIM_400000_NS6detail17trampoline_kernelINS0_14default_configENS1_21merge_config_selectorINS0_5tupleIJjjEEENS0_10empty_typeEEEZNS1_10merge_implIS3_NS0_12zip_iteratorINS5_IJN6thrust23THRUST_200600_302600_NS6detail15normal_iteratorINSC_10device_ptrIKjEEEESI_EEEEESK_NSA_INS5_IJNSE_INSF_IjEEEESM_EEEEEPS7_SP_SP_NSC_11hip_rocprim7__merge17predicate_wrapperIjjNSC_7greaterIjEEEEEE10hipError_tPvRmT0_T1_T2_T3_T4_T5_mmT6_P12ihipStream_tbEUlT_E_NS1_11comp_targetILNS1_3genE3ELNS1_11target_archE908ELNS1_3gpuE7ELNS1_3repE0EEENS1_30default_config_static_selectorELNS0_4arch9wavefront6targetE0EEEvS10_
    .private_segment_fixed_size: 0
    .sgpr_count:     0
    .sgpr_spill_count: 0
    .symbol:         _ZN7rocprim17ROCPRIM_400000_NS6detail17trampoline_kernelINS0_14default_configENS1_21merge_config_selectorINS0_5tupleIJjjEEENS0_10empty_typeEEEZNS1_10merge_implIS3_NS0_12zip_iteratorINS5_IJN6thrust23THRUST_200600_302600_NS6detail15normal_iteratorINSC_10device_ptrIKjEEEESI_EEEEESK_NSA_INS5_IJNSE_INSF_IjEEEESM_EEEEEPS7_SP_SP_NSC_11hip_rocprim7__merge17predicate_wrapperIjjNSC_7greaterIjEEEEEE10hipError_tPvRmT0_T1_T2_T3_T4_T5_mmT6_P12ihipStream_tbEUlT_E_NS1_11comp_targetILNS1_3genE3ELNS1_11target_archE908ELNS1_3gpuE7ELNS1_3repE0EEENS1_30default_config_static_selectorELNS0_4arch9wavefront6targetE0EEEvS10_.kd
    .uniform_work_group_size: 1
    .uses_dynamic_stack: false
    .vgpr_count:     0
    .vgpr_spill_count: 0
    .wavefront_size: 32
    .workgroup_processor_mode: 1
  - .args:
      - .offset:         0
        .size:           64
        .value_kind:     by_value
    .group_segment_fixed_size: 0
    .kernarg_segment_align: 8
    .kernarg_segment_size: 64
    .language:       OpenCL C
    .language_version:
      - 2
      - 0
    .max_flat_workgroup_size: 256
    .name:           _ZN7rocprim17ROCPRIM_400000_NS6detail17trampoline_kernelINS0_14default_configENS1_21merge_config_selectorINS0_5tupleIJjjEEENS0_10empty_typeEEEZNS1_10merge_implIS3_NS0_12zip_iteratorINS5_IJN6thrust23THRUST_200600_302600_NS6detail15normal_iteratorINSC_10device_ptrIKjEEEESI_EEEEESK_NSA_INS5_IJNSE_INSF_IjEEEESM_EEEEEPS7_SP_SP_NSC_11hip_rocprim7__merge17predicate_wrapperIjjNSC_7greaterIjEEEEEE10hipError_tPvRmT0_T1_T2_T3_T4_T5_mmT6_P12ihipStream_tbEUlT_E_NS1_11comp_targetILNS1_3genE2ELNS1_11target_archE906ELNS1_3gpuE6ELNS1_3repE0EEENS1_30default_config_static_selectorELNS0_4arch9wavefront6targetE0EEEvS10_
    .private_segment_fixed_size: 0
    .sgpr_count:     0
    .sgpr_spill_count: 0
    .symbol:         _ZN7rocprim17ROCPRIM_400000_NS6detail17trampoline_kernelINS0_14default_configENS1_21merge_config_selectorINS0_5tupleIJjjEEENS0_10empty_typeEEEZNS1_10merge_implIS3_NS0_12zip_iteratorINS5_IJN6thrust23THRUST_200600_302600_NS6detail15normal_iteratorINSC_10device_ptrIKjEEEESI_EEEEESK_NSA_INS5_IJNSE_INSF_IjEEEESM_EEEEEPS7_SP_SP_NSC_11hip_rocprim7__merge17predicate_wrapperIjjNSC_7greaterIjEEEEEE10hipError_tPvRmT0_T1_T2_T3_T4_T5_mmT6_P12ihipStream_tbEUlT_E_NS1_11comp_targetILNS1_3genE2ELNS1_11target_archE906ELNS1_3gpuE6ELNS1_3repE0EEENS1_30default_config_static_selectorELNS0_4arch9wavefront6targetE0EEEvS10_.kd
    .uniform_work_group_size: 1
    .uses_dynamic_stack: false
    .vgpr_count:     0
    .vgpr_spill_count: 0
    .wavefront_size: 32
    .workgroup_processor_mode: 1
  - .args:
      - .offset:         0
        .size:           64
        .value_kind:     by_value
    .group_segment_fixed_size: 0
    .kernarg_segment_align: 8
    .kernarg_segment_size: 64
    .language:       OpenCL C
    .language_version:
      - 2
      - 0
    .max_flat_workgroup_size: 512
    .name:           _ZN7rocprim17ROCPRIM_400000_NS6detail17trampoline_kernelINS0_14default_configENS1_21merge_config_selectorINS0_5tupleIJjjEEENS0_10empty_typeEEEZNS1_10merge_implIS3_NS0_12zip_iteratorINS5_IJN6thrust23THRUST_200600_302600_NS6detail15normal_iteratorINSC_10device_ptrIKjEEEESI_EEEEESK_NSA_INS5_IJNSE_INSF_IjEEEESM_EEEEEPS7_SP_SP_NSC_11hip_rocprim7__merge17predicate_wrapperIjjNSC_7greaterIjEEEEEE10hipError_tPvRmT0_T1_T2_T3_T4_T5_mmT6_P12ihipStream_tbEUlT_E_NS1_11comp_targetILNS1_3genE10ELNS1_11target_archE1201ELNS1_3gpuE5ELNS1_3repE0EEENS1_30default_config_static_selectorELNS0_4arch9wavefront6targetE0EEEvS10_
    .private_segment_fixed_size: 0
    .sgpr_count:     0
    .sgpr_spill_count: 0
    .symbol:         _ZN7rocprim17ROCPRIM_400000_NS6detail17trampoline_kernelINS0_14default_configENS1_21merge_config_selectorINS0_5tupleIJjjEEENS0_10empty_typeEEEZNS1_10merge_implIS3_NS0_12zip_iteratorINS5_IJN6thrust23THRUST_200600_302600_NS6detail15normal_iteratorINSC_10device_ptrIKjEEEESI_EEEEESK_NSA_INS5_IJNSE_INSF_IjEEEESM_EEEEEPS7_SP_SP_NSC_11hip_rocprim7__merge17predicate_wrapperIjjNSC_7greaterIjEEEEEE10hipError_tPvRmT0_T1_T2_T3_T4_T5_mmT6_P12ihipStream_tbEUlT_E_NS1_11comp_targetILNS1_3genE10ELNS1_11target_archE1201ELNS1_3gpuE5ELNS1_3repE0EEENS1_30default_config_static_selectorELNS0_4arch9wavefront6targetE0EEEvS10_.kd
    .uniform_work_group_size: 1
    .uses_dynamic_stack: false
    .vgpr_count:     0
    .vgpr_spill_count: 0
    .wavefront_size: 32
    .workgroup_processor_mode: 1
  - .args:
      - .offset:         0
        .size:           64
        .value_kind:     by_value
    .group_segment_fixed_size: 0
    .kernarg_segment_align: 8
    .kernarg_segment_size: 64
    .language:       OpenCL C
    .language_version:
      - 2
      - 0
    .max_flat_workgroup_size: 1024
    .name:           _ZN7rocprim17ROCPRIM_400000_NS6detail17trampoline_kernelINS0_14default_configENS1_21merge_config_selectorINS0_5tupleIJjjEEENS0_10empty_typeEEEZNS1_10merge_implIS3_NS0_12zip_iteratorINS5_IJN6thrust23THRUST_200600_302600_NS6detail15normal_iteratorINSC_10device_ptrIKjEEEESI_EEEEESK_NSA_INS5_IJNSE_INSF_IjEEEESM_EEEEEPS7_SP_SP_NSC_11hip_rocprim7__merge17predicate_wrapperIjjNSC_7greaterIjEEEEEE10hipError_tPvRmT0_T1_T2_T3_T4_T5_mmT6_P12ihipStream_tbEUlT_E_NS1_11comp_targetILNS1_3genE10ELNS1_11target_archE1200ELNS1_3gpuE4ELNS1_3repE0EEENS1_30default_config_static_selectorELNS0_4arch9wavefront6targetE0EEEvS10_
    .private_segment_fixed_size: 0
    .sgpr_count:     0
    .sgpr_spill_count: 0
    .symbol:         _ZN7rocprim17ROCPRIM_400000_NS6detail17trampoline_kernelINS0_14default_configENS1_21merge_config_selectorINS0_5tupleIJjjEEENS0_10empty_typeEEEZNS1_10merge_implIS3_NS0_12zip_iteratorINS5_IJN6thrust23THRUST_200600_302600_NS6detail15normal_iteratorINSC_10device_ptrIKjEEEESI_EEEEESK_NSA_INS5_IJNSE_INSF_IjEEEESM_EEEEEPS7_SP_SP_NSC_11hip_rocprim7__merge17predicate_wrapperIjjNSC_7greaterIjEEEEEE10hipError_tPvRmT0_T1_T2_T3_T4_T5_mmT6_P12ihipStream_tbEUlT_E_NS1_11comp_targetILNS1_3genE10ELNS1_11target_archE1200ELNS1_3gpuE4ELNS1_3repE0EEENS1_30default_config_static_selectorELNS0_4arch9wavefront6targetE0EEEvS10_.kd
    .uniform_work_group_size: 1
    .uses_dynamic_stack: false
    .vgpr_count:     0
    .vgpr_spill_count: 0
    .wavefront_size: 32
    .workgroup_processor_mode: 1
  - .args:
      - .offset:         0
        .size:           64
        .value_kind:     by_value
    .group_segment_fixed_size: 0
    .kernarg_segment_align: 8
    .kernarg_segment_size: 64
    .language:       OpenCL C
    .language_version:
      - 2
      - 0
    .max_flat_workgroup_size: 1024
    .name:           _ZN7rocprim17ROCPRIM_400000_NS6detail17trampoline_kernelINS0_14default_configENS1_21merge_config_selectorINS0_5tupleIJjjEEENS0_10empty_typeEEEZNS1_10merge_implIS3_NS0_12zip_iteratorINS5_IJN6thrust23THRUST_200600_302600_NS6detail15normal_iteratorINSC_10device_ptrIKjEEEESI_EEEEESK_NSA_INS5_IJNSE_INSF_IjEEEESM_EEEEEPS7_SP_SP_NSC_11hip_rocprim7__merge17predicate_wrapperIjjNSC_7greaterIjEEEEEE10hipError_tPvRmT0_T1_T2_T3_T4_T5_mmT6_P12ihipStream_tbEUlT_E_NS1_11comp_targetILNS1_3genE9ELNS1_11target_archE1100ELNS1_3gpuE3ELNS1_3repE0EEENS1_30default_config_static_selectorELNS0_4arch9wavefront6targetE0EEEvS10_
    .private_segment_fixed_size: 0
    .sgpr_count:     0
    .sgpr_spill_count: 0
    .symbol:         _ZN7rocprim17ROCPRIM_400000_NS6detail17trampoline_kernelINS0_14default_configENS1_21merge_config_selectorINS0_5tupleIJjjEEENS0_10empty_typeEEEZNS1_10merge_implIS3_NS0_12zip_iteratorINS5_IJN6thrust23THRUST_200600_302600_NS6detail15normal_iteratorINSC_10device_ptrIKjEEEESI_EEEEESK_NSA_INS5_IJNSE_INSF_IjEEEESM_EEEEEPS7_SP_SP_NSC_11hip_rocprim7__merge17predicate_wrapperIjjNSC_7greaterIjEEEEEE10hipError_tPvRmT0_T1_T2_T3_T4_T5_mmT6_P12ihipStream_tbEUlT_E_NS1_11comp_targetILNS1_3genE9ELNS1_11target_archE1100ELNS1_3gpuE3ELNS1_3repE0EEENS1_30default_config_static_selectorELNS0_4arch9wavefront6targetE0EEEvS10_.kd
    .uniform_work_group_size: 1
    .uses_dynamic_stack: false
    .vgpr_count:     0
    .vgpr_spill_count: 0
    .wavefront_size: 32
    .workgroup_processor_mode: 1
  - .args:
      - .offset:         0
        .size:           64
        .value_kind:     by_value
      - .offset:         64
        .size:           4
        .value_kind:     hidden_block_count_x
      - .offset:         68
        .size:           4
        .value_kind:     hidden_block_count_y
      - .offset:         72
        .size:           4
        .value_kind:     hidden_block_count_z
      - .offset:         76
        .size:           2
        .value_kind:     hidden_group_size_x
      - .offset:         78
        .size:           2
        .value_kind:     hidden_group_size_y
      - .offset:         80
        .size:           2
        .value_kind:     hidden_group_size_z
      - .offset:         82
        .size:           2
        .value_kind:     hidden_remainder_x
      - .offset:         84
        .size:           2
        .value_kind:     hidden_remainder_y
      - .offset:         86
        .size:           2
        .value_kind:     hidden_remainder_z
      - .offset:         104
        .size:           8
        .value_kind:     hidden_global_offset_x
      - .offset:         112
        .size:           8
        .value_kind:     hidden_global_offset_y
      - .offset:         120
        .size:           8
        .value_kind:     hidden_global_offset_z
      - .offset:         128
        .size:           2
        .value_kind:     hidden_grid_dims
    .group_segment_fixed_size: 0
    .kernarg_segment_align: 8
    .kernarg_segment_size: 320
    .language:       OpenCL C
    .language_version:
      - 2
      - 0
    .max_flat_workgroup_size: 256
    .name:           _ZN7rocprim17ROCPRIM_400000_NS6detail17trampoline_kernelINS0_14default_configENS1_21merge_config_selectorINS0_5tupleIJjjEEENS0_10empty_typeEEEZNS1_10merge_implIS3_NS0_12zip_iteratorINS5_IJN6thrust23THRUST_200600_302600_NS6detail15normal_iteratorINSC_10device_ptrIKjEEEESI_EEEEESK_NSA_INS5_IJNSE_INSF_IjEEEESM_EEEEEPS7_SP_SP_NSC_11hip_rocprim7__merge17predicate_wrapperIjjNSC_7greaterIjEEEEEE10hipError_tPvRmT0_T1_T2_T3_T4_T5_mmT6_P12ihipStream_tbEUlT_E_NS1_11comp_targetILNS1_3genE8ELNS1_11target_archE1030ELNS1_3gpuE2ELNS1_3repE0EEENS1_30default_config_static_selectorELNS0_4arch9wavefront6targetE0EEEvS10_
    .private_segment_fixed_size: 0
    .sgpr_count:     18
    .sgpr_spill_count: 0
    .symbol:         _ZN7rocprim17ROCPRIM_400000_NS6detail17trampoline_kernelINS0_14default_configENS1_21merge_config_selectorINS0_5tupleIJjjEEENS0_10empty_typeEEEZNS1_10merge_implIS3_NS0_12zip_iteratorINS5_IJN6thrust23THRUST_200600_302600_NS6detail15normal_iteratorINSC_10device_ptrIKjEEEESI_EEEEESK_NSA_INS5_IJNSE_INSF_IjEEEESM_EEEEEPS7_SP_SP_NSC_11hip_rocprim7__merge17predicate_wrapperIjjNSC_7greaterIjEEEEEE10hipError_tPvRmT0_T1_T2_T3_T4_T5_mmT6_P12ihipStream_tbEUlT_E_NS1_11comp_targetILNS1_3genE8ELNS1_11target_archE1030ELNS1_3gpuE2ELNS1_3repE0EEENS1_30default_config_static_selectorELNS0_4arch9wavefront6targetE0EEEvS10_.kd
    .uniform_work_group_size: 1
    .uses_dynamic_stack: false
    .vgpr_count:     13
    .vgpr_spill_count: 0
    .wavefront_size: 32
    .workgroup_processor_mode: 1
  - .args:
      - .offset:         0
        .size:           112
        .value_kind:     by_value
    .group_segment_fixed_size: 0
    .kernarg_segment_align: 8
    .kernarg_segment_size: 112
    .language:       OpenCL C
    .language_version:
      - 2
      - 0
    .max_flat_workgroup_size: 256
    .name:           _ZN7rocprim17ROCPRIM_400000_NS6detail17trampoline_kernelINS0_14default_configENS1_21merge_config_selectorINS0_5tupleIJjjEEENS0_10empty_typeEEEZNS1_10merge_implIS3_NS0_12zip_iteratorINS5_IJN6thrust23THRUST_200600_302600_NS6detail15normal_iteratorINSC_10device_ptrIKjEEEESI_EEEEESK_NSA_INS5_IJNSE_INSF_IjEEEESM_EEEEEPS7_SP_SP_NSC_11hip_rocprim7__merge17predicate_wrapperIjjNSC_7greaterIjEEEEEE10hipError_tPvRmT0_T1_T2_T3_T4_T5_mmT6_P12ihipStream_tbEUlT_E0_NS1_11comp_targetILNS1_3genE0ELNS1_11target_archE4294967295ELNS1_3gpuE0ELNS1_3repE0EEENS1_30default_config_static_selectorELNS0_4arch9wavefront6targetE0EEEvS10_
    .private_segment_fixed_size: 0
    .sgpr_count:     0
    .sgpr_spill_count: 0
    .symbol:         _ZN7rocprim17ROCPRIM_400000_NS6detail17trampoline_kernelINS0_14default_configENS1_21merge_config_selectorINS0_5tupleIJjjEEENS0_10empty_typeEEEZNS1_10merge_implIS3_NS0_12zip_iteratorINS5_IJN6thrust23THRUST_200600_302600_NS6detail15normal_iteratorINSC_10device_ptrIKjEEEESI_EEEEESK_NSA_INS5_IJNSE_INSF_IjEEEESM_EEEEEPS7_SP_SP_NSC_11hip_rocprim7__merge17predicate_wrapperIjjNSC_7greaterIjEEEEEE10hipError_tPvRmT0_T1_T2_T3_T4_T5_mmT6_P12ihipStream_tbEUlT_E0_NS1_11comp_targetILNS1_3genE0ELNS1_11target_archE4294967295ELNS1_3gpuE0ELNS1_3repE0EEENS1_30default_config_static_selectorELNS0_4arch9wavefront6targetE0EEEvS10_.kd
    .uniform_work_group_size: 1
    .uses_dynamic_stack: false
    .vgpr_count:     0
    .vgpr_spill_count: 0
    .wavefront_size: 32
    .workgroup_processor_mode: 1
  - .args:
      - .offset:         0
        .size:           112
        .value_kind:     by_value
    .group_segment_fixed_size: 0
    .kernarg_segment_align: 8
    .kernarg_segment_size: 112
    .language:       OpenCL C
    .language_version:
      - 2
      - 0
    .max_flat_workgroup_size: 256
    .name:           _ZN7rocprim17ROCPRIM_400000_NS6detail17trampoline_kernelINS0_14default_configENS1_21merge_config_selectorINS0_5tupleIJjjEEENS0_10empty_typeEEEZNS1_10merge_implIS3_NS0_12zip_iteratorINS5_IJN6thrust23THRUST_200600_302600_NS6detail15normal_iteratorINSC_10device_ptrIKjEEEESI_EEEEESK_NSA_INS5_IJNSE_INSF_IjEEEESM_EEEEEPS7_SP_SP_NSC_11hip_rocprim7__merge17predicate_wrapperIjjNSC_7greaterIjEEEEEE10hipError_tPvRmT0_T1_T2_T3_T4_T5_mmT6_P12ihipStream_tbEUlT_E0_NS1_11comp_targetILNS1_3genE5ELNS1_11target_archE942ELNS1_3gpuE9ELNS1_3repE0EEENS1_30default_config_static_selectorELNS0_4arch9wavefront6targetE0EEEvS10_
    .private_segment_fixed_size: 0
    .sgpr_count:     0
    .sgpr_spill_count: 0
    .symbol:         _ZN7rocprim17ROCPRIM_400000_NS6detail17trampoline_kernelINS0_14default_configENS1_21merge_config_selectorINS0_5tupleIJjjEEENS0_10empty_typeEEEZNS1_10merge_implIS3_NS0_12zip_iteratorINS5_IJN6thrust23THRUST_200600_302600_NS6detail15normal_iteratorINSC_10device_ptrIKjEEEESI_EEEEESK_NSA_INS5_IJNSE_INSF_IjEEEESM_EEEEEPS7_SP_SP_NSC_11hip_rocprim7__merge17predicate_wrapperIjjNSC_7greaterIjEEEEEE10hipError_tPvRmT0_T1_T2_T3_T4_T5_mmT6_P12ihipStream_tbEUlT_E0_NS1_11comp_targetILNS1_3genE5ELNS1_11target_archE942ELNS1_3gpuE9ELNS1_3repE0EEENS1_30default_config_static_selectorELNS0_4arch9wavefront6targetE0EEEvS10_.kd
    .uniform_work_group_size: 1
    .uses_dynamic_stack: false
    .vgpr_count:     0
    .vgpr_spill_count: 0
    .wavefront_size: 32
    .workgroup_processor_mode: 1
  - .args:
      - .offset:         0
        .size:           112
        .value_kind:     by_value
    .group_segment_fixed_size: 0
    .kernarg_segment_align: 8
    .kernarg_segment_size: 112
    .language:       OpenCL C
    .language_version:
      - 2
      - 0
    .max_flat_workgroup_size: 256
    .name:           _ZN7rocprim17ROCPRIM_400000_NS6detail17trampoline_kernelINS0_14default_configENS1_21merge_config_selectorINS0_5tupleIJjjEEENS0_10empty_typeEEEZNS1_10merge_implIS3_NS0_12zip_iteratorINS5_IJN6thrust23THRUST_200600_302600_NS6detail15normal_iteratorINSC_10device_ptrIKjEEEESI_EEEEESK_NSA_INS5_IJNSE_INSF_IjEEEESM_EEEEEPS7_SP_SP_NSC_11hip_rocprim7__merge17predicate_wrapperIjjNSC_7greaterIjEEEEEE10hipError_tPvRmT0_T1_T2_T3_T4_T5_mmT6_P12ihipStream_tbEUlT_E0_NS1_11comp_targetILNS1_3genE4ELNS1_11target_archE910ELNS1_3gpuE8ELNS1_3repE0EEENS1_30default_config_static_selectorELNS0_4arch9wavefront6targetE0EEEvS10_
    .private_segment_fixed_size: 0
    .sgpr_count:     0
    .sgpr_spill_count: 0
    .symbol:         _ZN7rocprim17ROCPRIM_400000_NS6detail17trampoline_kernelINS0_14default_configENS1_21merge_config_selectorINS0_5tupleIJjjEEENS0_10empty_typeEEEZNS1_10merge_implIS3_NS0_12zip_iteratorINS5_IJN6thrust23THRUST_200600_302600_NS6detail15normal_iteratorINSC_10device_ptrIKjEEEESI_EEEEESK_NSA_INS5_IJNSE_INSF_IjEEEESM_EEEEEPS7_SP_SP_NSC_11hip_rocprim7__merge17predicate_wrapperIjjNSC_7greaterIjEEEEEE10hipError_tPvRmT0_T1_T2_T3_T4_T5_mmT6_P12ihipStream_tbEUlT_E0_NS1_11comp_targetILNS1_3genE4ELNS1_11target_archE910ELNS1_3gpuE8ELNS1_3repE0EEENS1_30default_config_static_selectorELNS0_4arch9wavefront6targetE0EEEvS10_.kd
    .uniform_work_group_size: 1
    .uses_dynamic_stack: false
    .vgpr_count:     0
    .vgpr_spill_count: 0
    .wavefront_size: 32
    .workgroup_processor_mode: 1
  - .args:
      - .offset:         0
        .size:           112
        .value_kind:     by_value
    .group_segment_fixed_size: 0
    .kernarg_segment_align: 8
    .kernarg_segment_size: 112
    .language:       OpenCL C
    .language_version:
      - 2
      - 0
    .max_flat_workgroup_size: 256
    .name:           _ZN7rocprim17ROCPRIM_400000_NS6detail17trampoline_kernelINS0_14default_configENS1_21merge_config_selectorINS0_5tupleIJjjEEENS0_10empty_typeEEEZNS1_10merge_implIS3_NS0_12zip_iteratorINS5_IJN6thrust23THRUST_200600_302600_NS6detail15normal_iteratorINSC_10device_ptrIKjEEEESI_EEEEESK_NSA_INS5_IJNSE_INSF_IjEEEESM_EEEEEPS7_SP_SP_NSC_11hip_rocprim7__merge17predicate_wrapperIjjNSC_7greaterIjEEEEEE10hipError_tPvRmT0_T1_T2_T3_T4_T5_mmT6_P12ihipStream_tbEUlT_E0_NS1_11comp_targetILNS1_3genE3ELNS1_11target_archE908ELNS1_3gpuE7ELNS1_3repE0EEENS1_30default_config_static_selectorELNS0_4arch9wavefront6targetE0EEEvS10_
    .private_segment_fixed_size: 0
    .sgpr_count:     0
    .sgpr_spill_count: 0
    .symbol:         _ZN7rocprim17ROCPRIM_400000_NS6detail17trampoline_kernelINS0_14default_configENS1_21merge_config_selectorINS0_5tupleIJjjEEENS0_10empty_typeEEEZNS1_10merge_implIS3_NS0_12zip_iteratorINS5_IJN6thrust23THRUST_200600_302600_NS6detail15normal_iteratorINSC_10device_ptrIKjEEEESI_EEEEESK_NSA_INS5_IJNSE_INSF_IjEEEESM_EEEEEPS7_SP_SP_NSC_11hip_rocprim7__merge17predicate_wrapperIjjNSC_7greaterIjEEEEEE10hipError_tPvRmT0_T1_T2_T3_T4_T5_mmT6_P12ihipStream_tbEUlT_E0_NS1_11comp_targetILNS1_3genE3ELNS1_11target_archE908ELNS1_3gpuE7ELNS1_3repE0EEENS1_30default_config_static_selectorELNS0_4arch9wavefront6targetE0EEEvS10_.kd
    .uniform_work_group_size: 1
    .uses_dynamic_stack: false
    .vgpr_count:     0
    .vgpr_spill_count: 0
    .wavefront_size: 32
    .workgroup_processor_mode: 1
  - .args:
      - .offset:         0
        .size:           112
        .value_kind:     by_value
    .group_segment_fixed_size: 0
    .kernarg_segment_align: 8
    .kernarg_segment_size: 112
    .language:       OpenCL C
    .language_version:
      - 2
      - 0
    .max_flat_workgroup_size: 256
    .name:           _ZN7rocprim17ROCPRIM_400000_NS6detail17trampoline_kernelINS0_14default_configENS1_21merge_config_selectorINS0_5tupleIJjjEEENS0_10empty_typeEEEZNS1_10merge_implIS3_NS0_12zip_iteratorINS5_IJN6thrust23THRUST_200600_302600_NS6detail15normal_iteratorINSC_10device_ptrIKjEEEESI_EEEEESK_NSA_INS5_IJNSE_INSF_IjEEEESM_EEEEEPS7_SP_SP_NSC_11hip_rocprim7__merge17predicate_wrapperIjjNSC_7greaterIjEEEEEE10hipError_tPvRmT0_T1_T2_T3_T4_T5_mmT6_P12ihipStream_tbEUlT_E0_NS1_11comp_targetILNS1_3genE2ELNS1_11target_archE906ELNS1_3gpuE6ELNS1_3repE0EEENS1_30default_config_static_selectorELNS0_4arch9wavefront6targetE0EEEvS10_
    .private_segment_fixed_size: 0
    .sgpr_count:     0
    .sgpr_spill_count: 0
    .symbol:         _ZN7rocprim17ROCPRIM_400000_NS6detail17trampoline_kernelINS0_14default_configENS1_21merge_config_selectorINS0_5tupleIJjjEEENS0_10empty_typeEEEZNS1_10merge_implIS3_NS0_12zip_iteratorINS5_IJN6thrust23THRUST_200600_302600_NS6detail15normal_iteratorINSC_10device_ptrIKjEEEESI_EEEEESK_NSA_INS5_IJNSE_INSF_IjEEEESM_EEEEEPS7_SP_SP_NSC_11hip_rocprim7__merge17predicate_wrapperIjjNSC_7greaterIjEEEEEE10hipError_tPvRmT0_T1_T2_T3_T4_T5_mmT6_P12ihipStream_tbEUlT_E0_NS1_11comp_targetILNS1_3genE2ELNS1_11target_archE906ELNS1_3gpuE6ELNS1_3repE0EEENS1_30default_config_static_selectorELNS0_4arch9wavefront6targetE0EEEvS10_.kd
    .uniform_work_group_size: 1
    .uses_dynamic_stack: false
    .vgpr_count:     0
    .vgpr_spill_count: 0
    .wavefront_size: 32
    .workgroup_processor_mode: 1
  - .args:
      - .offset:         0
        .size:           112
        .value_kind:     by_value
    .group_segment_fixed_size: 0
    .kernarg_segment_align: 8
    .kernarg_segment_size: 112
    .language:       OpenCL C
    .language_version:
      - 2
      - 0
    .max_flat_workgroup_size: 512
    .name:           _ZN7rocprim17ROCPRIM_400000_NS6detail17trampoline_kernelINS0_14default_configENS1_21merge_config_selectorINS0_5tupleIJjjEEENS0_10empty_typeEEEZNS1_10merge_implIS3_NS0_12zip_iteratorINS5_IJN6thrust23THRUST_200600_302600_NS6detail15normal_iteratorINSC_10device_ptrIKjEEEESI_EEEEESK_NSA_INS5_IJNSE_INSF_IjEEEESM_EEEEEPS7_SP_SP_NSC_11hip_rocprim7__merge17predicate_wrapperIjjNSC_7greaterIjEEEEEE10hipError_tPvRmT0_T1_T2_T3_T4_T5_mmT6_P12ihipStream_tbEUlT_E0_NS1_11comp_targetILNS1_3genE10ELNS1_11target_archE1201ELNS1_3gpuE5ELNS1_3repE0EEENS1_30default_config_static_selectorELNS0_4arch9wavefront6targetE0EEEvS10_
    .private_segment_fixed_size: 0
    .sgpr_count:     0
    .sgpr_spill_count: 0
    .symbol:         _ZN7rocprim17ROCPRIM_400000_NS6detail17trampoline_kernelINS0_14default_configENS1_21merge_config_selectorINS0_5tupleIJjjEEENS0_10empty_typeEEEZNS1_10merge_implIS3_NS0_12zip_iteratorINS5_IJN6thrust23THRUST_200600_302600_NS6detail15normal_iteratorINSC_10device_ptrIKjEEEESI_EEEEESK_NSA_INS5_IJNSE_INSF_IjEEEESM_EEEEEPS7_SP_SP_NSC_11hip_rocprim7__merge17predicate_wrapperIjjNSC_7greaterIjEEEEEE10hipError_tPvRmT0_T1_T2_T3_T4_T5_mmT6_P12ihipStream_tbEUlT_E0_NS1_11comp_targetILNS1_3genE10ELNS1_11target_archE1201ELNS1_3gpuE5ELNS1_3repE0EEENS1_30default_config_static_selectorELNS0_4arch9wavefront6targetE0EEEvS10_.kd
    .uniform_work_group_size: 1
    .uses_dynamic_stack: false
    .vgpr_count:     0
    .vgpr_spill_count: 0
    .wavefront_size: 32
    .workgroup_processor_mode: 1
  - .args:
      - .offset:         0
        .size:           112
        .value_kind:     by_value
    .group_segment_fixed_size: 0
    .kernarg_segment_align: 8
    .kernarg_segment_size: 112
    .language:       OpenCL C
    .language_version:
      - 2
      - 0
    .max_flat_workgroup_size: 1024
    .name:           _ZN7rocprim17ROCPRIM_400000_NS6detail17trampoline_kernelINS0_14default_configENS1_21merge_config_selectorINS0_5tupleIJjjEEENS0_10empty_typeEEEZNS1_10merge_implIS3_NS0_12zip_iteratorINS5_IJN6thrust23THRUST_200600_302600_NS6detail15normal_iteratorINSC_10device_ptrIKjEEEESI_EEEEESK_NSA_INS5_IJNSE_INSF_IjEEEESM_EEEEEPS7_SP_SP_NSC_11hip_rocprim7__merge17predicate_wrapperIjjNSC_7greaterIjEEEEEE10hipError_tPvRmT0_T1_T2_T3_T4_T5_mmT6_P12ihipStream_tbEUlT_E0_NS1_11comp_targetILNS1_3genE10ELNS1_11target_archE1200ELNS1_3gpuE4ELNS1_3repE0EEENS1_30default_config_static_selectorELNS0_4arch9wavefront6targetE0EEEvS10_
    .private_segment_fixed_size: 0
    .sgpr_count:     0
    .sgpr_spill_count: 0
    .symbol:         _ZN7rocprim17ROCPRIM_400000_NS6detail17trampoline_kernelINS0_14default_configENS1_21merge_config_selectorINS0_5tupleIJjjEEENS0_10empty_typeEEEZNS1_10merge_implIS3_NS0_12zip_iteratorINS5_IJN6thrust23THRUST_200600_302600_NS6detail15normal_iteratorINSC_10device_ptrIKjEEEESI_EEEEESK_NSA_INS5_IJNSE_INSF_IjEEEESM_EEEEEPS7_SP_SP_NSC_11hip_rocprim7__merge17predicate_wrapperIjjNSC_7greaterIjEEEEEE10hipError_tPvRmT0_T1_T2_T3_T4_T5_mmT6_P12ihipStream_tbEUlT_E0_NS1_11comp_targetILNS1_3genE10ELNS1_11target_archE1200ELNS1_3gpuE4ELNS1_3repE0EEENS1_30default_config_static_selectorELNS0_4arch9wavefront6targetE0EEEvS10_.kd
    .uniform_work_group_size: 1
    .uses_dynamic_stack: false
    .vgpr_count:     0
    .vgpr_spill_count: 0
    .wavefront_size: 32
    .workgroup_processor_mode: 1
  - .args:
      - .offset:         0
        .size:           112
        .value_kind:     by_value
    .group_segment_fixed_size: 0
    .kernarg_segment_align: 8
    .kernarg_segment_size: 112
    .language:       OpenCL C
    .language_version:
      - 2
      - 0
    .max_flat_workgroup_size: 1024
    .name:           _ZN7rocprim17ROCPRIM_400000_NS6detail17trampoline_kernelINS0_14default_configENS1_21merge_config_selectorINS0_5tupleIJjjEEENS0_10empty_typeEEEZNS1_10merge_implIS3_NS0_12zip_iteratorINS5_IJN6thrust23THRUST_200600_302600_NS6detail15normal_iteratorINSC_10device_ptrIKjEEEESI_EEEEESK_NSA_INS5_IJNSE_INSF_IjEEEESM_EEEEEPS7_SP_SP_NSC_11hip_rocprim7__merge17predicate_wrapperIjjNSC_7greaterIjEEEEEE10hipError_tPvRmT0_T1_T2_T3_T4_T5_mmT6_P12ihipStream_tbEUlT_E0_NS1_11comp_targetILNS1_3genE9ELNS1_11target_archE1100ELNS1_3gpuE3ELNS1_3repE0EEENS1_30default_config_static_selectorELNS0_4arch9wavefront6targetE0EEEvS10_
    .private_segment_fixed_size: 0
    .sgpr_count:     0
    .sgpr_spill_count: 0
    .symbol:         _ZN7rocprim17ROCPRIM_400000_NS6detail17trampoline_kernelINS0_14default_configENS1_21merge_config_selectorINS0_5tupleIJjjEEENS0_10empty_typeEEEZNS1_10merge_implIS3_NS0_12zip_iteratorINS5_IJN6thrust23THRUST_200600_302600_NS6detail15normal_iteratorINSC_10device_ptrIKjEEEESI_EEEEESK_NSA_INS5_IJNSE_INSF_IjEEEESM_EEEEEPS7_SP_SP_NSC_11hip_rocprim7__merge17predicate_wrapperIjjNSC_7greaterIjEEEEEE10hipError_tPvRmT0_T1_T2_T3_T4_T5_mmT6_P12ihipStream_tbEUlT_E0_NS1_11comp_targetILNS1_3genE9ELNS1_11target_archE1100ELNS1_3gpuE3ELNS1_3repE0EEENS1_30default_config_static_selectorELNS0_4arch9wavefront6targetE0EEEvS10_.kd
    .uniform_work_group_size: 1
    .uses_dynamic_stack: false
    .vgpr_count:     0
    .vgpr_spill_count: 0
    .wavefront_size: 32
    .workgroup_processor_mode: 1
  - .args:
      - .offset:         0
        .size:           112
        .value_kind:     by_value
    .group_segment_fixed_size: 33792
    .kernarg_segment_align: 8
    .kernarg_segment_size: 112
    .language:       OpenCL C
    .language_version:
      - 2
      - 0
    .max_flat_workgroup_size: 256
    .name:           _ZN7rocprim17ROCPRIM_400000_NS6detail17trampoline_kernelINS0_14default_configENS1_21merge_config_selectorINS0_5tupleIJjjEEENS0_10empty_typeEEEZNS1_10merge_implIS3_NS0_12zip_iteratorINS5_IJN6thrust23THRUST_200600_302600_NS6detail15normal_iteratorINSC_10device_ptrIKjEEEESI_EEEEESK_NSA_INS5_IJNSE_INSF_IjEEEESM_EEEEEPS7_SP_SP_NSC_11hip_rocprim7__merge17predicate_wrapperIjjNSC_7greaterIjEEEEEE10hipError_tPvRmT0_T1_T2_T3_T4_T5_mmT6_P12ihipStream_tbEUlT_E0_NS1_11comp_targetILNS1_3genE8ELNS1_11target_archE1030ELNS1_3gpuE2ELNS1_3repE0EEENS1_30default_config_static_selectorELNS0_4arch9wavefront6targetE0EEEvS10_
    .private_segment_fixed_size: 0
    .sgpr_count:     30
    .sgpr_spill_count: 0
    .symbol:         _ZN7rocprim17ROCPRIM_400000_NS6detail17trampoline_kernelINS0_14default_configENS1_21merge_config_selectorINS0_5tupleIJjjEEENS0_10empty_typeEEEZNS1_10merge_implIS3_NS0_12zip_iteratorINS5_IJN6thrust23THRUST_200600_302600_NS6detail15normal_iteratorINSC_10device_ptrIKjEEEESI_EEEEESK_NSA_INS5_IJNSE_INSF_IjEEEESM_EEEEEPS7_SP_SP_NSC_11hip_rocprim7__merge17predicate_wrapperIjjNSC_7greaterIjEEEEEE10hipError_tPvRmT0_T1_T2_T3_T4_T5_mmT6_P12ihipStream_tbEUlT_E0_NS1_11comp_targetILNS1_3genE8ELNS1_11target_archE1030ELNS1_3gpuE2ELNS1_3repE0EEENS1_30default_config_static_selectorELNS0_4arch9wavefront6targetE0EEEvS10_.kd
    .uniform_work_group_size: 1
    .uses_dynamic_stack: false
    .vgpr_count:     73
    .vgpr_spill_count: 0
    .wavefront_size: 32
    .workgroup_processor_mode: 1
  - .args:
      - .offset:         0
        .size:           64
        .value_kind:     by_value
    .group_segment_fixed_size: 0
    .kernarg_segment_align: 8
    .kernarg_segment_size: 64
    .language:       OpenCL C
    .language_version:
      - 2
      - 0
    .max_flat_workgroup_size: 256
    .name:           _ZN7rocprim17ROCPRIM_400000_NS6detail17trampoline_kernelINS0_14default_configENS1_21merge_config_selectorINS0_5tupleIJttEEENS0_10empty_typeEEEZNS1_10merge_implIS3_NS0_12zip_iteratorINS5_IJN6thrust23THRUST_200600_302600_NS6detail15normal_iteratorINSC_10device_ptrIKtEEEESI_EEEEESK_NSA_INS5_IJNSE_INSF_ItEEEESM_EEEEEPS7_SP_SP_NSC_11hip_rocprim7__merge17predicate_wrapperIttNSC_7greaterItEEEEEE10hipError_tPvRmT0_T1_T2_T3_T4_T5_mmT6_P12ihipStream_tbEUlT_E_NS1_11comp_targetILNS1_3genE0ELNS1_11target_archE4294967295ELNS1_3gpuE0ELNS1_3repE0EEENS1_30default_config_static_selectorELNS0_4arch9wavefront6targetE0EEEvS10_
    .private_segment_fixed_size: 0
    .sgpr_count:     0
    .sgpr_spill_count: 0
    .symbol:         _ZN7rocprim17ROCPRIM_400000_NS6detail17trampoline_kernelINS0_14default_configENS1_21merge_config_selectorINS0_5tupleIJttEEENS0_10empty_typeEEEZNS1_10merge_implIS3_NS0_12zip_iteratorINS5_IJN6thrust23THRUST_200600_302600_NS6detail15normal_iteratorINSC_10device_ptrIKtEEEESI_EEEEESK_NSA_INS5_IJNSE_INSF_ItEEEESM_EEEEEPS7_SP_SP_NSC_11hip_rocprim7__merge17predicate_wrapperIttNSC_7greaterItEEEEEE10hipError_tPvRmT0_T1_T2_T3_T4_T5_mmT6_P12ihipStream_tbEUlT_E_NS1_11comp_targetILNS1_3genE0ELNS1_11target_archE4294967295ELNS1_3gpuE0ELNS1_3repE0EEENS1_30default_config_static_selectorELNS0_4arch9wavefront6targetE0EEEvS10_.kd
    .uniform_work_group_size: 1
    .uses_dynamic_stack: false
    .vgpr_count:     0
    .vgpr_spill_count: 0
    .wavefront_size: 32
    .workgroup_processor_mode: 1
  - .args:
      - .offset:         0
        .size:           64
        .value_kind:     by_value
    .group_segment_fixed_size: 0
    .kernarg_segment_align: 8
    .kernarg_segment_size: 64
    .language:       OpenCL C
    .language_version:
      - 2
      - 0
    .max_flat_workgroup_size: 256
    .name:           _ZN7rocprim17ROCPRIM_400000_NS6detail17trampoline_kernelINS0_14default_configENS1_21merge_config_selectorINS0_5tupleIJttEEENS0_10empty_typeEEEZNS1_10merge_implIS3_NS0_12zip_iteratorINS5_IJN6thrust23THRUST_200600_302600_NS6detail15normal_iteratorINSC_10device_ptrIKtEEEESI_EEEEESK_NSA_INS5_IJNSE_INSF_ItEEEESM_EEEEEPS7_SP_SP_NSC_11hip_rocprim7__merge17predicate_wrapperIttNSC_7greaterItEEEEEE10hipError_tPvRmT0_T1_T2_T3_T4_T5_mmT6_P12ihipStream_tbEUlT_E_NS1_11comp_targetILNS1_3genE5ELNS1_11target_archE942ELNS1_3gpuE9ELNS1_3repE0EEENS1_30default_config_static_selectorELNS0_4arch9wavefront6targetE0EEEvS10_
    .private_segment_fixed_size: 0
    .sgpr_count:     0
    .sgpr_spill_count: 0
    .symbol:         _ZN7rocprim17ROCPRIM_400000_NS6detail17trampoline_kernelINS0_14default_configENS1_21merge_config_selectorINS0_5tupleIJttEEENS0_10empty_typeEEEZNS1_10merge_implIS3_NS0_12zip_iteratorINS5_IJN6thrust23THRUST_200600_302600_NS6detail15normal_iteratorINSC_10device_ptrIKtEEEESI_EEEEESK_NSA_INS5_IJNSE_INSF_ItEEEESM_EEEEEPS7_SP_SP_NSC_11hip_rocprim7__merge17predicate_wrapperIttNSC_7greaterItEEEEEE10hipError_tPvRmT0_T1_T2_T3_T4_T5_mmT6_P12ihipStream_tbEUlT_E_NS1_11comp_targetILNS1_3genE5ELNS1_11target_archE942ELNS1_3gpuE9ELNS1_3repE0EEENS1_30default_config_static_selectorELNS0_4arch9wavefront6targetE0EEEvS10_.kd
    .uniform_work_group_size: 1
    .uses_dynamic_stack: false
    .vgpr_count:     0
    .vgpr_spill_count: 0
    .wavefront_size: 32
    .workgroup_processor_mode: 1
  - .args:
      - .offset:         0
        .size:           64
        .value_kind:     by_value
    .group_segment_fixed_size: 0
    .kernarg_segment_align: 8
    .kernarg_segment_size: 64
    .language:       OpenCL C
    .language_version:
      - 2
      - 0
    .max_flat_workgroup_size: 256
    .name:           _ZN7rocprim17ROCPRIM_400000_NS6detail17trampoline_kernelINS0_14default_configENS1_21merge_config_selectorINS0_5tupleIJttEEENS0_10empty_typeEEEZNS1_10merge_implIS3_NS0_12zip_iteratorINS5_IJN6thrust23THRUST_200600_302600_NS6detail15normal_iteratorINSC_10device_ptrIKtEEEESI_EEEEESK_NSA_INS5_IJNSE_INSF_ItEEEESM_EEEEEPS7_SP_SP_NSC_11hip_rocprim7__merge17predicate_wrapperIttNSC_7greaterItEEEEEE10hipError_tPvRmT0_T1_T2_T3_T4_T5_mmT6_P12ihipStream_tbEUlT_E_NS1_11comp_targetILNS1_3genE4ELNS1_11target_archE910ELNS1_3gpuE8ELNS1_3repE0EEENS1_30default_config_static_selectorELNS0_4arch9wavefront6targetE0EEEvS10_
    .private_segment_fixed_size: 0
    .sgpr_count:     0
    .sgpr_spill_count: 0
    .symbol:         _ZN7rocprim17ROCPRIM_400000_NS6detail17trampoline_kernelINS0_14default_configENS1_21merge_config_selectorINS0_5tupleIJttEEENS0_10empty_typeEEEZNS1_10merge_implIS3_NS0_12zip_iteratorINS5_IJN6thrust23THRUST_200600_302600_NS6detail15normal_iteratorINSC_10device_ptrIKtEEEESI_EEEEESK_NSA_INS5_IJNSE_INSF_ItEEEESM_EEEEEPS7_SP_SP_NSC_11hip_rocprim7__merge17predicate_wrapperIttNSC_7greaterItEEEEEE10hipError_tPvRmT0_T1_T2_T3_T4_T5_mmT6_P12ihipStream_tbEUlT_E_NS1_11comp_targetILNS1_3genE4ELNS1_11target_archE910ELNS1_3gpuE8ELNS1_3repE0EEENS1_30default_config_static_selectorELNS0_4arch9wavefront6targetE0EEEvS10_.kd
    .uniform_work_group_size: 1
    .uses_dynamic_stack: false
    .vgpr_count:     0
    .vgpr_spill_count: 0
    .wavefront_size: 32
    .workgroup_processor_mode: 1
  - .args:
      - .offset:         0
        .size:           64
        .value_kind:     by_value
    .group_segment_fixed_size: 0
    .kernarg_segment_align: 8
    .kernarg_segment_size: 64
    .language:       OpenCL C
    .language_version:
      - 2
      - 0
    .max_flat_workgroup_size: 256
    .name:           _ZN7rocprim17ROCPRIM_400000_NS6detail17trampoline_kernelINS0_14default_configENS1_21merge_config_selectorINS0_5tupleIJttEEENS0_10empty_typeEEEZNS1_10merge_implIS3_NS0_12zip_iteratorINS5_IJN6thrust23THRUST_200600_302600_NS6detail15normal_iteratorINSC_10device_ptrIKtEEEESI_EEEEESK_NSA_INS5_IJNSE_INSF_ItEEEESM_EEEEEPS7_SP_SP_NSC_11hip_rocprim7__merge17predicate_wrapperIttNSC_7greaterItEEEEEE10hipError_tPvRmT0_T1_T2_T3_T4_T5_mmT6_P12ihipStream_tbEUlT_E_NS1_11comp_targetILNS1_3genE3ELNS1_11target_archE908ELNS1_3gpuE7ELNS1_3repE0EEENS1_30default_config_static_selectorELNS0_4arch9wavefront6targetE0EEEvS10_
    .private_segment_fixed_size: 0
    .sgpr_count:     0
    .sgpr_spill_count: 0
    .symbol:         _ZN7rocprim17ROCPRIM_400000_NS6detail17trampoline_kernelINS0_14default_configENS1_21merge_config_selectorINS0_5tupleIJttEEENS0_10empty_typeEEEZNS1_10merge_implIS3_NS0_12zip_iteratorINS5_IJN6thrust23THRUST_200600_302600_NS6detail15normal_iteratorINSC_10device_ptrIKtEEEESI_EEEEESK_NSA_INS5_IJNSE_INSF_ItEEEESM_EEEEEPS7_SP_SP_NSC_11hip_rocprim7__merge17predicate_wrapperIttNSC_7greaterItEEEEEE10hipError_tPvRmT0_T1_T2_T3_T4_T5_mmT6_P12ihipStream_tbEUlT_E_NS1_11comp_targetILNS1_3genE3ELNS1_11target_archE908ELNS1_3gpuE7ELNS1_3repE0EEENS1_30default_config_static_selectorELNS0_4arch9wavefront6targetE0EEEvS10_.kd
    .uniform_work_group_size: 1
    .uses_dynamic_stack: false
    .vgpr_count:     0
    .vgpr_spill_count: 0
    .wavefront_size: 32
    .workgroup_processor_mode: 1
  - .args:
      - .offset:         0
        .size:           64
        .value_kind:     by_value
    .group_segment_fixed_size: 0
    .kernarg_segment_align: 8
    .kernarg_segment_size: 64
    .language:       OpenCL C
    .language_version:
      - 2
      - 0
    .max_flat_workgroup_size: 256
    .name:           _ZN7rocprim17ROCPRIM_400000_NS6detail17trampoline_kernelINS0_14default_configENS1_21merge_config_selectorINS0_5tupleIJttEEENS0_10empty_typeEEEZNS1_10merge_implIS3_NS0_12zip_iteratorINS5_IJN6thrust23THRUST_200600_302600_NS6detail15normal_iteratorINSC_10device_ptrIKtEEEESI_EEEEESK_NSA_INS5_IJNSE_INSF_ItEEEESM_EEEEEPS7_SP_SP_NSC_11hip_rocprim7__merge17predicate_wrapperIttNSC_7greaterItEEEEEE10hipError_tPvRmT0_T1_T2_T3_T4_T5_mmT6_P12ihipStream_tbEUlT_E_NS1_11comp_targetILNS1_3genE2ELNS1_11target_archE906ELNS1_3gpuE6ELNS1_3repE0EEENS1_30default_config_static_selectorELNS0_4arch9wavefront6targetE0EEEvS10_
    .private_segment_fixed_size: 0
    .sgpr_count:     0
    .sgpr_spill_count: 0
    .symbol:         _ZN7rocprim17ROCPRIM_400000_NS6detail17trampoline_kernelINS0_14default_configENS1_21merge_config_selectorINS0_5tupleIJttEEENS0_10empty_typeEEEZNS1_10merge_implIS3_NS0_12zip_iteratorINS5_IJN6thrust23THRUST_200600_302600_NS6detail15normal_iteratorINSC_10device_ptrIKtEEEESI_EEEEESK_NSA_INS5_IJNSE_INSF_ItEEEESM_EEEEEPS7_SP_SP_NSC_11hip_rocprim7__merge17predicate_wrapperIttNSC_7greaterItEEEEEE10hipError_tPvRmT0_T1_T2_T3_T4_T5_mmT6_P12ihipStream_tbEUlT_E_NS1_11comp_targetILNS1_3genE2ELNS1_11target_archE906ELNS1_3gpuE6ELNS1_3repE0EEENS1_30default_config_static_selectorELNS0_4arch9wavefront6targetE0EEEvS10_.kd
    .uniform_work_group_size: 1
    .uses_dynamic_stack: false
    .vgpr_count:     0
    .vgpr_spill_count: 0
    .wavefront_size: 32
    .workgroup_processor_mode: 1
  - .args:
      - .offset:         0
        .size:           64
        .value_kind:     by_value
    .group_segment_fixed_size: 0
    .kernarg_segment_align: 8
    .kernarg_segment_size: 64
    .language:       OpenCL C
    .language_version:
      - 2
      - 0
    .max_flat_workgroup_size: 1024
    .name:           _ZN7rocprim17ROCPRIM_400000_NS6detail17trampoline_kernelINS0_14default_configENS1_21merge_config_selectorINS0_5tupleIJttEEENS0_10empty_typeEEEZNS1_10merge_implIS3_NS0_12zip_iteratorINS5_IJN6thrust23THRUST_200600_302600_NS6detail15normal_iteratorINSC_10device_ptrIKtEEEESI_EEEEESK_NSA_INS5_IJNSE_INSF_ItEEEESM_EEEEEPS7_SP_SP_NSC_11hip_rocprim7__merge17predicate_wrapperIttNSC_7greaterItEEEEEE10hipError_tPvRmT0_T1_T2_T3_T4_T5_mmT6_P12ihipStream_tbEUlT_E_NS1_11comp_targetILNS1_3genE10ELNS1_11target_archE1201ELNS1_3gpuE5ELNS1_3repE0EEENS1_30default_config_static_selectorELNS0_4arch9wavefront6targetE0EEEvS10_
    .private_segment_fixed_size: 0
    .sgpr_count:     0
    .sgpr_spill_count: 0
    .symbol:         _ZN7rocprim17ROCPRIM_400000_NS6detail17trampoline_kernelINS0_14default_configENS1_21merge_config_selectorINS0_5tupleIJttEEENS0_10empty_typeEEEZNS1_10merge_implIS3_NS0_12zip_iteratorINS5_IJN6thrust23THRUST_200600_302600_NS6detail15normal_iteratorINSC_10device_ptrIKtEEEESI_EEEEESK_NSA_INS5_IJNSE_INSF_ItEEEESM_EEEEEPS7_SP_SP_NSC_11hip_rocprim7__merge17predicate_wrapperIttNSC_7greaterItEEEEEE10hipError_tPvRmT0_T1_T2_T3_T4_T5_mmT6_P12ihipStream_tbEUlT_E_NS1_11comp_targetILNS1_3genE10ELNS1_11target_archE1201ELNS1_3gpuE5ELNS1_3repE0EEENS1_30default_config_static_selectorELNS0_4arch9wavefront6targetE0EEEvS10_.kd
    .uniform_work_group_size: 1
    .uses_dynamic_stack: false
    .vgpr_count:     0
    .vgpr_spill_count: 0
    .wavefront_size: 32
    .workgroup_processor_mode: 1
  - .args:
      - .offset:         0
        .size:           64
        .value_kind:     by_value
    .group_segment_fixed_size: 0
    .kernarg_segment_align: 8
    .kernarg_segment_size: 64
    .language:       OpenCL C
    .language_version:
      - 2
      - 0
    .max_flat_workgroup_size: 1024
    .name:           _ZN7rocprim17ROCPRIM_400000_NS6detail17trampoline_kernelINS0_14default_configENS1_21merge_config_selectorINS0_5tupleIJttEEENS0_10empty_typeEEEZNS1_10merge_implIS3_NS0_12zip_iteratorINS5_IJN6thrust23THRUST_200600_302600_NS6detail15normal_iteratorINSC_10device_ptrIKtEEEESI_EEEEESK_NSA_INS5_IJNSE_INSF_ItEEEESM_EEEEEPS7_SP_SP_NSC_11hip_rocprim7__merge17predicate_wrapperIttNSC_7greaterItEEEEEE10hipError_tPvRmT0_T1_T2_T3_T4_T5_mmT6_P12ihipStream_tbEUlT_E_NS1_11comp_targetILNS1_3genE10ELNS1_11target_archE1200ELNS1_3gpuE4ELNS1_3repE0EEENS1_30default_config_static_selectorELNS0_4arch9wavefront6targetE0EEEvS10_
    .private_segment_fixed_size: 0
    .sgpr_count:     0
    .sgpr_spill_count: 0
    .symbol:         _ZN7rocprim17ROCPRIM_400000_NS6detail17trampoline_kernelINS0_14default_configENS1_21merge_config_selectorINS0_5tupleIJttEEENS0_10empty_typeEEEZNS1_10merge_implIS3_NS0_12zip_iteratorINS5_IJN6thrust23THRUST_200600_302600_NS6detail15normal_iteratorINSC_10device_ptrIKtEEEESI_EEEEESK_NSA_INS5_IJNSE_INSF_ItEEEESM_EEEEEPS7_SP_SP_NSC_11hip_rocprim7__merge17predicate_wrapperIttNSC_7greaterItEEEEEE10hipError_tPvRmT0_T1_T2_T3_T4_T5_mmT6_P12ihipStream_tbEUlT_E_NS1_11comp_targetILNS1_3genE10ELNS1_11target_archE1200ELNS1_3gpuE4ELNS1_3repE0EEENS1_30default_config_static_selectorELNS0_4arch9wavefront6targetE0EEEvS10_.kd
    .uniform_work_group_size: 1
    .uses_dynamic_stack: false
    .vgpr_count:     0
    .vgpr_spill_count: 0
    .wavefront_size: 32
    .workgroup_processor_mode: 1
  - .args:
      - .offset:         0
        .size:           64
        .value_kind:     by_value
    .group_segment_fixed_size: 0
    .kernarg_segment_align: 8
    .kernarg_segment_size: 64
    .language:       OpenCL C
    .language_version:
      - 2
      - 0
    .max_flat_workgroup_size: 1024
    .name:           _ZN7rocprim17ROCPRIM_400000_NS6detail17trampoline_kernelINS0_14default_configENS1_21merge_config_selectorINS0_5tupleIJttEEENS0_10empty_typeEEEZNS1_10merge_implIS3_NS0_12zip_iteratorINS5_IJN6thrust23THRUST_200600_302600_NS6detail15normal_iteratorINSC_10device_ptrIKtEEEESI_EEEEESK_NSA_INS5_IJNSE_INSF_ItEEEESM_EEEEEPS7_SP_SP_NSC_11hip_rocprim7__merge17predicate_wrapperIttNSC_7greaterItEEEEEE10hipError_tPvRmT0_T1_T2_T3_T4_T5_mmT6_P12ihipStream_tbEUlT_E_NS1_11comp_targetILNS1_3genE9ELNS1_11target_archE1100ELNS1_3gpuE3ELNS1_3repE0EEENS1_30default_config_static_selectorELNS0_4arch9wavefront6targetE0EEEvS10_
    .private_segment_fixed_size: 0
    .sgpr_count:     0
    .sgpr_spill_count: 0
    .symbol:         _ZN7rocprim17ROCPRIM_400000_NS6detail17trampoline_kernelINS0_14default_configENS1_21merge_config_selectorINS0_5tupleIJttEEENS0_10empty_typeEEEZNS1_10merge_implIS3_NS0_12zip_iteratorINS5_IJN6thrust23THRUST_200600_302600_NS6detail15normal_iteratorINSC_10device_ptrIKtEEEESI_EEEEESK_NSA_INS5_IJNSE_INSF_ItEEEESM_EEEEEPS7_SP_SP_NSC_11hip_rocprim7__merge17predicate_wrapperIttNSC_7greaterItEEEEEE10hipError_tPvRmT0_T1_T2_T3_T4_T5_mmT6_P12ihipStream_tbEUlT_E_NS1_11comp_targetILNS1_3genE9ELNS1_11target_archE1100ELNS1_3gpuE3ELNS1_3repE0EEENS1_30default_config_static_selectorELNS0_4arch9wavefront6targetE0EEEvS10_.kd
    .uniform_work_group_size: 1
    .uses_dynamic_stack: false
    .vgpr_count:     0
    .vgpr_spill_count: 0
    .wavefront_size: 32
    .workgroup_processor_mode: 1
  - .args:
      - .offset:         0
        .size:           64
        .value_kind:     by_value
      - .offset:         64
        .size:           4
        .value_kind:     hidden_block_count_x
      - .offset:         68
        .size:           4
        .value_kind:     hidden_block_count_y
      - .offset:         72
        .size:           4
        .value_kind:     hidden_block_count_z
      - .offset:         76
        .size:           2
        .value_kind:     hidden_group_size_x
      - .offset:         78
        .size:           2
        .value_kind:     hidden_group_size_y
      - .offset:         80
        .size:           2
        .value_kind:     hidden_group_size_z
      - .offset:         82
        .size:           2
        .value_kind:     hidden_remainder_x
      - .offset:         84
        .size:           2
        .value_kind:     hidden_remainder_y
      - .offset:         86
        .size:           2
        .value_kind:     hidden_remainder_z
      - .offset:         104
        .size:           8
        .value_kind:     hidden_global_offset_x
      - .offset:         112
        .size:           8
        .value_kind:     hidden_global_offset_y
      - .offset:         120
        .size:           8
        .value_kind:     hidden_global_offset_z
      - .offset:         128
        .size:           2
        .value_kind:     hidden_grid_dims
    .group_segment_fixed_size: 0
    .kernarg_segment_align: 8
    .kernarg_segment_size: 320
    .language:       OpenCL C
    .language_version:
      - 2
      - 0
    .max_flat_workgroup_size: 1024
    .name:           _ZN7rocprim17ROCPRIM_400000_NS6detail17trampoline_kernelINS0_14default_configENS1_21merge_config_selectorINS0_5tupleIJttEEENS0_10empty_typeEEEZNS1_10merge_implIS3_NS0_12zip_iteratorINS5_IJN6thrust23THRUST_200600_302600_NS6detail15normal_iteratorINSC_10device_ptrIKtEEEESI_EEEEESK_NSA_INS5_IJNSE_INSF_ItEEEESM_EEEEEPS7_SP_SP_NSC_11hip_rocprim7__merge17predicate_wrapperIttNSC_7greaterItEEEEEE10hipError_tPvRmT0_T1_T2_T3_T4_T5_mmT6_P12ihipStream_tbEUlT_E_NS1_11comp_targetILNS1_3genE8ELNS1_11target_archE1030ELNS1_3gpuE2ELNS1_3repE0EEENS1_30default_config_static_selectorELNS0_4arch9wavefront6targetE0EEEvS10_
    .private_segment_fixed_size: 0
    .sgpr_count:     18
    .sgpr_spill_count: 0
    .symbol:         _ZN7rocprim17ROCPRIM_400000_NS6detail17trampoline_kernelINS0_14default_configENS1_21merge_config_selectorINS0_5tupleIJttEEENS0_10empty_typeEEEZNS1_10merge_implIS3_NS0_12zip_iteratorINS5_IJN6thrust23THRUST_200600_302600_NS6detail15normal_iteratorINSC_10device_ptrIKtEEEESI_EEEEESK_NSA_INS5_IJNSE_INSF_ItEEEESM_EEEEEPS7_SP_SP_NSC_11hip_rocprim7__merge17predicate_wrapperIttNSC_7greaterItEEEEEE10hipError_tPvRmT0_T1_T2_T3_T4_T5_mmT6_P12ihipStream_tbEUlT_E_NS1_11comp_targetILNS1_3genE8ELNS1_11target_archE1030ELNS1_3gpuE2ELNS1_3repE0EEENS1_30default_config_static_selectorELNS0_4arch9wavefront6targetE0EEEvS10_.kd
    .uniform_work_group_size: 1
    .uses_dynamic_stack: false
    .vgpr_count:     13
    .vgpr_spill_count: 0
    .wavefront_size: 32
    .workgroup_processor_mode: 1
  - .args:
      - .offset:         0
        .size:           112
        .value_kind:     by_value
    .group_segment_fixed_size: 0
    .kernarg_segment_align: 8
    .kernarg_segment_size: 112
    .language:       OpenCL C
    .language_version:
      - 2
      - 0
    .max_flat_workgroup_size: 256
    .name:           _ZN7rocprim17ROCPRIM_400000_NS6detail17trampoline_kernelINS0_14default_configENS1_21merge_config_selectorINS0_5tupleIJttEEENS0_10empty_typeEEEZNS1_10merge_implIS3_NS0_12zip_iteratorINS5_IJN6thrust23THRUST_200600_302600_NS6detail15normal_iteratorINSC_10device_ptrIKtEEEESI_EEEEESK_NSA_INS5_IJNSE_INSF_ItEEEESM_EEEEEPS7_SP_SP_NSC_11hip_rocprim7__merge17predicate_wrapperIttNSC_7greaterItEEEEEE10hipError_tPvRmT0_T1_T2_T3_T4_T5_mmT6_P12ihipStream_tbEUlT_E0_NS1_11comp_targetILNS1_3genE0ELNS1_11target_archE4294967295ELNS1_3gpuE0ELNS1_3repE0EEENS1_30default_config_static_selectorELNS0_4arch9wavefront6targetE0EEEvS10_
    .private_segment_fixed_size: 0
    .sgpr_count:     0
    .sgpr_spill_count: 0
    .symbol:         _ZN7rocprim17ROCPRIM_400000_NS6detail17trampoline_kernelINS0_14default_configENS1_21merge_config_selectorINS0_5tupleIJttEEENS0_10empty_typeEEEZNS1_10merge_implIS3_NS0_12zip_iteratorINS5_IJN6thrust23THRUST_200600_302600_NS6detail15normal_iteratorINSC_10device_ptrIKtEEEESI_EEEEESK_NSA_INS5_IJNSE_INSF_ItEEEESM_EEEEEPS7_SP_SP_NSC_11hip_rocprim7__merge17predicate_wrapperIttNSC_7greaterItEEEEEE10hipError_tPvRmT0_T1_T2_T3_T4_T5_mmT6_P12ihipStream_tbEUlT_E0_NS1_11comp_targetILNS1_3genE0ELNS1_11target_archE4294967295ELNS1_3gpuE0ELNS1_3repE0EEENS1_30default_config_static_selectorELNS0_4arch9wavefront6targetE0EEEvS10_.kd
    .uniform_work_group_size: 1
    .uses_dynamic_stack: false
    .vgpr_count:     0
    .vgpr_spill_count: 0
    .wavefront_size: 32
    .workgroup_processor_mode: 1
  - .args:
      - .offset:         0
        .size:           112
        .value_kind:     by_value
    .group_segment_fixed_size: 0
    .kernarg_segment_align: 8
    .kernarg_segment_size: 112
    .language:       OpenCL C
    .language_version:
      - 2
      - 0
    .max_flat_workgroup_size: 256
    .name:           _ZN7rocprim17ROCPRIM_400000_NS6detail17trampoline_kernelINS0_14default_configENS1_21merge_config_selectorINS0_5tupleIJttEEENS0_10empty_typeEEEZNS1_10merge_implIS3_NS0_12zip_iteratorINS5_IJN6thrust23THRUST_200600_302600_NS6detail15normal_iteratorINSC_10device_ptrIKtEEEESI_EEEEESK_NSA_INS5_IJNSE_INSF_ItEEEESM_EEEEEPS7_SP_SP_NSC_11hip_rocprim7__merge17predicate_wrapperIttNSC_7greaterItEEEEEE10hipError_tPvRmT0_T1_T2_T3_T4_T5_mmT6_P12ihipStream_tbEUlT_E0_NS1_11comp_targetILNS1_3genE5ELNS1_11target_archE942ELNS1_3gpuE9ELNS1_3repE0EEENS1_30default_config_static_selectorELNS0_4arch9wavefront6targetE0EEEvS10_
    .private_segment_fixed_size: 0
    .sgpr_count:     0
    .sgpr_spill_count: 0
    .symbol:         _ZN7rocprim17ROCPRIM_400000_NS6detail17trampoline_kernelINS0_14default_configENS1_21merge_config_selectorINS0_5tupleIJttEEENS0_10empty_typeEEEZNS1_10merge_implIS3_NS0_12zip_iteratorINS5_IJN6thrust23THRUST_200600_302600_NS6detail15normal_iteratorINSC_10device_ptrIKtEEEESI_EEEEESK_NSA_INS5_IJNSE_INSF_ItEEEESM_EEEEEPS7_SP_SP_NSC_11hip_rocprim7__merge17predicate_wrapperIttNSC_7greaterItEEEEEE10hipError_tPvRmT0_T1_T2_T3_T4_T5_mmT6_P12ihipStream_tbEUlT_E0_NS1_11comp_targetILNS1_3genE5ELNS1_11target_archE942ELNS1_3gpuE9ELNS1_3repE0EEENS1_30default_config_static_selectorELNS0_4arch9wavefront6targetE0EEEvS10_.kd
    .uniform_work_group_size: 1
    .uses_dynamic_stack: false
    .vgpr_count:     0
    .vgpr_spill_count: 0
    .wavefront_size: 32
    .workgroup_processor_mode: 1
  - .args:
      - .offset:         0
        .size:           112
        .value_kind:     by_value
    .group_segment_fixed_size: 0
    .kernarg_segment_align: 8
    .kernarg_segment_size: 112
    .language:       OpenCL C
    .language_version:
      - 2
      - 0
    .max_flat_workgroup_size: 256
    .name:           _ZN7rocprim17ROCPRIM_400000_NS6detail17trampoline_kernelINS0_14default_configENS1_21merge_config_selectorINS0_5tupleIJttEEENS0_10empty_typeEEEZNS1_10merge_implIS3_NS0_12zip_iteratorINS5_IJN6thrust23THRUST_200600_302600_NS6detail15normal_iteratorINSC_10device_ptrIKtEEEESI_EEEEESK_NSA_INS5_IJNSE_INSF_ItEEEESM_EEEEEPS7_SP_SP_NSC_11hip_rocprim7__merge17predicate_wrapperIttNSC_7greaterItEEEEEE10hipError_tPvRmT0_T1_T2_T3_T4_T5_mmT6_P12ihipStream_tbEUlT_E0_NS1_11comp_targetILNS1_3genE4ELNS1_11target_archE910ELNS1_3gpuE8ELNS1_3repE0EEENS1_30default_config_static_selectorELNS0_4arch9wavefront6targetE0EEEvS10_
    .private_segment_fixed_size: 0
    .sgpr_count:     0
    .sgpr_spill_count: 0
    .symbol:         _ZN7rocprim17ROCPRIM_400000_NS6detail17trampoline_kernelINS0_14default_configENS1_21merge_config_selectorINS0_5tupleIJttEEENS0_10empty_typeEEEZNS1_10merge_implIS3_NS0_12zip_iteratorINS5_IJN6thrust23THRUST_200600_302600_NS6detail15normal_iteratorINSC_10device_ptrIKtEEEESI_EEEEESK_NSA_INS5_IJNSE_INSF_ItEEEESM_EEEEEPS7_SP_SP_NSC_11hip_rocprim7__merge17predicate_wrapperIttNSC_7greaterItEEEEEE10hipError_tPvRmT0_T1_T2_T3_T4_T5_mmT6_P12ihipStream_tbEUlT_E0_NS1_11comp_targetILNS1_3genE4ELNS1_11target_archE910ELNS1_3gpuE8ELNS1_3repE0EEENS1_30default_config_static_selectorELNS0_4arch9wavefront6targetE0EEEvS10_.kd
    .uniform_work_group_size: 1
    .uses_dynamic_stack: false
    .vgpr_count:     0
    .vgpr_spill_count: 0
    .wavefront_size: 32
    .workgroup_processor_mode: 1
  - .args:
      - .offset:         0
        .size:           112
        .value_kind:     by_value
    .group_segment_fixed_size: 0
    .kernarg_segment_align: 8
    .kernarg_segment_size: 112
    .language:       OpenCL C
    .language_version:
      - 2
      - 0
    .max_flat_workgroup_size: 256
    .name:           _ZN7rocprim17ROCPRIM_400000_NS6detail17trampoline_kernelINS0_14default_configENS1_21merge_config_selectorINS0_5tupleIJttEEENS0_10empty_typeEEEZNS1_10merge_implIS3_NS0_12zip_iteratorINS5_IJN6thrust23THRUST_200600_302600_NS6detail15normal_iteratorINSC_10device_ptrIKtEEEESI_EEEEESK_NSA_INS5_IJNSE_INSF_ItEEEESM_EEEEEPS7_SP_SP_NSC_11hip_rocprim7__merge17predicate_wrapperIttNSC_7greaterItEEEEEE10hipError_tPvRmT0_T1_T2_T3_T4_T5_mmT6_P12ihipStream_tbEUlT_E0_NS1_11comp_targetILNS1_3genE3ELNS1_11target_archE908ELNS1_3gpuE7ELNS1_3repE0EEENS1_30default_config_static_selectorELNS0_4arch9wavefront6targetE0EEEvS10_
    .private_segment_fixed_size: 0
    .sgpr_count:     0
    .sgpr_spill_count: 0
    .symbol:         _ZN7rocprim17ROCPRIM_400000_NS6detail17trampoline_kernelINS0_14default_configENS1_21merge_config_selectorINS0_5tupleIJttEEENS0_10empty_typeEEEZNS1_10merge_implIS3_NS0_12zip_iteratorINS5_IJN6thrust23THRUST_200600_302600_NS6detail15normal_iteratorINSC_10device_ptrIKtEEEESI_EEEEESK_NSA_INS5_IJNSE_INSF_ItEEEESM_EEEEEPS7_SP_SP_NSC_11hip_rocprim7__merge17predicate_wrapperIttNSC_7greaterItEEEEEE10hipError_tPvRmT0_T1_T2_T3_T4_T5_mmT6_P12ihipStream_tbEUlT_E0_NS1_11comp_targetILNS1_3genE3ELNS1_11target_archE908ELNS1_3gpuE7ELNS1_3repE0EEENS1_30default_config_static_selectorELNS0_4arch9wavefront6targetE0EEEvS10_.kd
    .uniform_work_group_size: 1
    .uses_dynamic_stack: false
    .vgpr_count:     0
    .vgpr_spill_count: 0
    .wavefront_size: 32
    .workgroup_processor_mode: 1
  - .args:
      - .offset:         0
        .size:           112
        .value_kind:     by_value
    .group_segment_fixed_size: 0
    .kernarg_segment_align: 8
    .kernarg_segment_size: 112
    .language:       OpenCL C
    .language_version:
      - 2
      - 0
    .max_flat_workgroup_size: 256
    .name:           _ZN7rocprim17ROCPRIM_400000_NS6detail17trampoline_kernelINS0_14default_configENS1_21merge_config_selectorINS0_5tupleIJttEEENS0_10empty_typeEEEZNS1_10merge_implIS3_NS0_12zip_iteratorINS5_IJN6thrust23THRUST_200600_302600_NS6detail15normal_iteratorINSC_10device_ptrIKtEEEESI_EEEEESK_NSA_INS5_IJNSE_INSF_ItEEEESM_EEEEEPS7_SP_SP_NSC_11hip_rocprim7__merge17predicate_wrapperIttNSC_7greaterItEEEEEE10hipError_tPvRmT0_T1_T2_T3_T4_T5_mmT6_P12ihipStream_tbEUlT_E0_NS1_11comp_targetILNS1_3genE2ELNS1_11target_archE906ELNS1_3gpuE6ELNS1_3repE0EEENS1_30default_config_static_selectorELNS0_4arch9wavefront6targetE0EEEvS10_
    .private_segment_fixed_size: 0
    .sgpr_count:     0
    .sgpr_spill_count: 0
    .symbol:         _ZN7rocprim17ROCPRIM_400000_NS6detail17trampoline_kernelINS0_14default_configENS1_21merge_config_selectorINS0_5tupleIJttEEENS0_10empty_typeEEEZNS1_10merge_implIS3_NS0_12zip_iteratorINS5_IJN6thrust23THRUST_200600_302600_NS6detail15normal_iteratorINSC_10device_ptrIKtEEEESI_EEEEESK_NSA_INS5_IJNSE_INSF_ItEEEESM_EEEEEPS7_SP_SP_NSC_11hip_rocprim7__merge17predicate_wrapperIttNSC_7greaterItEEEEEE10hipError_tPvRmT0_T1_T2_T3_T4_T5_mmT6_P12ihipStream_tbEUlT_E0_NS1_11comp_targetILNS1_3genE2ELNS1_11target_archE906ELNS1_3gpuE6ELNS1_3repE0EEENS1_30default_config_static_selectorELNS0_4arch9wavefront6targetE0EEEvS10_.kd
    .uniform_work_group_size: 1
    .uses_dynamic_stack: false
    .vgpr_count:     0
    .vgpr_spill_count: 0
    .wavefront_size: 32
    .workgroup_processor_mode: 1
  - .args:
      - .offset:         0
        .size:           112
        .value_kind:     by_value
    .group_segment_fixed_size: 0
    .kernarg_segment_align: 8
    .kernarg_segment_size: 112
    .language:       OpenCL C
    .language_version:
      - 2
      - 0
    .max_flat_workgroup_size: 1024
    .name:           _ZN7rocprim17ROCPRIM_400000_NS6detail17trampoline_kernelINS0_14default_configENS1_21merge_config_selectorINS0_5tupleIJttEEENS0_10empty_typeEEEZNS1_10merge_implIS3_NS0_12zip_iteratorINS5_IJN6thrust23THRUST_200600_302600_NS6detail15normal_iteratorINSC_10device_ptrIKtEEEESI_EEEEESK_NSA_INS5_IJNSE_INSF_ItEEEESM_EEEEEPS7_SP_SP_NSC_11hip_rocprim7__merge17predicate_wrapperIttNSC_7greaterItEEEEEE10hipError_tPvRmT0_T1_T2_T3_T4_T5_mmT6_P12ihipStream_tbEUlT_E0_NS1_11comp_targetILNS1_3genE10ELNS1_11target_archE1201ELNS1_3gpuE5ELNS1_3repE0EEENS1_30default_config_static_selectorELNS0_4arch9wavefront6targetE0EEEvS10_
    .private_segment_fixed_size: 0
    .sgpr_count:     0
    .sgpr_spill_count: 0
    .symbol:         _ZN7rocprim17ROCPRIM_400000_NS6detail17trampoline_kernelINS0_14default_configENS1_21merge_config_selectorINS0_5tupleIJttEEENS0_10empty_typeEEEZNS1_10merge_implIS3_NS0_12zip_iteratorINS5_IJN6thrust23THRUST_200600_302600_NS6detail15normal_iteratorINSC_10device_ptrIKtEEEESI_EEEEESK_NSA_INS5_IJNSE_INSF_ItEEEESM_EEEEEPS7_SP_SP_NSC_11hip_rocprim7__merge17predicate_wrapperIttNSC_7greaterItEEEEEE10hipError_tPvRmT0_T1_T2_T3_T4_T5_mmT6_P12ihipStream_tbEUlT_E0_NS1_11comp_targetILNS1_3genE10ELNS1_11target_archE1201ELNS1_3gpuE5ELNS1_3repE0EEENS1_30default_config_static_selectorELNS0_4arch9wavefront6targetE0EEEvS10_.kd
    .uniform_work_group_size: 1
    .uses_dynamic_stack: false
    .vgpr_count:     0
    .vgpr_spill_count: 0
    .wavefront_size: 32
    .workgroup_processor_mode: 1
  - .args:
      - .offset:         0
        .size:           112
        .value_kind:     by_value
    .group_segment_fixed_size: 0
    .kernarg_segment_align: 8
    .kernarg_segment_size: 112
    .language:       OpenCL C
    .language_version:
      - 2
      - 0
    .max_flat_workgroup_size: 1024
    .name:           _ZN7rocprim17ROCPRIM_400000_NS6detail17trampoline_kernelINS0_14default_configENS1_21merge_config_selectorINS0_5tupleIJttEEENS0_10empty_typeEEEZNS1_10merge_implIS3_NS0_12zip_iteratorINS5_IJN6thrust23THRUST_200600_302600_NS6detail15normal_iteratorINSC_10device_ptrIKtEEEESI_EEEEESK_NSA_INS5_IJNSE_INSF_ItEEEESM_EEEEEPS7_SP_SP_NSC_11hip_rocprim7__merge17predicate_wrapperIttNSC_7greaterItEEEEEE10hipError_tPvRmT0_T1_T2_T3_T4_T5_mmT6_P12ihipStream_tbEUlT_E0_NS1_11comp_targetILNS1_3genE10ELNS1_11target_archE1200ELNS1_3gpuE4ELNS1_3repE0EEENS1_30default_config_static_selectorELNS0_4arch9wavefront6targetE0EEEvS10_
    .private_segment_fixed_size: 0
    .sgpr_count:     0
    .sgpr_spill_count: 0
    .symbol:         _ZN7rocprim17ROCPRIM_400000_NS6detail17trampoline_kernelINS0_14default_configENS1_21merge_config_selectorINS0_5tupleIJttEEENS0_10empty_typeEEEZNS1_10merge_implIS3_NS0_12zip_iteratorINS5_IJN6thrust23THRUST_200600_302600_NS6detail15normal_iteratorINSC_10device_ptrIKtEEEESI_EEEEESK_NSA_INS5_IJNSE_INSF_ItEEEESM_EEEEEPS7_SP_SP_NSC_11hip_rocprim7__merge17predicate_wrapperIttNSC_7greaterItEEEEEE10hipError_tPvRmT0_T1_T2_T3_T4_T5_mmT6_P12ihipStream_tbEUlT_E0_NS1_11comp_targetILNS1_3genE10ELNS1_11target_archE1200ELNS1_3gpuE4ELNS1_3repE0EEENS1_30default_config_static_selectorELNS0_4arch9wavefront6targetE0EEEvS10_.kd
    .uniform_work_group_size: 1
    .uses_dynamic_stack: false
    .vgpr_count:     0
    .vgpr_spill_count: 0
    .wavefront_size: 32
    .workgroup_processor_mode: 1
  - .args:
      - .offset:         0
        .size:           112
        .value_kind:     by_value
    .group_segment_fixed_size: 0
    .kernarg_segment_align: 8
    .kernarg_segment_size: 112
    .language:       OpenCL C
    .language_version:
      - 2
      - 0
    .max_flat_workgroup_size: 1024
    .name:           _ZN7rocprim17ROCPRIM_400000_NS6detail17trampoline_kernelINS0_14default_configENS1_21merge_config_selectorINS0_5tupleIJttEEENS0_10empty_typeEEEZNS1_10merge_implIS3_NS0_12zip_iteratorINS5_IJN6thrust23THRUST_200600_302600_NS6detail15normal_iteratorINSC_10device_ptrIKtEEEESI_EEEEESK_NSA_INS5_IJNSE_INSF_ItEEEESM_EEEEEPS7_SP_SP_NSC_11hip_rocprim7__merge17predicate_wrapperIttNSC_7greaterItEEEEEE10hipError_tPvRmT0_T1_T2_T3_T4_T5_mmT6_P12ihipStream_tbEUlT_E0_NS1_11comp_targetILNS1_3genE9ELNS1_11target_archE1100ELNS1_3gpuE3ELNS1_3repE0EEENS1_30default_config_static_selectorELNS0_4arch9wavefront6targetE0EEEvS10_
    .private_segment_fixed_size: 0
    .sgpr_count:     0
    .sgpr_spill_count: 0
    .symbol:         _ZN7rocprim17ROCPRIM_400000_NS6detail17trampoline_kernelINS0_14default_configENS1_21merge_config_selectorINS0_5tupleIJttEEENS0_10empty_typeEEEZNS1_10merge_implIS3_NS0_12zip_iteratorINS5_IJN6thrust23THRUST_200600_302600_NS6detail15normal_iteratorINSC_10device_ptrIKtEEEESI_EEEEESK_NSA_INS5_IJNSE_INSF_ItEEEESM_EEEEEPS7_SP_SP_NSC_11hip_rocprim7__merge17predicate_wrapperIttNSC_7greaterItEEEEEE10hipError_tPvRmT0_T1_T2_T3_T4_T5_mmT6_P12ihipStream_tbEUlT_E0_NS1_11comp_targetILNS1_3genE9ELNS1_11target_archE1100ELNS1_3gpuE3ELNS1_3repE0EEENS1_30default_config_static_selectorELNS0_4arch9wavefront6targetE0EEEvS10_.kd
    .uniform_work_group_size: 1
    .uses_dynamic_stack: false
    .vgpr_count:     0
    .vgpr_spill_count: 0
    .wavefront_size: 32
    .workgroup_processor_mode: 1
  - .args:
      - .offset:         0
        .size:           112
        .value_kind:     by_value
    .group_segment_fixed_size: 33792
    .kernarg_segment_align: 8
    .kernarg_segment_size: 112
    .language:       OpenCL C
    .language_version:
      - 2
      - 0
    .max_flat_workgroup_size: 1024
    .name:           _ZN7rocprim17ROCPRIM_400000_NS6detail17trampoline_kernelINS0_14default_configENS1_21merge_config_selectorINS0_5tupleIJttEEENS0_10empty_typeEEEZNS1_10merge_implIS3_NS0_12zip_iteratorINS5_IJN6thrust23THRUST_200600_302600_NS6detail15normal_iteratorINSC_10device_ptrIKtEEEESI_EEEEESK_NSA_INS5_IJNSE_INSF_ItEEEESM_EEEEEPS7_SP_SP_NSC_11hip_rocprim7__merge17predicate_wrapperIttNSC_7greaterItEEEEEE10hipError_tPvRmT0_T1_T2_T3_T4_T5_mmT6_P12ihipStream_tbEUlT_E0_NS1_11comp_targetILNS1_3genE8ELNS1_11target_archE1030ELNS1_3gpuE2ELNS1_3repE0EEENS1_30default_config_static_selectorELNS0_4arch9wavefront6targetE0EEEvS10_
    .private_segment_fixed_size: 0
    .sgpr_count:     28
    .sgpr_spill_count: 0
    .symbol:         _ZN7rocprim17ROCPRIM_400000_NS6detail17trampoline_kernelINS0_14default_configENS1_21merge_config_selectorINS0_5tupleIJttEEENS0_10empty_typeEEEZNS1_10merge_implIS3_NS0_12zip_iteratorINS5_IJN6thrust23THRUST_200600_302600_NS6detail15normal_iteratorINSC_10device_ptrIKtEEEESI_EEEEESK_NSA_INS5_IJNSE_INSF_ItEEEESM_EEEEEPS7_SP_SP_NSC_11hip_rocprim7__merge17predicate_wrapperIttNSC_7greaterItEEEEEE10hipError_tPvRmT0_T1_T2_T3_T4_T5_mmT6_P12ihipStream_tbEUlT_E0_NS1_11comp_targetILNS1_3genE8ELNS1_11target_archE1030ELNS1_3gpuE2ELNS1_3repE0EEENS1_30default_config_static_selectorELNS0_4arch9wavefront6targetE0EEEvS10_.kd
    .uniform_work_group_size: 1
    .uses_dynamic_stack: false
    .vgpr_count:     37
    .vgpr_spill_count: 0
    .wavefront_size: 32
    .workgroup_processor_mode: 1
  - .args:
      - .offset:         0
        .size:           64
        .value_kind:     by_value
    .group_segment_fixed_size: 0
    .kernarg_segment_align: 8
    .kernarg_segment_size: 64
    .language:       OpenCL C
    .language_version:
      - 2
      - 0
    .max_flat_workgroup_size: 512
    .name:           _ZN7rocprim17ROCPRIM_400000_NS6detail17trampoline_kernelINS0_14default_configENS1_21merge_config_selectorINS0_5tupleIJxxEEENS0_10empty_typeEEEZNS1_10merge_implIS3_NS0_12zip_iteratorINS5_IJN6thrust23THRUST_200600_302600_NS6detail15normal_iteratorINSC_10device_ptrIKxEEEESI_EEEEESK_NSA_INS5_IJNSE_INSF_IxEEEESM_EEEEEPS7_SP_SP_NSC_11hip_rocprim7__merge17predicate_wrapperIxxNSC_7greaterIxEEEEEE10hipError_tPvRmT0_T1_T2_T3_T4_T5_mmT6_P12ihipStream_tbEUlT_E_NS1_11comp_targetILNS1_3genE0ELNS1_11target_archE4294967295ELNS1_3gpuE0ELNS1_3repE0EEENS1_30default_config_static_selectorELNS0_4arch9wavefront6targetE0EEEvS10_
    .private_segment_fixed_size: 0
    .sgpr_count:     0
    .sgpr_spill_count: 0
    .symbol:         _ZN7rocprim17ROCPRIM_400000_NS6detail17trampoline_kernelINS0_14default_configENS1_21merge_config_selectorINS0_5tupleIJxxEEENS0_10empty_typeEEEZNS1_10merge_implIS3_NS0_12zip_iteratorINS5_IJN6thrust23THRUST_200600_302600_NS6detail15normal_iteratorINSC_10device_ptrIKxEEEESI_EEEEESK_NSA_INS5_IJNSE_INSF_IxEEEESM_EEEEEPS7_SP_SP_NSC_11hip_rocprim7__merge17predicate_wrapperIxxNSC_7greaterIxEEEEEE10hipError_tPvRmT0_T1_T2_T3_T4_T5_mmT6_P12ihipStream_tbEUlT_E_NS1_11comp_targetILNS1_3genE0ELNS1_11target_archE4294967295ELNS1_3gpuE0ELNS1_3repE0EEENS1_30default_config_static_selectorELNS0_4arch9wavefront6targetE0EEEvS10_.kd
    .uniform_work_group_size: 1
    .uses_dynamic_stack: false
    .vgpr_count:     0
    .vgpr_spill_count: 0
    .wavefront_size: 32
    .workgroup_processor_mode: 1
  - .args:
      - .offset:         0
        .size:           64
        .value_kind:     by_value
    .group_segment_fixed_size: 0
    .kernarg_segment_align: 8
    .kernarg_segment_size: 64
    .language:       OpenCL C
    .language_version:
      - 2
      - 0
    .max_flat_workgroup_size: 256
    .name:           _ZN7rocprim17ROCPRIM_400000_NS6detail17trampoline_kernelINS0_14default_configENS1_21merge_config_selectorINS0_5tupleIJxxEEENS0_10empty_typeEEEZNS1_10merge_implIS3_NS0_12zip_iteratorINS5_IJN6thrust23THRUST_200600_302600_NS6detail15normal_iteratorINSC_10device_ptrIKxEEEESI_EEEEESK_NSA_INS5_IJNSE_INSF_IxEEEESM_EEEEEPS7_SP_SP_NSC_11hip_rocprim7__merge17predicate_wrapperIxxNSC_7greaterIxEEEEEE10hipError_tPvRmT0_T1_T2_T3_T4_T5_mmT6_P12ihipStream_tbEUlT_E_NS1_11comp_targetILNS1_3genE5ELNS1_11target_archE942ELNS1_3gpuE9ELNS1_3repE0EEENS1_30default_config_static_selectorELNS0_4arch9wavefront6targetE0EEEvS10_
    .private_segment_fixed_size: 0
    .sgpr_count:     0
    .sgpr_spill_count: 0
    .symbol:         _ZN7rocprim17ROCPRIM_400000_NS6detail17trampoline_kernelINS0_14default_configENS1_21merge_config_selectorINS0_5tupleIJxxEEENS0_10empty_typeEEEZNS1_10merge_implIS3_NS0_12zip_iteratorINS5_IJN6thrust23THRUST_200600_302600_NS6detail15normal_iteratorINSC_10device_ptrIKxEEEESI_EEEEESK_NSA_INS5_IJNSE_INSF_IxEEEESM_EEEEEPS7_SP_SP_NSC_11hip_rocprim7__merge17predicate_wrapperIxxNSC_7greaterIxEEEEEE10hipError_tPvRmT0_T1_T2_T3_T4_T5_mmT6_P12ihipStream_tbEUlT_E_NS1_11comp_targetILNS1_3genE5ELNS1_11target_archE942ELNS1_3gpuE9ELNS1_3repE0EEENS1_30default_config_static_selectorELNS0_4arch9wavefront6targetE0EEEvS10_.kd
    .uniform_work_group_size: 1
    .uses_dynamic_stack: false
    .vgpr_count:     0
    .vgpr_spill_count: 0
    .wavefront_size: 32
    .workgroup_processor_mode: 1
  - .args:
      - .offset:         0
        .size:           64
        .value_kind:     by_value
    .group_segment_fixed_size: 0
    .kernarg_segment_align: 8
    .kernarg_segment_size: 64
    .language:       OpenCL C
    .language_version:
      - 2
      - 0
    .max_flat_workgroup_size: 512
    .name:           _ZN7rocprim17ROCPRIM_400000_NS6detail17trampoline_kernelINS0_14default_configENS1_21merge_config_selectorINS0_5tupleIJxxEEENS0_10empty_typeEEEZNS1_10merge_implIS3_NS0_12zip_iteratorINS5_IJN6thrust23THRUST_200600_302600_NS6detail15normal_iteratorINSC_10device_ptrIKxEEEESI_EEEEESK_NSA_INS5_IJNSE_INSF_IxEEEESM_EEEEEPS7_SP_SP_NSC_11hip_rocprim7__merge17predicate_wrapperIxxNSC_7greaterIxEEEEEE10hipError_tPvRmT0_T1_T2_T3_T4_T5_mmT6_P12ihipStream_tbEUlT_E_NS1_11comp_targetILNS1_3genE4ELNS1_11target_archE910ELNS1_3gpuE8ELNS1_3repE0EEENS1_30default_config_static_selectorELNS0_4arch9wavefront6targetE0EEEvS10_
    .private_segment_fixed_size: 0
    .sgpr_count:     0
    .sgpr_spill_count: 0
    .symbol:         _ZN7rocprim17ROCPRIM_400000_NS6detail17trampoline_kernelINS0_14default_configENS1_21merge_config_selectorINS0_5tupleIJxxEEENS0_10empty_typeEEEZNS1_10merge_implIS3_NS0_12zip_iteratorINS5_IJN6thrust23THRUST_200600_302600_NS6detail15normal_iteratorINSC_10device_ptrIKxEEEESI_EEEEESK_NSA_INS5_IJNSE_INSF_IxEEEESM_EEEEEPS7_SP_SP_NSC_11hip_rocprim7__merge17predicate_wrapperIxxNSC_7greaterIxEEEEEE10hipError_tPvRmT0_T1_T2_T3_T4_T5_mmT6_P12ihipStream_tbEUlT_E_NS1_11comp_targetILNS1_3genE4ELNS1_11target_archE910ELNS1_3gpuE8ELNS1_3repE0EEENS1_30default_config_static_selectorELNS0_4arch9wavefront6targetE0EEEvS10_.kd
    .uniform_work_group_size: 1
    .uses_dynamic_stack: false
    .vgpr_count:     0
    .vgpr_spill_count: 0
    .wavefront_size: 32
    .workgroup_processor_mode: 1
  - .args:
      - .offset:         0
        .size:           64
        .value_kind:     by_value
    .group_segment_fixed_size: 0
    .kernarg_segment_align: 8
    .kernarg_segment_size: 64
    .language:       OpenCL C
    .language_version:
      - 2
      - 0
    .max_flat_workgroup_size: 512
    .name:           _ZN7rocprim17ROCPRIM_400000_NS6detail17trampoline_kernelINS0_14default_configENS1_21merge_config_selectorINS0_5tupleIJxxEEENS0_10empty_typeEEEZNS1_10merge_implIS3_NS0_12zip_iteratorINS5_IJN6thrust23THRUST_200600_302600_NS6detail15normal_iteratorINSC_10device_ptrIKxEEEESI_EEEEESK_NSA_INS5_IJNSE_INSF_IxEEEESM_EEEEEPS7_SP_SP_NSC_11hip_rocprim7__merge17predicate_wrapperIxxNSC_7greaterIxEEEEEE10hipError_tPvRmT0_T1_T2_T3_T4_T5_mmT6_P12ihipStream_tbEUlT_E_NS1_11comp_targetILNS1_3genE3ELNS1_11target_archE908ELNS1_3gpuE7ELNS1_3repE0EEENS1_30default_config_static_selectorELNS0_4arch9wavefront6targetE0EEEvS10_
    .private_segment_fixed_size: 0
    .sgpr_count:     0
    .sgpr_spill_count: 0
    .symbol:         _ZN7rocprim17ROCPRIM_400000_NS6detail17trampoline_kernelINS0_14default_configENS1_21merge_config_selectorINS0_5tupleIJxxEEENS0_10empty_typeEEEZNS1_10merge_implIS3_NS0_12zip_iteratorINS5_IJN6thrust23THRUST_200600_302600_NS6detail15normal_iteratorINSC_10device_ptrIKxEEEESI_EEEEESK_NSA_INS5_IJNSE_INSF_IxEEEESM_EEEEEPS7_SP_SP_NSC_11hip_rocprim7__merge17predicate_wrapperIxxNSC_7greaterIxEEEEEE10hipError_tPvRmT0_T1_T2_T3_T4_T5_mmT6_P12ihipStream_tbEUlT_E_NS1_11comp_targetILNS1_3genE3ELNS1_11target_archE908ELNS1_3gpuE7ELNS1_3repE0EEENS1_30default_config_static_selectorELNS0_4arch9wavefront6targetE0EEEvS10_.kd
    .uniform_work_group_size: 1
    .uses_dynamic_stack: false
    .vgpr_count:     0
    .vgpr_spill_count: 0
    .wavefront_size: 32
    .workgroup_processor_mode: 1
  - .args:
      - .offset:         0
        .size:           64
        .value_kind:     by_value
    .group_segment_fixed_size: 0
    .kernarg_segment_align: 8
    .kernarg_segment_size: 64
    .language:       OpenCL C
    .language_version:
      - 2
      - 0
    .max_flat_workgroup_size: 512
    .name:           _ZN7rocprim17ROCPRIM_400000_NS6detail17trampoline_kernelINS0_14default_configENS1_21merge_config_selectorINS0_5tupleIJxxEEENS0_10empty_typeEEEZNS1_10merge_implIS3_NS0_12zip_iteratorINS5_IJN6thrust23THRUST_200600_302600_NS6detail15normal_iteratorINSC_10device_ptrIKxEEEESI_EEEEESK_NSA_INS5_IJNSE_INSF_IxEEEESM_EEEEEPS7_SP_SP_NSC_11hip_rocprim7__merge17predicate_wrapperIxxNSC_7greaterIxEEEEEE10hipError_tPvRmT0_T1_T2_T3_T4_T5_mmT6_P12ihipStream_tbEUlT_E_NS1_11comp_targetILNS1_3genE2ELNS1_11target_archE906ELNS1_3gpuE6ELNS1_3repE0EEENS1_30default_config_static_selectorELNS0_4arch9wavefront6targetE0EEEvS10_
    .private_segment_fixed_size: 0
    .sgpr_count:     0
    .sgpr_spill_count: 0
    .symbol:         _ZN7rocprim17ROCPRIM_400000_NS6detail17trampoline_kernelINS0_14default_configENS1_21merge_config_selectorINS0_5tupleIJxxEEENS0_10empty_typeEEEZNS1_10merge_implIS3_NS0_12zip_iteratorINS5_IJN6thrust23THRUST_200600_302600_NS6detail15normal_iteratorINSC_10device_ptrIKxEEEESI_EEEEESK_NSA_INS5_IJNSE_INSF_IxEEEESM_EEEEEPS7_SP_SP_NSC_11hip_rocprim7__merge17predicate_wrapperIxxNSC_7greaterIxEEEEEE10hipError_tPvRmT0_T1_T2_T3_T4_T5_mmT6_P12ihipStream_tbEUlT_E_NS1_11comp_targetILNS1_3genE2ELNS1_11target_archE906ELNS1_3gpuE6ELNS1_3repE0EEENS1_30default_config_static_selectorELNS0_4arch9wavefront6targetE0EEEvS10_.kd
    .uniform_work_group_size: 1
    .uses_dynamic_stack: false
    .vgpr_count:     0
    .vgpr_spill_count: 0
    .wavefront_size: 32
    .workgroup_processor_mode: 1
  - .args:
      - .offset:         0
        .size:           64
        .value_kind:     by_value
    .group_segment_fixed_size: 0
    .kernarg_segment_align: 8
    .kernarg_segment_size: 64
    .language:       OpenCL C
    .language_version:
      - 2
      - 0
    .max_flat_workgroup_size: 512
    .name:           _ZN7rocprim17ROCPRIM_400000_NS6detail17trampoline_kernelINS0_14default_configENS1_21merge_config_selectorINS0_5tupleIJxxEEENS0_10empty_typeEEEZNS1_10merge_implIS3_NS0_12zip_iteratorINS5_IJN6thrust23THRUST_200600_302600_NS6detail15normal_iteratorINSC_10device_ptrIKxEEEESI_EEEEESK_NSA_INS5_IJNSE_INSF_IxEEEESM_EEEEEPS7_SP_SP_NSC_11hip_rocprim7__merge17predicate_wrapperIxxNSC_7greaterIxEEEEEE10hipError_tPvRmT0_T1_T2_T3_T4_T5_mmT6_P12ihipStream_tbEUlT_E_NS1_11comp_targetILNS1_3genE10ELNS1_11target_archE1201ELNS1_3gpuE5ELNS1_3repE0EEENS1_30default_config_static_selectorELNS0_4arch9wavefront6targetE0EEEvS10_
    .private_segment_fixed_size: 0
    .sgpr_count:     0
    .sgpr_spill_count: 0
    .symbol:         _ZN7rocprim17ROCPRIM_400000_NS6detail17trampoline_kernelINS0_14default_configENS1_21merge_config_selectorINS0_5tupleIJxxEEENS0_10empty_typeEEEZNS1_10merge_implIS3_NS0_12zip_iteratorINS5_IJN6thrust23THRUST_200600_302600_NS6detail15normal_iteratorINSC_10device_ptrIKxEEEESI_EEEEESK_NSA_INS5_IJNSE_INSF_IxEEEESM_EEEEEPS7_SP_SP_NSC_11hip_rocprim7__merge17predicate_wrapperIxxNSC_7greaterIxEEEEEE10hipError_tPvRmT0_T1_T2_T3_T4_T5_mmT6_P12ihipStream_tbEUlT_E_NS1_11comp_targetILNS1_3genE10ELNS1_11target_archE1201ELNS1_3gpuE5ELNS1_3repE0EEENS1_30default_config_static_selectorELNS0_4arch9wavefront6targetE0EEEvS10_.kd
    .uniform_work_group_size: 1
    .uses_dynamic_stack: false
    .vgpr_count:     0
    .vgpr_spill_count: 0
    .wavefront_size: 32
    .workgroup_processor_mode: 1
  - .args:
      - .offset:         0
        .size:           64
        .value_kind:     by_value
    .group_segment_fixed_size: 0
    .kernarg_segment_align: 8
    .kernarg_segment_size: 64
    .language:       OpenCL C
    .language_version:
      - 2
      - 0
    .max_flat_workgroup_size: 256
    .name:           _ZN7rocprim17ROCPRIM_400000_NS6detail17trampoline_kernelINS0_14default_configENS1_21merge_config_selectorINS0_5tupleIJxxEEENS0_10empty_typeEEEZNS1_10merge_implIS3_NS0_12zip_iteratorINS5_IJN6thrust23THRUST_200600_302600_NS6detail15normal_iteratorINSC_10device_ptrIKxEEEESI_EEEEESK_NSA_INS5_IJNSE_INSF_IxEEEESM_EEEEEPS7_SP_SP_NSC_11hip_rocprim7__merge17predicate_wrapperIxxNSC_7greaterIxEEEEEE10hipError_tPvRmT0_T1_T2_T3_T4_T5_mmT6_P12ihipStream_tbEUlT_E_NS1_11comp_targetILNS1_3genE10ELNS1_11target_archE1200ELNS1_3gpuE4ELNS1_3repE0EEENS1_30default_config_static_selectorELNS0_4arch9wavefront6targetE0EEEvS10_
    .private_segment_fixed_size: 0
    .sgpr_count:     0
    .sgpr_spill_count: 0
    .symbol:         _ZN7rocprim17ROCPRIM_400000_NS6detail17trampoline_kernelINS0_14default_configENS1_21merge_config_selectorINS0_5tupleIJxxEEENS0_10empty_typeEEEZNS1_10merge_implIS3_NS0_12zip_iteratorINS5_IJN6thrust23THRUST_200600_302600_NS6detail15normal_iteratorINSC_10device_ptrIKxEEEESI_EEEEESK_NSA_INS5_IJNSE_INSF_IxEEEESM_EEEEEPS7_SP_SP_NSC_11hip_rocprim7__merge17predicate_wrapperIxxNSC_7greaterIxEEEEEE10hipError_tPvRmT0_T1_T2_T3_T4_T5_mmT6_P12ihipStream_tbEUlT_E_NS1_11comp_targetILNS1_3genE10ELNS1_11target_archE1200ELNS1_3gpuE4ELNS1_3repE0EEENS1_30default_config_static_selectorELNS0_4arch9wavefront6targetE0EEEvS10_.kd
    .uniform_work_group_size: 1
    .uses_dynamic_stack: false
    .vgpr_count:     0
    .vgpr_spill_count: 0
    .wavefront_size: 32
    .workgroup_processor_mode: 1
  - .args:
      - .offset:         0
        .size:           64
        .value_kind:     by_value
    .group_segment_fixed_size: 0
    .kernarg_segment_align: 8
    .kernarg_segment_size: 64
    .language:       OpenCL C
    .language_version:
      - 2
      - 0
    .max_flat_workgroup_size: 1024
    .name:           _ZN7rocprim17ROCPRIM_400000_NS6detail17trampoline_kernelINS0_14default_configENS1_21merge_config_selectorINS0_5tupleIJxxEEENS0_10empty_typeEEEZNS1_10merge_implIS3_NS0_12zip_iteratorINS5_IJN6thrust23THRUST_200600_302600_NS6detail15normal_iteratorINSC_10device_ptrIKxEEEESI_EEEEESK_NSA_INS5_IJNSE_INSF_IxEEEESM_EEEEEPS7_SP_SP_NSC_11hip_rocprim7__merge17predicate_wrapperIxxNSC_7greaterIxEEEEEE10hipError_tPvRmT0_T1_T2_T3_T4_T5_mmT6_P12ihipStream_tbEUlT_E_NS1_11comp_targetILNS1_3genE9ELNS1_11target_archE1100ELNS1_3gpuE3ELNS1_3repE0EEENS1_30default_config_static_selectorELNS0_4arch9wavefront6targetE0EEEvS10_
    .private_segment_fixed_size: 0
    .sgpr_count:     0
    .sgpr_spill_count: 0
    .symbol:         _ZN7rocprim17ROCPRIM_400000_NS6detail17trampoline_kernelINS0_14default_configENS1_21merge_config_selectorINS0_5tupleIJxxEEENS0_10empty_typeEEEZNS1_10merge_implIS3_NS0_12zip_iteratorINS5_IJN6thrust23THRUST_200600_302600_NS6detail15normal_iteratorINSC_10device_ptrIKxEEEESI_EEEEESK_NSA_INS5_IJNSE_INSF_IxEEEESM_EEEEEPS7_SP_SP_NSC_11hip_rocprim7__merge17predicate_wrapperIxxNSC_7greaterIxEEEEEE10hipError_tPvRmT0_T1_T2_T3_T4_T5_mmT6_P12ihipStream_tbEUlT_E_NS1_11comp_targetILNS1_3genE9ELNS1_11target_archE1100ELNS1_3gpuE3ELNS1_3repE0EEENS1_30default_config_static_selectorELNS0_4arch9wavefront6targetE0EEEvS10_.kd
    .uniform_work_group_size: 1
    .uses_dynamic_stack: false
    .vgpr_count:     0
    .vgpr_spill_count: 0
    .wavefront_size: 32
    .workgroup_processor_mode: 1
  - .args:
      - .offset:         0
        .size:           64
        .value_kind:     by_value
      - .offset:         64
        .size:           4
        .value_kind:     hidden_block_count_x
      - .offset:         68
        .size:           4
        .value_kind:     hidden_block_count_y
      - .offset:         72
        .size:           4
        .value_kind:     hidden_block_count_z
      - .offset:         76
        .size:           2
        .value_kind:     hidden_group_size_x
      - .offset:         78
        .size:           2
        .value_kind:     hidden_group_size_y
      - .offset:         80
        .size:           2
        .value_kind:     hidden_group_size_z
      - .offset:         82
        .size:           2
        .value_kind:     hidden_remainder_x
      - .offset:         84
        .size:           2
        .value_kind:     hidden_remainder_y
      - .offset:         86
        .size:           2
        .value_kind:     hidden_remainder_z
      - .offset:         104
        .size:           8
        .value_kind:     hidden_global_offset_x
      - .offset:         112
        .size:           8
        .value_kind:     hidden_global_offset_y
      - .offset:         120
        .size:           8
        .value_kind:     hidden_global_offset_z
      - .offset:         128
        .size:           2
        .value_kind:     hidden_grid_dims
    .group_segment_fixed_size: 0
    .kernarg_segment_align: 8
    .kernarg_segment_size: 320
    .language:       OpenCL C
    .language_version:
      - 2
      - 0
    .max_flat_workgroup_size: 256
    .name:           _ZN7rocprim17ROCPRIM_400000_NS6detail17trampoline_kernelINS0_14default_configENS1_21merge_config_selectorINS0_5tupleIJxxEEENS0_10empty_typeEEEZNS1_10merge_implIS3_NS0_12zip_iteratorINS5_IJN6thrust23THRUST_200600_302600_NS6detail15normal_iteratorINSC_10device_ptrIKxEEEESI_EEEEESK_NSA_INS5_IJNSE_INSF_IxEEEESM_EEEEEPS7_SP_SP_NSC_11hip_rocprim7__merge17predicate_wrapperIxxNSC_7greaterIxEEEEEE10hipError_tPvRmT0_T1_T2_T3_T4_T5_mmT6_P12ihipStream_tbEUlT_E_NS1_11comp_targetILNS1_3genE8ELNS1_11target_archE1030ELNS1_3gpuE2ELNS1_3repE0EEENS1_30default_config_static_selectorELNS0_4arch9wavefront6targetE0EEEvS10_
    .private_segment_fixed_size: 0
    .sgpr_count:     18
    .sgpr_spill_count: 0
    .symbol:         _ZN7rocprim17ROCPRIM_400000_NS6detail17trampoline_kernelINS0_14default_configENS1_21merge_config_selectorINS0_5tupleIJxxEEENS0_10empty_typeEEEZNS1_10merge_implIS3_NS0_12zip_iteratorINS5_IJN6thrust23THRUST_200600_302600_NS6detail15normal_iteratorINSC_10device_ptrIKxEEEESI_EEEEESK_NSA_INS5_IJNSE_INSF_IxEEEESM_EEEEEPS7_SP_SP_NSC_11hip_rocprim7__merge17predicate_wrapperIxxNSC_7greaterIxEEEEEE10hipError_tPvRmT0_T1_T2_T3_T4_T5_mmT6_P12ihipStream_tbEUlT_E_NS1_11comp_targetILNS1_3genE8ELNS1_11target_archE1030ELNS1_3gpuE2ELNS1_3repE0EEENS1_30default_config_static_selectorELNS0_4arch9wavefront6targetE0EEEvS10_.kd
    .uniform_work_group_size: 1
    .uses_dynamic_stack: false
    .vgpr_count:     14
    .vgpr_spill_count: 0
    .wavefront_size: 32
    .workgroup_processor_mode: 1
  - .args:
      - .offset:         0
        .size:           112
        .value_kind:     by_value
    .group_segment_fixed_size: 0
    .kernarg_segment_align: 8
    .kernarg_segment_size: 112
    .language:       OpenCL C
    .language_version:
      - 2
      - 0
    .max_flat_workgroup_size: 512
    .name:           _ZN7rocprim17ROCPRIM_400000_NS6detail17trampoline_kernelINS0_14default_configENS1_21merge_config_selectorINS0_5tupleIJxxEEENS0_10empty_typeEEEZNS1_10merge_implIS3_NS0_12zip_iteratorINS5_IJN6thrust23THRUST_200600_302600_NS6detail15normal_iteratorINSC_10device_ptrIKxEEEESI_EEEEESK_NSA_INS5_IJNSE_INSF_IxEEEESM_EEEEEPS7_SP_SP_NSC_11hip_rocprim7__merge17predicate_wrapperIxxNSC_7greaterIxEEEEEE10hipError_tPvRmT0_T1_T2_T3_T4_T5_mmT6_P12ihipStream_tbEUlT_E0_NS1_11comp_targetILNS1_3genE0ELNS1_11target_archE4294967295ELNS1_3gpuE0ELNS1_3repE0EEENS1_30default_config_static_selectorELNS0_4arch9wavefront6targetE0EEEvS10_
    .private_segment_fixed_size: 0
    .sgpr_count:     0
    .sgpr_spill_count: 0
    .symbol:         _ZN7rocprim17ROCPRIM_400000_NS6detail17trampoline_kernelINS0_14default_configENS1_21merge_config_selectorINS0_5tupleIJxxEEENS0_10empty_typeEEEZNS1_10merge_implIS3_NS0_12zip_iteratorINS5_IJN6thrust23THRUST_200600_302600_NS6detail15normal_iteratorINSC_10device_ptrIKxEEEESI_EEEEESK_NSA_INS5_IJNSE_INSF_IxEEEESM_EEEEEPS7_SP_SP_NSC_11hip_rocprim7__merge17predicate_wrapperIxxNSC_7greaterIxEEEEEE10hipError_tPvRmT0_T1_T2_T3_T4_T5_mmT6_P12ihipStream_tbEUlT_E0_NS1_11comp_targetILNS1_3genE0ELNS1_11target_archE4294967295ELNS1_3gpuE0ELNS1_3repE0EEENS1_30default_config_static_selectorELNS0_4arch9wavefront6targetE0EEEvS10_.kd
    .uniform_work_group_size: 1
    .uses_dynamic_stack: false
    .vgpr_count:     0
    .vgpr_spill_count: 0
    .wavefront_size: 32
    .workgroup_processor_mode: 1
  - .args:
      - .offset:         0
        .size:           112
        .value_kind:     by_value
    .group_segment_fixed_size: 0
    .kernarg_segment_align: 8
    .kernarg_segment_size: 112
    .language:       OpenCL C
    .language_version:
      - 2
      - 0
    .max_flat_workgroup_size: 256
    .name:           _ZN7rocprim17ROCPRIM_400000_NS6detail17trampoline_kernelINS0_14default_configENS1_21merge_config_selectorINS0_5tupleIJxxEEENS0_10empty_typeEEEZNS1_10merge_implIS3_NS0_12zip_iteratorINS5_IJN6thrust23THRUST_200600_302600_NS6detail15normal_iteratorINSC_10device_ptrIKxEEEESI_EEEEESK_NSA_INS5_IJNSE_INSF_IxEEEESM_EEEEEPS7_SP_SP_NSC_11hip_rocprim7__merge17predicate_wrapperIxxNSC_7greaterIxEEEEEE10hipError_tPvRmT0_T1_T2_T3_T4_T5_mmT6_P12ihipStream_tbEUlT_E0_NS1_11comp_targetILNS1_3genE5ELNS1_11target_archE942ELNS1_3gpuE9ELNS1_3repE0EEENS1_30default_config_static_selectorELNS0_4arch9wavefront6targetE0EEEvS10_
    .private_segment_fixed_size: 0
    .sgpr_count:     0
    .sgpr_spill_count: 0
    .symbol:         _ZN7rocprim17ROCPRIM_400000_NS6detail17trampoline_kernelINS0_14default_configENS1_21merge_config_selectorINS0_5tupleIJxxEEENS0_10empty_typeEEEZNS1_10merge_implIS3_NS0_12zip_iteratorINS5_IJN6thrust23THRUST_200600_302600_NS6detail15normal_iteratorINSC_10device_ptrIKxEEEESI_EEEEESK_NSA_INS5_IJNSE_INSF_IxEEEESM_EEEEEPS7_SP_SP_NSC_11hip_rocprim7__merge17predicate_wrapperIxxNSC_7greaterIxEEEEEE10hipError_tPvRmT0_T1_T2_T3_T4_T5_mmT6_P12ihipStream_tbEUlT_E0_NS1_11comp_targetILNS1_3genE5ELNS1_11target_archE942ELNS1_3gpuE9ELNS1_3repE0EEENS1_30default_config_static_selectorELNS0_4arch9wavefront6targetE0EEEvS10_.kd
    .uniform_work_group_size: 1
    .uses_dynamic_stack: false
    .vgpr_count:     0
    .vgpr_spill_count: 0
    .wavefront_size: 32
    .workgroup_processor_mode: 1
  - .args:
      - .offset:         0
        .size:           112
        .value_kind:     by_value
    .group_segment_fixed_size: 0
    .kernarg_segment_align: 8
    .kernarg_segment_size: 112
    .language:       OpenCL C
    .language_version:
      - 2
      - 0
    .max_flat_workgroup_size: 512
    .name:           _ZN7rocprim17ROCPRIM_400000_NS6detail17trampoline_kernelINS0_14default_configENS1_21merge_config_selectorINS0_5tupleIJxxEEENS0_10empty_typeEEEZNS1_10merge_implIS3_NS0_12zip_iteratorINS5_IJN6thrust23THRUST_200600_302600_NS6detail15normal_iteratorINSC_10device_ptrIKxEEEESI_EEEEESK_NSA_INS5_IJNSE_INSF_IxEEEESM_EEEEEPS7_SP_SP_NSC_11hip_rocprim7__merge17predicate_wrapperIxxNSC_7greaterIxEEEEEE10hipError_tPvRmT0_T1_T2_T3_T4_T5_mmT6_P12ihipStream_tbEUlT_E0_NS1_11comp_targetILNS1_3genE4ELNS1_11target_archE910ELNS1_3gpuE8ELNS1_3repE0EEENS1_30default_config_static_selectorELNS0_4arch9wavefront6targetE0EEEvS10_
    .private_segment_fixed_size: 0
    .sgpr_count:     0
    .sgpr_spill_count: 0
    .symbol:         _ZN7rocprim17ROCPRIM_400000_NS6detail17trampoline_kernelINS0_14default_configENS1_21merge_config_selectorINS0_5tupleIJxxEEENS0_10empty_typeEEEZNS1_10merge_implIS3_NS0_12zip_iteratorINS5_IJN6thrust23THRUST_200600_302600_NS6detail15normal_iteratorINSC_10device_ptrIKxEEEESI_EEEEESK_NSA_INS5_IJNSE_INSF_IxEEEESM_EEEEEPS7_SP_SP_NSC_11hip_rocprim7__merge17predicate_wrapperIxxNSC_7greaterIxEEEEEE10hipError_tPvRmT0_T1_T2_T3_T4_T5_mmT6_P12ihipStream_tbEUlT_E0_NS1_11comp_targetILNS1_3genE4ELNS1_11target_archE910ELNS1_3gpuE8ELNS1_3repE0EEENS1_30default_config_static_selectorELNS0_4arch9wavefront6targetE0EEEvS10_.kd
    .uniform_work_group_size: 1
    .uses_dynamic_stack: false
    .vgpr_count:     0
    .vgpr_spill_count: 0
    .wavefront_size: 32
    .workgroup_processor_mode: 1
  - .args:
      - .offset:         0
        .size:           112
        .value_kind:     by_value
    .group_segment_fixed_size: 0
    .kernarg_segment_align: 8
    .kernarg_segment_size: 112
    .language:       OpenCL C
    .language_version:
      - 2
      - 0
    .max_flat_workgroup_size: 512
    .name:           _ZN7rocprim17ROCPRIM_400000_NS6detail17trampoline_kernelINS0_14default_configENS1_21merge_config_selectorINS0_5tupleIJxxEEENS0_10empty_typeEEEZNS1_10merge_implIS3_NS0_12zip_iteratorINS5_IJN6thrust23THRUST_200600_302600_NS6detail15normal_iteratorINSC_10device_ptrIKxEEEESI_EEEEESK_NSA_INS5_IJNSE_INSF_IxEEEESM_EEEEEPS7_SP_SP_NSC_11hip_rocprim7__merge17predicate_wrapperIxxNSC_7greaterIxEEEEEE10hipError_tPvRmT0_T1_T2_T3_T4_T5_mmT6_P12ihipStream_tbEUlT_E0_NS1_11comp_targetILNS1_3genE3ELNS1_11target_archE908ELNS1_3gpuE7ELNS1_3repE0EEENS1_30default_config_static_selectorELNS0_4arch9wavefront6targetE0EEEvS10_
    .private_segment_fixed_size: 0
    .sgpr_count:     0
    .sgpr_spill_count: 0
    .symbol:         _ZN7rocprim17ROCPRIM_400000_NS6detail17trampoline_kernelINS0_14default_configENS1_21merge_config_selectorINS0_5tupleIJxxEEENS0_10empty_typeEEEZNS1_10merge_implIS3_NS0_12zip_iteratorINS5_IJN6thrust23THRUST_200600_302600_NS6detail15normal_iteratorINSC_10device_ptrIKxEEEESI_EEEEESK_NSA_INS5_IJNSE_INSF_IxEEEESM_EEEEEPS7_SP_SP_NSC_11hip_rocprim7__merge17predicate_wrapperIxxNSC_7greaterIxEEEEEE10hipError_tPvRmT0_T1_T2_T3_T4_T5_mmT6_P12ihipStream_tbEUlT_E0_NS1_11comp_targetILNS1_3genE3ELNS1_11target_archE908ELNS1_3gpuE7ELNS1_3repE0EEENS1_30default_config_static_selectorELNS0_4arch9wavefront6targetE0EEEvS10_.kd
    .uniform_work_group_size: 1
    .uses_dynamic_stack: false
    .vgpr_count:     0
    .vgpr_spill_count: 0
    .wavefront_size: 32
    .workgroup_processor_mode: 1
  - .args:
      - .offset:         0
        .size:           112
        .value_kind:     by_value
    .group_segment_fixed_size: 0
    .kernarg_segment_align: 8
    .kernarg_segment_size: 112
    .language:       OpenCL C
    .language_version:
      - 2
      - 0
    .max_flat_workgroup_size: 512
    .name:           _ZN7rocprim17ROCPRIM_400000_NS6detail17trampoline_kernelINS0_14default_configENS1_21merge_config_selectorINS0_5tupleIJxxEEENS0_10empty_typeEEEZNS1_10merge_implIS3_NS0_12zip_iteratorINS5_IJN6thrust23THRUST_200600_302600_NS6detail15normal_iteratorINSC_10device_ptrIKxEEEESI_EEEEESK_NSA_INS5_IJNSE_INSF_IxEEEESM_EEEEEPS7_SP_SP_NSC_11hip_rocprim7__merge17predicate_wrapperIxxNSC_7greaterIxEEEEEE10hipError_tPvRmT0_T1_T2_T3_T4_T5_mmT6_P12ihipStream_tbEUlT_E0_NS1_11comp_targetILNS1_3genE2ELNS1_11target_archE906ELNS1_3gpuE6ELNS1_3repE0EEENS1_30default_config_static_selectorELNS0_4arch9wavefront6targetE0EEEvS10_
    .private_segment_fixed_size: 0
    .sgpr_count:     0
    .sgpr_spill_count: 0
    .symbol:         _ZN7rocprim17ROCPRIM_400000_NS6detail17trampoline_kernelINS0_14default_configENS1_21merge_config_selectorINS0_5tupleIJxxEEENS0_10empty_typeEEEZNS1_10merge_implIS3_NS0_12zip_iteratorINS5_IJN6thrust23THRUST_200600_302600_NS6detail15normal_iteratorINSC_10device_ptrIKxEEEESI_EEEEESK_NSA_INS5_IJNSE_INSF_IxEEEESM_EEEEEPS7_SP_SP_NSC_11hip_rocprim7__merge17predicate_wrapperIxxNSC_7greaterIxEEEEEE10hipError_tPvRmT0_T1_T2_T3_T4_T5_mmT6_P12ihipStream_tbEUlT_E0_NS1_11comp_targetILNS1_3genE2ELNS1_11target_archE906ELNS1_3gpuE6ELNS1_3repE0EEENS1_30default_config_static_selectorELNS0_4arch9wavefront6targetE0EEEvS10_.kd
    .uniform_work_group_size: 1
    .uses_dynamic_stack: false
    .vgpr_count:     0
    .vgpr_spill_count: 0
    .wavefront_size: 32
    .workgroup_processor_mode: 1
  - .args:
      - .offset:         0
        .size:           112
        .value_kind:     by_value
    .group_segment_fixed_size: 0
    .kernarg_segment_align: 8
    .kernarg_segment_size: 112
    .language:       OpenCL C
    .language_version:
      - 2
      - 0
    .max_flat_workgroup_size: 512
    .name:           _ZN7rocprim17ROCPRIM_400000_NS6detail17trampoline_kernelINS0_14default_configENS1_21merge_config_selectorINS0_5tupleIJxxEEENS0_10empty_typeEEEZNS1_10merge_implIS3_NS0_12zip_iteratorINS5_IJN6thrust23THRUST_200600_302600_NS6detail15normal_iteratorINSC_10device_ptrIKxEEEESI_EEEEESK_NSA_INS5_IJNSE_INSF_IxEEEESM_EEEEEPS7_SP_SP_NSC_11hip_rocprim7__merge17predicate_wrapperIxxNSC_7greaterIxEEEEEE10hipError_tPvRmT0_T1_T2_T3_T4_T5_mmT6_P12ihipStream_tbEUlT_E0_NS1_11comp_targetILNS1_3genE10ELNS1_11target_archE1201ELNS1_3gpuE5ELNS1_3repE0EEENS1_30default_config_static_selectorELNS0_4arch9wavefront6targetE0EEEvS10_
    .private_segment_fixed_size: 0
    .sgpr_count:     0
    .sgpr_spill_count: 0
    .symbol:         _ZN7rocprim17ROCPRIM_400000_NS6detail17trampoline_kernelINS0_14default_configENS1_21merge_config_selectorINS0_5tupleIJxxEEENS0_10empty_typeEEEZNS1_10merge_implIS3_NS0_12zip_iteratorINS5_IJN6thrust23THRUST_200600_302600_NS6detail15normal_iteratorINSC_10device_ptrIKxEEEESI_EEEEESK_NSA_INS5_IJNSE_INSF_IxEEEESM_EEEEEPS7_SP_SP_NSC_11hip_rocprim7__merge17predicate_wrapperIxxNSC_7greaterIxEEEEEE10hipError_tPvRmT0_T1_T2_T3_T4_T5_mmT6_P12ihipStream_tbEUlT_E0_NS1_11comp_targetILNS1_3genE10ELNS1_11target_archE1201ELNS1_3gpuE5ELNS1_3repE0EEENS1_30default_config_static_selectorELNS0_4arch9wavefront6targetE0EEEvS10_.kd
    .uniform_work_group_size: 1
    .uses_dynamic_stack: false
    .vgpr_count:     0
    .vgpr_spill_count: 0
    .wavefront_size: 32
    .workgroup_processor_mode: 1
  - .args:
      - .offset:         0
        .size:           112
        .value_kind:     by_value
    .group_segment_fixed_size: 0
    .kernarg_segment_align: 8
    .kernarg_segment_size: 112
    .language:       OpenCL C
    .language_version:
      - 2
      - 0
    .max_flat_workgroup_size: 256
    .name:           _ZN7rocprim17ROCPRIM_400000_NS6detail17trampoline_kernelINS0_14default_configENS1_21merge_config_selectorINS0_5tupleIJxxEEENS0_10empty_typeEEEZNS1_10merge_implIS3_NS0_12zip_iteratorINS5_IJN6thrust23THRUST_200600_302600_NS6detail15normal_iteratorINSC_10device_ptrIKxEEEESI_EEEEESK_NSA_INS5_IJNSE_INSF_IxEEEESM_EEEEEPS7_SP_SP_NSC_11hip_rocprim7__merge17predicate_wrapperIxxNSC_7greaterIxEEEEEE10hipError_tPvRmT0_T1_T2_T3_T4_T5_mmT6_P12ihipStream_tbEUlT_E0_NS1_11comp_targetILNS1_3genE10ELNS1_11target_archE1200ELNS1_3gpuE4ELNS1_3repE0EEENS1_30default_config_static_selectorELNS0_4arch9wavefront6targetE0EEEvS10_
    .private_segment_fixed_size: 0
    .sgpr_count:     0
    .sgpr_spill_count: 0
    .symbol:         _ZN7rocprim17ROCPRIM_400000_NS6detail17trampoline_kernelINS0_14default_configENS1_21merge_config_selectorINS0_5tupleIJxxEEENS0_10empty_typeEEEZNS1_10merge_implIS3_NS0_12zip_iteratorINS5_IJN6thrust23THRUST_200600_302600_NS6detail15normal_iteratorINSC_10device_ptrIKxEEEESI_EEEEESK_NSA_INS5_IJNSE_INSF_IxEEEESM_EEEEEPS7_SP_SP_NSC_11hip_rocprim7__merge17predicate_wrapperIxxNSC_7greaterIxEEEEEE10hipError_tPvRmT0_T1_T2_T3_T4_T5_mmT6_P12ihipStream_tbEUlT_E0_NS1_11comp_targetILNS1_3genE10ELNS1_11target_archE1200ELNS1_3gpuE4ELNS1_3repE0EEENS1_30default_config_static_selectorELNS0_4arch9wavefront6targetE0EEEvS10_.kd
    .uniform_work_group_size: 1
    .uses_dynamic_stack: false
    .vgpr_count:     0
    .vgpr_spill_count: 0
    .wavefront_size: 32
    .workgroup_processor_mode: 1
  - .args:
      - .offset:         0
        .size:           112
        .value_kind:     by_value
    .group_segment_fixed_size: 0
    .kernarg_segment_align: 8
    .kernarg_segment_size: 112
    .language:       OpenCL C
    .language_version:
      - 2
      - 0
    .max_flat_workgroup_size: 1024
    .name:           _ZN7rocprim17ROCPRIM_400000_NS6detail17trampoline_kernelINS0_14default_configENS1_21merge_config_selectorINS0_5tupleIJxxEEENS0_10empty_typeEEEZNS1_10merge_implIS3_NS0_12zip_iteratorINS5_IJN6thrust23THRUST_200600_302600_NS6detail15normal_iteratorINSC_10device_ptrIKxEEEESI_EEEEESK_NSA_INS5_IJNSE_INSF_IxEEEESM_EEEEEPS7_SP_SP_NSC_11hip_rocprim7__merge17predicate_wrapperIxxNSC_7greaterIxEEEEEE10hipError_tPvRmT0_T1_T2_T3_T4_T5_mmT6_P12ihipStream_tbEUlT_E0_NS1_11comp_targetILNS1_3genE9ELNS1_11target_archE1100ELNS1_3gpuE3ELNS1_3repE0EEENS1_30default_config_static_selectorELNS0_4arch9wavefront6targetE0EEEvS10_
    .private_segment_fixed_size: 0
    .sgpr_count:     0
    .sgpr_spill_count: 0
    .symbol:         _ZN7rocprim17ROCPRIM_400000_NS6detail17trampoline_kernelINS0_14default_configENS1_21merge_config_selectorINS0_5tupleIJxxEEENS0_10empty_typeEEEZNS1_10merge_implIS3_NS0_12zip_iteratorINS5_IJN6thrust23THRUST_200600_302600_NS6detail15normal_iteratorINSC_10device_ptrIKxEEEESI_EEEEESK_NSA_INS5_IJNSE_INSF_IxEEEESM_EEEEEPS7_SP_SP_NSC_11hip_rocprim7__merge17predicate_wrapperIxxNSC_7greaterIxEEEEEE10hipError_tPvRmT0_T1_T2_T3_T4_T5_mmT6_P12ihipStream_tbEUlT_E0_NS1_11comp_targetILNS1_3genE9ELNS1_11target_archE1100ELNS1_3gpuE3ELNS1_3repE0EEENS1_30default_config_static_selectorELNS0_4arch9wavefront6targetE0EEEvS10_.kd
    .uniform_work_group_size: 1
    .uses_dynamic_stack: false
    .vgpr_count:     0
    .vgpr_spill_count: 0
    .wavefront_size: 32
    .workgroup_processor_mode: 1
  - .args:
      - .offset:         0
        .size:           112
        .value_kind:     by_value
    .group_segment_fixed_size: 33792
    .kernarg_segment_align: 8
    .kernarg_segment_size: 112
    .language:       OpenCL C
    .language_version:
      - 2
      - 0
    .max_flat_workgroup_size: 256
    .name:           _ZN7rocprim17ROCPRIM_400000_NS6detail17trampoline_kernelINS0_14default_configENS1_21merge_config_selectorINS0_5tupleIJxxEEENS0_10empty_typeEEEZNS1_10merge_implIS3_NS0_12zip_iteratorINS5_IJN6thrust23THRUST_200600_302600_NS6detail15normal_iteratorINSC_10device_ptrIKxEEEESI_EEEEESK_NSA_INS5_IJNSE_INSF_IxEEEESM_EEEEEPS7_SP_SP_NSC_11hip_rocprim7__merge17predicate_wrapperIxxNSC_7greaterIxEEEEEE10hipError_tPvRmT0_T1_T2_T3_T4_T5_mmT6_P12ihipStream_tbEUlT_E0_NS1_11comp_targetILNS1_3genE8ELNS1_11target_archE1030ELNS1_3gpuE2ELNS1_3repE0EEENS1_30default_config_static_selectorELNS0_4arch9wavefront6targetE0EEEvS10_
    .private_segment_fixed_size: 0
    .sgpr_count:     28
    .sgpr_spill_count: 0
    .symbol:         _ZN7rocprim17ROCPRIM_400000_NS6detail17trampoline_kernelINS0_14default_configENS1_21merge_config_selectorINS0_5tupleIJxxEEENS0_10empty_typeEEEZNS1_10merge_implIS3_NS0_12zip_iteratorINS5_IJN6thrust23THRUST_200600_302600_NS6detail15normal_iteratorINSC_10device_ptrIKxEEEESI_EEEEESK_NSA_INS5_IJNSE_INSF_IxEEEESM_EEEEEPS7_SP_SP_NSC_11hip_rocprim7__merge17predicate_wrapperIxxNSC_7greaterIxEEEEEE10hipError_tPvRmT0_T1_T2_T3_T4_T5_mmT6_P12ihipStream_tbEUlT_E0_NS1_11comp_targetILNS1_3genE8ELNS1_11target_archE1030ELNS1_3gpuE2ELNS1_3repE0EEENS1_30default_config_static_selectorELNS0_4arch9wavefront6targetE0EEEvS10_.kd
    .uniform_work_group_size: 1
    .uses_dynamic_stack: false
    .vgpr_count:     63
    .vgpr_spill_count: 0
    .wavefront_size: 32
    .workgroup_processor_mode: 1
  - .args:
      - .offset:         0
        .size:           64
        .value_kind:     by_value
    .group_segment_fixed_size: 0
    .kernarg_segment_align: 8
    .kernarg_segment_size: 64
    .language:       OpenCL C
    .language_version:
      - 2
      - 0
    .max_flat_workgroup_size: 256
    .name:           _ZN7rocprim17ROCPRIM_400000_NS6detail17trampoline_kernelINS0_14default_configENS1_21merge_config_selectorINS0_5tupleIJiiEEENS0_10empty_typeEEEZNS1_10merge_implIS3_NS0_12zip_iteratorINS5_IJN6thrust23THRUST_200600_302600_NS6detail15normal_iteratorINSC_10device_ptrIKiEEEESI_EEEEESK_NSA_INS5_IJNSE_INSF_IiEEEESM_EEEEEPS7_SP_SP_NSC_11hip_rocprim7__merge17predicate_wrapperIiiNSC_7greaterIiEEEEEE10hipError_tPvRmT0_T1_T2_T3_T4_T5_mmT6_P12ihipStream_tbEUlT_E_NS1_11comp_targetILNS1_3genE0ELNS1_11target_archE4294967295ELNS1_3gpuE0ELNS1_3repE0EEENS1_30default_config_static_selectorELNS0_4arch9wavefront6targetE0EEEvS10_
    .private_segment_fixed_size: 0
    .sgpr_count:     0
    .sgpr_spill_count: 0
    .symbol:         _ZN7rocprim17ROCPRIM_400000_NS6detail17trampoline_kernelINS0_14default_configENS1_21merge_config_selectorINS0_5tupleIJiiEEENS0_10empty_typeEEEZNS1_10merge_implIS3_NS0_12zip_iteratorINS5_IJN6thrust23THRUST_200600_302600_NS6detail15normal_iteratorINSC_10device_ptrIKiEEEESI_EEEEESK_NSA_INS5_IJNSE_INSF_IiEEEESM_EEEEEPS7_SP_SP_NSC_11hip_rocprim7__merge17predicate_wrapperIiiNSC_7greaterIiEEEEEE10hipError_tPvRmT0_T1_T2_T3_T4_T5_mmT6_P12ihipStream_tbEUlT_E_NS1_11comp_targetILNS1_3genE0ELNS1_11target_archE4294967295ELNS1_3gpuE0ELNS1_3repE0EEENS1_30default_config_static_selectorELNS0_4arch9wavefront6targetE0EEEvS10_.kd
    .uniform_work_group_size: 1
    .uses_dynamic_stack: false
    .vgpr_count:     0
    .vgpr_spill_count: 0
    .wavefront_size: 32
    .workgroup_processor_mode: 1
  - .args:
      - .offset:         0
        .size:           64
        .value_kind:     by_value
    .group_segment_fixed_size: 0
    .kernarg_segment_align: 8
    .kernarg_segment_size: 64
    .language:       OpenCL C
    .language_version:
      - 2
      - 0
    .max_flat_workgroup_size: 256
    .name:           _ZN7rocprim17ROCPRIM_400000_NS6detail17trampoline_kernelINS0_14default_configENS1_21merge_config_selectorINS0_5tupleIJiiEEENS0_10empty_typeEEEZNS1_10merge_implIS3_NS0_12zip_iteratorINS5_IJN6thrust23THRUST_200600_302600_NS6detail15normal_iteratorINSC_10device_ptrIKiEEEESI_EEEEESK_NSA_INS5_IJNSE_INSF_IiEEEESM_EEEEEPS7_SP_SP_NSC_11hip_rocprim7__merge17predicate_wrapperIiiNSC_7greaterIiEEEEEE10hipError_tPvRmT0_T1_T2_T3_T4_T5_mmT6_P12ihipStream_tbEUlT_E_NS1_11comp_targetILNS1_3genE5ELNS1_11target_archE942ELNS1_3gpuE9ELNS1_3repE0EEENS1_30default_config_static_selectorELNS0_4arch9wavefront6targetE0EEEvS10_
    .private_segment_fixed_size: 0
    .sgpr_count:     0
    .sgpr_spill_count: 0
    .symbol:         _ZN7rocprim17ROCPRIM_400000_NS6detail17trampoline_kernelINS0_14default_configENS1_21merge_config_selectorINS0_5tupleIJiiEEENS0_10empty_typeEEEZNS1_10merge_implIS3_NS0_12zip_iteratorINS5_IJN6thrust23THRUST_200600_302600_NS6detail15normal_iteratorINSC_10device_ptrIKiEEEESI_EEEEESK_NSA_INS5_IJNSE_INSF_IiEEEESM_EEEEEPS7_SP_SP_NSC_11hip_rocprim7__merge17predicate_wrapperIiiNSC_7greaterIiEEEEEE10hipError_tPvRmT0_T1_T2_T3_T4_T5_mmT6_P12ihipStream_tbEUlT_E_NS1_11comp_targetILNS1_3genE5ELNS1_11target_archE942ELNS1_3gpuE9ELNS1_3repE0EEENS1_30default_config_static_selectorELNS0_4arch9wavefront6targetE0EEEvS10_.kd
    .uniform_work_group_size: 1
    .uses_dynamic_stack: false
    .vgpr_count:     0
    .vgpr_spill_count: 0
    .wavefront_size: 32
    .workgroup_processor_mode: 1
  - .args:
      - .offset:         0
        .size:           64
        .value_kind:     by_value
    .group_segment_fixed_size: 0
    .kernarg_segment_align: 8
    .kernarg_segment_size: 64
    .language:       OpenCL C
    .language_version:
      - 2
      - 0
    .max_flat_workgroup_size: 256
    .name:           _ZN7rocprim17ROCPRIM_400000_NS6detail17trampoline_kernelINS0_14default_configENS1_21merge_config_selectorINS0_5tupleIJiiEEENS0_10empty_typeEEEZNS1_10merge_implIS3_NS0_12zip_iteratorINS5_IJN6thrust23THRUST_200600_302600_NS6detail15normal_iteratorINSC_10device_ptrIKiEEEESI_EEEEESK_NSA_INS5_IJNSE_INSF_IiEEEESM_EEEEEPS7_SP_SP_NSC_11hip_rocprim7__merge17predicate_wrapperIiiNSC_7greaterIiEEEEEE10hipError_tPvRmT0_T1_T2_T3_T4_T5_mmT6_P12ihipStream_tbEUlT_E_NS1_11comp_targetILNS1_3genE4ELNS1_11target_archE910ELNS1_3gpuE8ELNS1_3repE0EEENS1_30default_config_static_selectorELNS0_4arch9wavefront6targetE0EEEvS10_
    .private_segment_fixed_size: 0
    .sgpr_count:     0
    .sgpr_spill_count: 0
    .symbol:         _ZN7rocprim17ROCPRIM_400000_NS6detail17trampoline_kernelINS0_14default_configENS1_21merge_config_selectorINS0_5tupleIJiiEEENS0_10empty_typeEEEZNS1_10merge_implIS3_NS0_12zip_iteratorINS5_IJN6thrust23THRUST_200600_302600_NS6detail15normal_iteratorINSC_10device_ptrIKiEEEESI_EEEEESK_NSA_INS5_IJNSE_INSF_IiEEEESM_EEEEEPS7_SP_SP_NSC_11hip_rocprim7__merge17predicate_wrapperIiiNSC_7greaterIiEEEEEE10hipError_tPvRmT0_T1_T2_T3_T4_T5_mmT6_P12ihipStream_tbEUlT_E_NS1_11comp_targetILNS1_3genE4ELNS1_11target_archE910ELNS1_3gpuE8ELNS1_3repE0EEENS1_30default_config_static_selectorELNS0_4arch9wavefront6targetE0EEEvS10_.kd
    .uniform_work_group_size: 1
    .uses_dynamic_stack: false
    .vgpr_count:     0
    .vgpr_spill_count: 0
    .wavefront_size: 32
    .workgroup_processor_mode: 1
  - .args:
      - .offset:         0
        .size:           64
        .value_kind:     by_value
    .group_segment_fixed_size: 0
    .kernarg_segment_align: 8
    .kernarg_segment_size: 64
    .language:       OpenCL C
    .language_version:
      - 2
      - 0
    .max_flat_workgroup_size: 256
    .name:           _ZN7rocprim17ROCPRIM_400000_NS6detail17trampoline_kernelINS0_14default_configENS1_21merge_config_selectorINS0_5tupleIJiiEEENS0_10empty_typeEEEZNS1_10merge_implIS3_NS0_12zip_iteratorINS5_IJN6thrust23THRUST_200600_302600_NS6detail15normal_iteratorINSC_10device_ptrIKiEEEESI_EEEEESK_NSA_INS5_IJNSE_INSF_IiEEEESM_EEEEEPS7_SP_SP_NSC_11hip_rocprim7__merge17predicate_wrapperIiiNSC_7greaterIiEEEEEE10hipError_tPvRmT0_T1_T2_T3_T4_T5_mmT6_P12ihipStream_tbEUlT_E_NS1_11comp_targetILNS1_3genE3ELNS1_11target_archE908ELNS1_3gpuE7ELNS1_3repE0EEENS1_30default_config_static_selectorELNS0_4arch9wavefront6targetE0EEEvS10_
    .private_segment_fixed_size: 0
    .sgpr_count:     0
    .sgpr_spill_count: 0
    .symbol:         _ZN7rocprim17ROCPRIM_400000_NS6detail17trampoline_kernelINS0_14default_configENS1_21merge_config_selectorINS0_5tupleIJiiEEENS0_10empty_typeEEEZNS1_10merge_implIS3_NS0_12zip_iteratorINS5_IJN6thrust23THRUST_200600_302600_NS6detail15normal_iteratorINSC_10device_ptrIKiEEEESI_EEEEESK_NSA_INS5_IJNSE_INSF_IiEEEESM_EEEEEPS7_SP_SP_NSC_11hip_rocprim7__merge17predicate_wrapperIiiNSC_7greaterIiEEEEEE10hipError_tPvRmT0_T1_T2_T3_T4_T5_mmT6_P12ihipStream_tbEUlT_E_NS1_11comp_targetILNS1_3genE3ELNS1_11target_archE908ELNS1_3gpuE7ELNS1_3repE0EEENS1_30default_config_static_selectorELNS0_4arch9wavefront6targetE0EEEvS10_.kd
    .uniform_work_group_size: 1
    .uses_dynamic_stack: false
    .vgpr_count:     0
    .vgpr_spill_count: 0
    .wavefront_size: 32
    .workgroup_processor_mode: 1
  - .args:
      - .offset:         0
        .size:           64
        .value_kind:     by_value
    .group_segment_fixed_size: 0
    .kernarg_segment_align: 8
    .kernarg_segment_size: 64
    .language:       OpenCL C
    .language_version:
      - 2
      - 0
    .max_flat_workgroup_size: 256
    .name:           _ZN7rocprim17ROCPRIM_400000_NS6detail17trampoline_kernelINS0_14default_configENS1_21merge_config_selectorINS0_5tupleIJiiEEENS0_10empty_typeEEEZNS1_10merge_implIS3_NS0_12zip_iteratorINS5_IJN6thrust23THRUST_200600_302600_NS6detail15normal_iteratorINSC_10device_ptrIKiEEEESI_EEEEESK_NSA_INS5_IJNSE_INSF_IiEEEESM_EEEEEPS7_SP_SP_NSC_11hip_rocprim7__merge17predicate_wrapperIiiNSC_7greaterIiEEEEEE10hipError_tPvRmT0_T1_T2_T3_T4_T5_mmT6_P12ihipStream_tbEUlT_E_NS1_11comp_targetILNS1_3genE2ELNS1_11target_archE906ELNS1_3gpuE6ELNS1_3repE0EEENS1_30default_config_static_selectorELNS0_4arch9wavefront6targetE0EEEvS10_
    .private_segment_fixed_size: 0
    .sgpr_count:     0
    .sgpr_spill_count: 0
    .symbol:         _ZN7rocprim17ROCPRIM_400000_NS6detail17trampoline_kernelINS0_14default_configENS1_21merge_config_selectorINS0_5tupleIJiiEEENS0_10empty_typeEEEZNS1_10merge_implIS3_NS0_12zip_iteratorINS5_IJN6thrust23THRUST_200600_302600_NS6detail15normal_iteratorINSC_10device_ptrIKiEEEESI_EEEEESK_NSA_INS5_IJNSE_INSF_IiEEEESM_EEEEEPS7_SP_SP_NSC_11hip_rocprim7__merge17predicate_wrapperIiiNSC_7greaterIiEEEEEE10hipError_tPvRmT0_T1_T2_T3_T4_T5_mmT6_P12ihipStream_tbEUlT_E_NS1_11comp_targetILNS1_3genE2ELNS1_11target_archE906ELNS1_3gpuE6ELNS1_3repE0EEENS1_30default_config_static_selectorELNS0_4arch9wavefront6targetE0EEEvS10_.kd
    .uniform_work_group_size: 1
    .uses_dynamic_stack: false
    .vgpr_count:     0
    .vgpr_spill_count: 0
    .wavefront_size: 32
    .workgroup_processor_mode: 1
  - .args:
      - .offset:         0
        .size:           64
        .value_kind:     by_value
    .group_segment_fixed_size: 0
    .kernarg_segment_align: 8
    .kernarg_segment_size: 64
    .language:       OpenCL C
    .language_version:
      - 2
      - 0
    .max_flat_workgroup_size: 512
    .name:           _ZN7rocprim17ROCPRIM_400000_NS6detail17trampoline_kernelINS0_14default_configENS1_21merge_config_selectorINS0_5tupleIJiiEEENS0_10empty_typeEEEZNS1_10merge_implIS3_NS0_12zip_iteratorINS5_IJN6thrust23THRUST_200600_302600_NS6detail15normal_iteratorINSC_10device_ptrIKiEEEESI_EEEEESK_NSA_INS5_IJNSE_INSF_IiEEEESM_EEEEEPS7_SP_SP_NSC_11hip_rocprim7__merge17predicate_wrapperIiiNSC_7greaterIiEEEEEE10hipError_tPvRmT0_T1_T2_T3_T4_T5_mmT6_P12ihipStream_tbEUlT_E_NS1_11comp_targetILNS1_3genE10ELNS1_11target_archE1201ELNS1_3gpuE5ELNS1_3repE0EEENS1_30default_config_static_selectorELNS0_4arch9wavefront6targetE0EEEvS10_
    .private_segment_fixed_size: 0
    .sgpr_count:     0
    .sgpr_spill_count: 0
    .symbol:         _ZN7rocprim17ROCPRIM_400000_NS6detail17trampoline_kernelINS0_14default_configENS1_21merge_config_selectorINS0_5tupleIJiiEEENS0_10empty_typeEEEZNS1_10merge_implIS3_NS0_12zip_iteratorINS5_IJN6thrust23THRUST_200600_302600_NS6detail15normal_iteratorINSC_10device_ptrIKiEEEESI_EEEEESK_NSA_INS5_IJNSE_INSF_IiEEEESM_EEEEEPS7_SP_SP_NSC_11hip_rocprim7__merge17predicate_wrapperIiiNSC_7greaterIiEEEEEE10hipError_tPvRmT0_T1_T2_T3_T4_T5_mmT6_P12ihipStream_tbEUlT_E_NS1_11comp_targetILNS1_3genE10ELNS1_11target_archE1201ELNS1_3gpuE5ELNS1_3repE0EEENS1_30default_config_static_selectorELNS0_4arch9wavefront6targetE0EEEvS10_.kd
    .uniform_work_group_size: 1
    .uses_dynamic_stack: false
    .vgpr_count:     0
    .vgpr_spill_count: 0
    .wavefront_size: 32
    .workgroup_processor_mode: 1
  - .args:
      - .offset:         0
        .size:           64
        .value_kind:     by_value
    .group_segment_fixed_size: 0
    .kernarg_segment_align: 8
    .kernarg_segment_size: 64
    .language:       OpenCL C
    .language_version:
      - 2
      - 0
    .max_flat_workgroup_size: 1024
    .name:           _ZN7rocprim17ROCPRIM_400000_NS6detail17trampoline_kernelINS0_14default_configENS1_21merge_config_selectorINS0_5tupleIJiiEEENS0_10empty_typeEEEZNS1_10merge_implIS3_NS0_12zip_iteratorINS5_IJN6thrust23THRUST_200600_302600_NS6detail15normal_iteratorINSC_10device_ptrIKiEEEESI_EEEEESK_NSA_INS5_IJNSE_INSF_IiEEEESM_EEEEEPS7_SP_SP_NSC_11hip_rocprim7__merge17predicate_wrapperIiiNSC_7greaterIiEEEEEE10hipError_tPvRmT0_T1_T2_T3_T4_T5_mmT6_P12ihipStream_tbEUlT_E_NS1_11comp_targetILNS1_3genE10ELNS1_11target_archE1200ELNS1_3gpuE4ELNS1_3repE0EEENS1_30default_config_static_selectorELNS0_4arch9wavefront6targetE0EEEvS10_
    .private_segment_fixed_size: 0
    .sgpr_count:     0
    .sgpr_spill_count: 0
    .symbol:         _ZN7rocprim17ROCPRIM_400000_NS6detail17trampoline_kernelINS0_14default_configENS1_21merge_config_selectorINS0_5tupleIJiiEEENS0_10empty_typeEEEZNS1_10merge_implIS3_NS0_12zip_iteratorINS5_IJN6thrust23THRUST_200600_302600_NS6detail15normal_iteratorINSC_10device_ptrIKiEEEESI_EEEEESK_NSA_INS5_IJNSE_INSF_IiEEEESM_EEEEEPS7_SP_SP_NSC_11hip_rocprim7__merge17predicate_wrapperIiiNSC_7greaterIiEEEEEE10hipError_tPvRmT0_T1_T2_T3_T4_T5_mmT6_P12ihipStream_tbEUlT_E_NS1_11comp_targetILNS1_3genE10ELNS1_11target_archE1200ELNS1_3gpuE4ELNS1_3repE0EEENS1_30default_config_static_selectorELNS0_4arch9wavefront6targetE0EEEvS10_.kd
    .uniform_work_group_size: 1
    .uses_dynamic_stack: false
    .vgpr_count:     0
    .vgpr_spill_count: 0
    .wavefront_size: 32
    .workgroup_processor_mode: 1
  - .args:
      - .offset:         0
        .size:           64
        .value_kind:     by_value
    .group_segment_fixed_size: 0
    .kernarg_segment_align: 8
    .kernarg_segment_size: 64
    .language:       OpenCL C
    .language_version:
      - 2
      - 0
    .max_flat_workgroup_size: 1024
    .name:           _ZN7rocprim17ROCPRIM_400000_NS6detail17trampoline_kernelINS0_14default_configENS1_21merge_config_selectorINS0_5tupleIJiiEEENS0_10empty_typeEEEZNS1_10merge_implIS3_NS0_12zip_iteratorINS5_IJN6thrust23THRUST_200600_302600_NS6detail15normal_iteratorINSC_10device_ptrIKiEEEESI_EEEEESK_NSA_INS5_IJNSE_INSF_IiEEEESM_EEEEEPS7_SP_SP_NSC_11hip_rocprim7__merge17predicate_wrapperIiiNSC_7greaterIiEEEEEE10hipError_tPvRmT0_T1_T2_T3_T4_T5_mmT6_P12ihipStream_tbEUlT_E_NS1_11comp_targetILNS1_3genE9ELNS1_11target_archE1100ELNS1_3gpuE3ELNS1_3repE0EEENS1_30default_config_static_selectorELNS0_4arch9wavefront6targetE0EEEvS10_
    .private_segment_fixed_size: 0
    .sgpr_count:     0
    .sgpr_spill_count: 0
    .symbol:         _ZN7rocprim17ROCPRIM_400000_NS6detail17trampoline_kernelINS0_14default_configENS1_21merge_config_selectorINS0_5tupleIJiiEEENS0_10empty_typeEEEZNS1_10merge_implIS3_NS0_12zip_iteratorINS5_IJN6thrust23THRUST_200600_302600_NS6detail15normal_iteratorINSC_10device_ptrIKiEEEESI_EEEEESK_NSA_INS5_IJNSE_INSF_IiEEEESM_EEEEEPS7_SP_SP_NSC_11hip_rocprim7__merge17predicate_wrapperIiiNSC_7greaterIiEEEEEE10hipError_tPvRmT0_T1_T2_T3_T4_T5_mmT6_P12ihipStream_tbEUlT_E_NS1_11comp_targetILNS1_3genE9ELNS1_11target_archE1100ELNS1_3gpuE3ELNS1_3repE0EEENS1_30default_config_static_selectorELNS0_4arch9wavefront6targetE0EEEvS10_.kd
    .uniform_work_group_size: 1
    .uses_dynamic_stack: false
    .vgpr_count:     0
    .vgpr_spill_count: 0
    .wavefront_size: 32
    .workgroup_processor_mode: 1
  - .args:
      - .offset:         0
        .size:           64
        .value_kind:     by_value
      - .offset:         64
        .size:           4
        .value_kind:     hidden_block_count_x
      - .offset:         68
        .size:           4
        .value_kind:     hidden_block_count_y
      - .offset:         72
        .size:           4
        .value_kind:     hidden_block_count_z
      - .offset:         76
        .size:           2
        .value_kind:     hidden_group_size_x
      - .offset:         78
        .size:           2
        .value_kind:     hidden_group_size_y
      - .offset:         80
        .size:           2
        .value_kind:     hidden_group_size_z
      - .offset:         82
        .size:           2
        .value_kind:     hidden_remainder_x
      - .offset:         84
        .size:           2
        .value_kind:     hidden_remainder_y
      - .offset:         86
        .size:           2
        .value_kind:     hidden_remainder_z
      - .offset:         104
        .size:           8
        .value_kind:     hidden_global_offset_x
      - .offset:         112
        .size:           8
        .value_kind:     hidden_global_offset_y
      - .offset:         120
        .size:           8
        .value_kind:     hidden_global_offset_z
      - .offset:         128
        .size:           2
        .value_kind:     hidden_grid_dims
    .group_segment_fixed_size: 0
    .kernarg_segment_align: 8
    .kernarg_segment_size: 320
    .language:       OpenCL C
    .language_version:
      - 2
      - 0
    .max_flat_workgroup_size: 256
    .name:           _ZN7rocprim17ROCPRIM_400000_NS6detail17trampoline_kernelINS0_14default_configENS1_21merge_config_selectorINS0_5tupleIJiiEEENS0_10empty_typeEEEZNS1_10merge_implIS3_NS0_12zip_iteratorINS5_IJN6thrust23THRUST_200600_302600_NS6detail15normal_iteratorINSC_10device_ptrIKiEEEESI_EEEEESK_NSA_INS5_IJNSE_INSF_IiEEEESM_EEEEEPS7_SP_SP_NSC_11hip_rocprim7__merge17predicate_wrapperIiiNSC_7greaterIiEEEEEE10hipError_tPvRmT0_T1_T2_T3_T4_T5_mmT6_P12ihipStream_tbEUlT_E_NS1_11comp_targetILNS1_3genE8ELNS1_11target_archE1030ELNS1_3gpuE2ELNS1_3repE0EEENS1_30default_config_static_selectorELNS0_4arch9wavefront6targetE0EEEvS10_
    .private_segment_fixed_size: 0
    .sgpr_count:     18
    .sgpr_spill_count: 0
    .symbol:         _ZN7rocprim17ROCPRIM_400000_NS6detail17trampoline_kernelINS0_14default_configENS1_21merge_config_selectorINS0_5tupleIJiiEEENS0_10empty_typeEEEZNS1_10merge_implIS3_NS0_12zip_iteratorINS5_IJN6thrust23THRUST_200600_302600_NS6detail15normal_iteratorINSC_10device_ptrIKiEEEESI_EEEEESK_NSA_INS5_IJNSE_INSF_IiEEEESM_EEEEEPS7_SP_SP_NSC_11hip_rocprim7__merge17predicate_wrapperIiiNSC_7greaterIiEEEEEE10hipError_tPvRmT0_T1_T2_T3_T4_T5_mmT6_P12ihipStream_tbEUlT_E_NS1_11comp_targetILNS1_3genE8ELNS1_11target_archE1030ELNS1_3gpuE2ELNS1_3repE0EEENS1_30default_config_static_selectorELNS0_4arch9wavefront6targetE0EEEvS10_.kd
    .uniform_work_group_size: 1
    .uses_dynamic_stack: false
    .vgpr_count:     13
    .vgpr_spill_count: 0
    .wavefront_size: 32
    .workgroup_processor_mode: 1
  - .args:
      - .offset:         0
        .size:           112
        .value_kind:     by_value
    .group_segment_fixed_size: 0
    .kernarg_segment_align: 8
    .kernarg_segment_size: 112
    .language:       OpenCL C
    .language_version:
      - 2
      - 0
    .max_flat_workgroup_size: 256
    .name:           _ZN7rocprim17ROCPRIM_400000_NS6detail17trampoline_kernelINS0_14default_configENS1_21merge_config_selectorINS0_5tupleIJiiEEENS0_10empty_typeEEEZNS1_10merge_implIS3_NS0_12zip_iteratorINS5_IJN6thrust23THRUST_200600_302600_NS6detail15normal_iteratorINSC_10device_ptrIKiEEEESI_EEEEESK_NSA_INS5_IJNSE_INSF_IiEEEESM_EEEEEPS7_SP_SP_NSC_11hip_rocprim7__merge17predicate_wrapperIiiNSC_7greaterIiEEEEEE10hipError_tPvRmT0_T1_T2_T3_T4_T5_mmT6_P12ihipStream_tbEUlT_E0_NS1_11comp_targetILNS1_3genE0ELNS1_11target_archE4294967295ELNS1_3gpuE0ELNS1_3repE0EEENS1_30default_config_static_selectorELNS0_4arch9wavefront6targetE0EEEvS10_
    .private_segment_fixed_size: 0
    .sgpr_count:     0
    .sgpr_spill_count: 0
    .symbol:         _ZN7rocprim17ROCPRIM_400000_NS6detail17trampoline_kernelINS0_14default_configENS1_21merge_config_selectorINS0_5tupleIJiiEEENS0_10empty_typeEEEZNS1_10merge_implIS3_NS0_12zip_iteratorINS5_IJN6thrust23THRUST_200600_302600_NS6detail15normal_iteratorINSC_10device_ptrIKiEEEESI_EEEEESK_NSA_INS5_IJNSE_INSF_IiEEEESM_EEEEEPS7_SP_SP_NSC_11hip_rocprim7__merge17predicate_wrapperIiiNSC_7greaterIiEEEEEE10hipError_tPvRmT0_T1_T2_T3_T4_T5_mmT6_P12ihipStream_tbEUlT_E0_NS1_11comp_targetILNS1_3genE0ELNS1_11target_archE4294967295ELNS1_3gpuE0ELNS1_3repE0EEENS1_30default_config_static_selectorELNS0_4arch9wavefront6targetE0EEEvS10_.kd
    .uniform_work_group_size: 1
    .uses_dynamic_stack: false
    .vgpr_count:     0
    .vgpr_spill_count: 0
    .wavefront_size: 32
    .workgroup_processor_mode: 1
  - .args:
      - .offset:         0
        .size:           112
        .value_kind:     by_value
    .group_segment_fixed_size: 0
    .kernarg_segment_align: 8
    .kernarg_segment_size: 112
    .language:       OpenCL C
    .language_version:
      - 2
      - 0
    .max_flat_workgroup_size: 256
    .name:           _ZN7rocprim17ROCPRIM_400000_NS6detail17trampoline_kernelINS0_14default_configENS1_21merge_config_selectorINS0_5tupleIJiiEEENS0_10empty_typeEEEZNS1_10merge_implIS3_NS0_12zip_iteratorINS5_IJN6thrust23THRUST_200600_302600_NS6detail15normal_iteratorINSC_10device_ptrIKiEEEESI_EEEEESK_NSA_INS5_IJNSE_INSF_IiEEEESM_EEEEEPS7_SP_SP_NSC_11hip_rocprim7__merge17predicate_wrapperIiiNSC_7greaterIiEEEEEE10hipError_tPvRmT0_T1_T2_T3_T4_T5_mmT6_P12ihipStream_tbEUlT_E0_NS1_11comp_targetILNS1_3genE5ELNS1_11target_archE942ELNS1_3gpuE9ELNS1_3repE0EEENS1_30default_config_static_selectorELNS0_4arch9wavefront6targetE0EEEvS10_
    .private_segment_fixed_size: 0
    .sgpr_count:     0
    .sgpr_spill_count: 0
    .symbol:         _ZN7rocprim17ROCPRIM_400000_NS6detail17trampoline_kernelINS0_14default_configENS1_21merge_config_selectorINS0_5tupleIJiiEEENS0_10empty_typeEEEZNS1_10merge_implIS3_NS0_12zip_iteratorINS5_IJN6thrust23THRUST_200600_302600_NS6detail15normal_iteratorINSC_10device_ptrIKiEEEESI_EEEEESK_NSA_INS5_IJNSE_INSF_IiEEEESM_EEEEEPS7_SP_SP_NSC_11hip_rocprim7__merge17predicate_wrapperIiiNSC_7greaterIiEEEEEE10hipError_tPvRmT0_T1_T2_T3_T4_T5_mmT6_P12ihipStream_tbEUlT_E0_NS1_11comp_targetILNS1_3genE5ELNS1_11target_archE942ELNS1_3gpuE9ELNS1_3repE0EEENS1_30default_config_static_selectorELNS0_4arch9wavefront6targetE0EEEvS10_.kd
    .uniform_work_group_size: 1
    .uses_dynamic_stack: false
    .vgpr_count:     0
    .vgpr_spill_count: 0
    .wavefront_size: 32
    .workgroup_processor_mode: 1
  - .args:
      - .offset:         0
        .size:           112
        .value_kind:     by_value
    .group_segment_fixed_size: 0
    .kernarg_segment_align: 8
    .kernarg_segment_size: 112
    .language:       OpenCL C
    .language_version:
      - 2
      - 0
    .max_flat_workgroup_size: 256
    .name:           _ZN7rocprim17ROCPRIM_400000_NS6detail17trampoline_kernelINS0_14default_configENS1_21merge_config_selectorINS0_5tupleIJiiEEENS0_10empty_typeEEEZNS1_10merge_implIS3_NS0_12zip_iteratorINS5_IJN6thrust23THRUST_200600_302600_NS6detail15normal_iteratorINSC_10device_ptrIKiEEEESI_EEEEESK_NSA_INS5_IJNSE_INSF_IiEEEESM_EEEEEPS7_SP_SP_NSC_11hip_rocprim7__merge17predicate_wrapperIiiNSC_7greaterIiEEEEEE10hipError_tPvRmT0_T1_T2_T3_T4_T5_mmT6_P12ihipStream_tbEUlT_E0_NS1_11comp_targetILNS1_3genE4ELNS1_11target_archE910ELNS1_3gpuE8ELNS1_3repE0EEENS1_30default_config_static_selectorELNS0_4arch9wavefront6targetE0EEEvS10_
    .private_segment_fixed_size: 0
    .sgpr_count:     0
    .sgpr_spill_count: 0
    .symbol:         _ZN7rocprim17ROCPRIM_400000_NS6detail17trampoline_kernelINS0_14default_configENS1_21merge_config_selectorINS0_5tupleIJiiEEENS0_10empty_typeEEEZNS1_10merge_implIS3_NS0_12zip_iteratorINS5_IJN6thrust23THRUST_200600_302600_NS6detail15normal_iteratorINSC_10device_ptrIKiEEEESI_EEEEESK_NSA_INS5_IJNSE_INSF_IiEEEESM_EEEEEPS7_SP_SP_NSC_11hip_rocprim7__merge17predicate_wrapperIiiNSC_7greaterIiEEEEEE10hipError_tPvRmT0_T1_T2_T3_T4_T5_mmT6_P12ihipStream_tbEUlT_E0_NS1_11comp_targetILNS1_3genE4ELNS1_11target_archE910ELNS1_3gpuE8ELNS1_3repE0EEENS1_30default_config_static_selectorELNS0_4arch9wavefront6targetE0EEEvS10_.kd
    .uniform_work_group_size: 1
    .uses_dynamic_stack: false
    .vgpr_count:     0
    .vgpr_spill_count: 0
    .wavefront_size: 32
    .workgroup_processor_mode: 1
  - .args:
      - .offset:         0
        .size:           112
        .value_kind:     by_value
    .group_segment_fixed_size: 0
    .kernarg_segment_align: 8
    .kernarg_segment_size: 112
    .language:       OpenCL C
    .language_version:
      - 2
      - 0
    .max_flat_workgroup_size: 256
    .name:           _ZN7rocprim17ROCPRIM_400000_NS6detail17trampoline_kernelINS0_14default_configENS1_21merge_config_selectorINS0_5tupleIJiiEEENS0_10empty_typeEEEZNS1_10merge_implIS3_NS0_12zip_iteratorINS5_IJN6thrust23THRUST_200600_302600_NS6detail15normal_iteratorINSC_10device_ptrIKiEEEESI_EEEEESK_NSA_INS5_IJNSE_INSF_IiEEEESM_EEEEEPS7_SP_SP_NSC_11hip_rocprim7__merge17predicate_wrapperIiiNSC_7greaterIiEEEEEE10hipError_tPvRmT0_T1_T2_T3_T4_T5_mmT6_P12ihipStream_tbEUlT_E0_NS1_11comp_targetILNS1_3genE3ELNS1_11target_archE908ELNS1_3gpuE7ELNS1_3repE0EEENS1_30default_config_static_selectorELNS0_4arch9wavefront6targetE0EEEvS10_
    .private_segment_fixed_size: 0
    .sgpr_count:     0
    .sgpr_spill_count: 0
    .symbol:         _ZN7rocprim17ROCPRIM_400000_NS6detail17trampoline_kernelINS0_14default_configENS1_21merge_config_selectorINS0_5tupleIJiiEEENS0_10empty_typeEEEZNS1_10merge_implIS3_NS0_12zip_iteratorINS5_IJN6thrust23THRUST_200600_302600_NS6detail15normal_iteratorINSC_10device_ptrIKiEEEESI_EEEEESK_NSA_INS5_IJNSE_INSF_IiEEEESM_EEEEEPS7_SP_SP_NSC_11hip_rocprim7__merge17predicate_wrapperIiiNSC_7greaterIiEEEEEE10hipError_tPvRmT0_T1_T2_T3_T4_T5_mmT6_P12ihipStream_tbEUlT_E0_NS1_11comp_targetILNS1_3genE3ELNS1_11target_archE908ELNS1_3gpuE7ELNS1_3repE0EEENS1_30default_config_static_selectorELNS0_4arch9wavefront6targetE0EEEvS10_.kd
    .uniform_work_group_size: 1
    .uses_dynamic_stack: false
    .vgpr_count:     0
    .vgpr_spill_count: 0
    .wavefront_size: 32
    .workgroup_processor_mode: 1
  - .args:
      - .offset:         0
        .size:           112
        .value_kind:     by_value
    .group_segment_fixed_size: 0
    .kernarg_segment_align: 8
    .kernarg_segment_size: 112
    .language:       OpenCL C
    .language_version:
      - 2
      - 0
    .max_flat_workgroup_size: 256
    .name:           _ZN7rocprim17ROCPRIM_400000_NS6detail17trampoline_kernelINS0_14default_configENS1_21merge_config_selectorINS0_5tupleIJiiEEENS0_10empty_typeEEEZNS1_10merge_implIS3_NS0_12zip_iteratorINS5_IJN6thrust23THRUST_200600_302600_NS6detail15normal_iteratorINSC_10device_ptrIKiEEEESI_EEEEESK_NSA_INS5_IJNSE_INSF_IiEEEESM_EEEEEPS7_SP_SP_NSC_11hip_rocprim7__merge17predicate_wrapperIiiNSC_7greaterIiEEEEEE10hipError_tPvRmT0_T1_T2_T3_T4_T5_mmT6_P12ihipStream_tbEUlT_E0_NS1_11comp_targetILNS1_3genE2ELNS1_11target_archE906ELNS1_3gpuE6ELNS1_3repE0EEENS1_30default_config_static_selectorELNS0_4arch9wavefront6targetE0EEEvS10_
    .private_segment_fixed_size: 0
    .sgpr_count:     0
    .sgpr_spill_count: 0
    .symbol:         _ZN7rocprim17ROCPRIM_400000_NS6detail17trampoline_kernelINS0_14default_configENS1_21merge_config_selectorINS0_5tupleIJiiEEENS0_10empty_typeEEEZNS1_10merge_implIS3_NS0_12zip_iteratorINS5_IJN6thrust23THRUST_200600_302600_NS6detail15normal_iteratorINSC_10device_ptrIKiEEEESI_EEEEESK_NSA_INS5_IJNSE_INSF_IiEEEESM_EEEEEPS7_SP_SP_NSC_11hip_rocprim7__merge17predicate_wrapperIiiNSC_7greaterIiEEEEEE10hipError_tPvRmT0_T1_T2_T3_T4_T5_mmT6_P12ihipStream_tbEUlT_E0_NS1_11comp_targetILNS1_3genE2ELNS1_11target_archE906ELNS1_3gpuE6ELNS1_3repE0EEENS1_30default_config_static_selectorELNS0_4arch9wavefront6targetE0EEEvS10_.kd
    .uniform_work_group_size: 1
    .uses_dynamic_stack: false
    .vgpr_count:     0
    .vgpr_spill_count: 0
    .wavefront_size: 32
    .workgroup_processor_mode: 1
  - .args:
      - .offset:         0
        .size:           112
        .value_kind:     by_value
    .group_segment_fixed_size: 0
    .kernarg_segment_align: 8
    .kernarg_segment_size: 112
    .language:       OpenCL C
    .language_version:
      - 2
      - 0
    .max_flat_workgroup_size: 512
    .name:           _ZN7rocprim17ROCPRIM_400000_NS6detail17trampoline_kernelINS0_14default_configENS1_21merge_config_selectorINS0_5tupleIJiiEEENS0_10empty_typeEEEZNS1_10merge_implIS3_NS0_12zip_iteratorINS5_IJN6thrust23THRUST_200600_302600_NS6detail15normal_iteratorINSC_10device_ptrIKiEEEESI_EEEEESK_NSA_INS5_IJNSE_INSF_IiEEEESM_EEEEEPS7_SP_SP_NSC_11hip_rocprim7__merge17predicate_wrapperIiiNSC_7greaterIiEEEEEE10hipError_tPvRmT0_T1_T2_T3_T4_T5_mmT6_P12ihipStream_tbEUlT_E0_NS1_11comp_targetILNS1_3genE10ELNS1_11target_archE1201ELNS1_3gpuE5ELNS1_3repE0EEENS1_30default_config_static_selectorELNS0_4arch9wavefront6targetE0EEEvS10_
    .private_segment_fixed_size: 0
    .sgpr_count:     0
    .sgpr_spill_count: 0
    .symbol:         _ZN7rocprim17ROCPRIM_400000_NS6detail17trampoline_kernelINS0_14default_configENS1_21merge_config_selectorINS0_5tupleIJiiEEENS0_10empty_typeEEEZNS1_10merge_implIS3_NS0_12zip_iteratorINS5_IJN6thrust23THRUST_200600_302600_NS6detail15normal_iteratorINSC_10device_ptrIKiEEEESI_EEEEESK_NSA_INS5_IJNSE_INSF_IiEEEESM_EEEEEPS7_SP_SP_NSC_11hip_rocprim7__merge17predicate_wrapperIiiNSC_7greaterIiEEEEEE10hipError_tPvRmT0_T1_T2_T3_T4_T5_mmT6_P12ihipStream_tbEUlT_E0_NS1_11comp_targetILNS1_3genE10ELNS1_11target_archE1201ELNS1_3gpuE5ELNS1_3repE0EEENS1_30default_config_static_selectorELNS0_4arch9wavefront6targetE0EEEvS10_.kd
    .uniform_work_group_size: 1
    .uses_dynamic_stack: false
    .vgpr_count:     0
    .vgpr_spill_count: 0
    .wavefront_size: 32
    .workgroup_processor_mode: 1
  - .args:
      - .offset:         0
        .size:           112
        .value_kind:     by_value
    .group_segment_fixed_size: 0
    .kernarg_segment_align: 8
    .kernarg_segment_size: 112
    .language:       OpenCL C
    .language_version:
      - 2
      - 0
    .max_flat_workgroup_size: 1024
    .name:           _ZN7rocprim17ROCPRIM_400000_NS6detail17trampoline_kernelINS0_14default_configENS1_21merge_config_selectorINS0_5tupleIJiiEEENS0_10empty_typeEEEZNS1_10merge_implIS3_NS0_12zip_iteratorINS5_IJN6thrust23THRUST_200600_302600_NS6detail15normal_iteratorINSC_10device_ptrIKiEEEESI_EEEEESK_NSA_INS5_IJNSE_INSF_IiEEEESM_EEEEEPS7_SP_SP_NSC_11hip_rocprim7__merge17predicate_wrapperIiiNSC_7greaterIiEEEEEE10hipError_tPvRmT0_T1_T2_T3_T4_T5_mmT6_P12ihipStream_tbEUlT_E0_NS1_11comp_targetILNS1_3genE10ELNS1_11target_archE1200ELNS1_3gpuE4ELNS1_3repE0EEENS1_30default_config_static_selectorELNS0_4arch9wavefront6targetE0EEEvS10_
    .private_segment_fixed_size: 0
    .sgpr_count:     0
    .sgpr_spill_count: 0
    .symbol:         _ZN7rocprim17ROCPRIM_400000_NS6detail17trampoline_kernelINS0_14default_configENS1_21merge_config_selectorINS0_5tupleIJiiEEENS0_10empty_typeEEEZNS1_10merge_implIS3_NS0_12zip_iteratorINS5_IJN6thrust23THRUST_200600_302600_NS6detail15normal_iteratorINSC_10device_ptrIKiEEEESI_EEEEESK_NSA_INS5_IJNSE_INSF_IiEEEESM_EEEEEPS7_SP_SP_NSC_11hip_rocprim7__merge17predicate_wrapperIiiNSC_7greaterIiEEEEEE10hipError_tPvRmT0_T1_T2_T3_T4_T5_mmT6_P12ihipStream_tbEUlT_E0_NS1_11comp_targetILNS1_3genE10ELNS1_11target_archE1200ELNS1_3gpuE4ELNS1_3repE0EEENS1_30default_config_static_selectorELNS0_4arch9wavefront6targetE0EEEvS10_.kd
    .uniform_work_group_size: 1
    .uses_dynamic_stack: false
    .vgpr_count:     0
    .vgpr_spill_count: 0
    .wavefront_size: 32
    .workgroup_processor_mode: 1
  - .args:
      - .offset:         0
        .size:           112
        .value_kind:     by_value
    .group_segment_fixed_size: 0
    .kernarg_segment_align: 8
    .kernarg_segment_size: 112
    .language:       OpenCL C
    .language_version:
      - 2
      - 0
    .max_flat_workgroup_size: 1024
    .name:           _ZN7rocprim17ROCPRIM_400000_NS6detail17trampoline_kernelINS0_14default_configENS1_21merge_config_selectorINS0_5tupleIJiiEEENS0_10empty_typeEEEZNS1_10merge_implIS3_NS0_12zip_iteratorINS5_IJN6thrust23THRUST_200600_302600_NS6detail15normal_iteratorINSC_10device_ptrIKiEEEESI_EEEEESK_NSA_INS5_IJNSE_INSF_IiEEEESM_EEEEEPS7_SP_SP_NSC_11hip_rocprim7__merge17predicate_wrapperIiiNSC_7greaterIiEEEEEE10hipError_tPvRmT0_T1_T2_T3_T4_T5_mmT6_P12ihipStream_tbEUlT_E0_NS1_11comp_targetILNS1_3genE9ELNS1_11target_archE1100ELNS1_3gpuE3ELNS1_3repE0EEENS1_30default_config_static_selectorELNS0_4arch9wavefront6targetE0EEEvS10_
    .private_segment_fixed_size: 0
    .sgpr_count:     0
    .sgpr_spill_count: 0
    .symbol:         _ZN7rocprim17ROCPRIM_400000_NS6detail17trampoline_kernelINS0_14default_configENS1_21merge_config_selectorINS0_5tupleIJiiEEENS0_10empty_typeEEEZNS1_10merge_implIS3_NS0_12zip_iteratorINS5_IJN6thrust23THRUST_200600_302600_NS6detail15normal_iteratorINSC_10device_ptrIKiEEEESI_EEEEESK_NSA_INS5_IJNSE_INSF_IiEEEESM_EEEEEPS7_SP_SP_NSC_11hip_rocprim7__merge17predicate_wrapperIiiNSC_7greaterIiEEEEEE10hipError_tPvRmT0_T1_T2_T3_T4_T5_mmT6_P12ihipStream_tbEUlT_E0_NS1_11comp_targetILNS1_3genE9ELNS1_11target_archE1100ELNS1_3gpuE3ELNS1_3repE0EEENS1_30default_config_static_selectorELNS0_4arch9wavefront6targetE0EEEvS10_.kd
    .uniform_work_group_size: 1
    .uses_dynamic_stack: false
    .vgpr_count:     0
    .vgpr_spill_count: 0
    .wavefront_size: 32
    .workgroup_processor_mode: 1
  - .args:
      - .offset:         0
        .size:           112
        .value_kind:     by_value
    .group_segment_fixed_size: 33792
    .kernarg_segment_align: 8
    .kernarg_segment_size: 112
    .language:       OpenCL C
    .language_version:
      - 2
      - 0
    .max_flat_workgroup_size: 256
    .name:           _ZN7rocprim17ROCPRIM_400000_NS6detail17trampoline_kernelINS0_14default_configENS1_21merge_config_selectorINS0_5tupleIJiiEEENS0_10empty_typeEEEZNS1_10merge_implIS3_NS0_12zip_iteratorINS5_IJN6thrust23THRUST_200600_302600_NS6detail15normal_iteratorINSC_10device_ptrIKiEEEESI_EEEEESK_NSA_INS5_IJNSE_INSF_IiEEEESM_EEEEEPS7_SP_SP_NSC_11hip_rocprim7__merge17predicate_wrapperIiiNSC_7greaterIiEEEEEE10hipError_tPvRmT0_T1_T2_T3_T4_T5_mmT6_P12ihipStream_tbEUlT_E0_NS1_11comp_targetILNS1_3genE8ELNS1_11target_archE1030ELNS1_3gpuE2ELNS1_3repE0EEENS1_30default_config_static_selectorELNS0_4arch9wavefront6targetE0EEEvS10_
    .private_segment_fixed_size: 0
    .sgpr_count:     30
    .sgpr_spill_count: 0
    .symbol:         _ZN7rocprim17ROCPRIM_400000_NS6detail17trampoline_kernelINS0_14default_configENS1_21merge_config_selectorINS0_5tupleIJiiEEENS0_10empty_typeEEEZNS1_10merge_implIS3_NS0_12zip_iteratorINS5_IJN6thrust23THRUST_200600_302600_NS6detail15normal_iteratorINSC_10device_ptrIKiEEEESI_EEEEESK_NSA_INS5_IJNSE_INSF_IiEEEESM_EEEEEPS7_SP_SP_NSC_11hip_rocprim7__merge17predicate_wrapperIiiNSC_7greaterIiEEEEEE10hipError_tPvRmT0_T1_T2_T3_T4_T5_mmT6_P12ihipStream_tbEUlT_E0_NS1_11comp_targetILNS1_3genE8ELNS1_11target_archE1030ELNS1_3gpuE2ELNS1_3repE0EEENS1_30default_config_static_selectorELNS0_4arch9wavefront6targetE0EEEvS10_.kd
    .uniform_work_group_size: 1
    .uses_dynamic_stack: false
    .vgpr_count:     73
    .vgpr_spill_count: 0
    .wavefront_size: 32
    .workgroup_processor_mode: 1
  - .args:
      - .offset:         0
        .size:           64
        .value_kind:     by_value
    .group_segment_fixed_size: 0
    .kernarg_segment_align: 8
    .kernarg_segment_size: 64
    .language:       OpenCL C
    .language_version:
      - 2
      - 0
    .max_flat_workgroup_size: 256
    .name:           _ZN7rocprim17ROCPRIM_400000_NS6detail17trampoline_kernelINS0_14default_configENS1_21merge_config_selectorINS0_5tupleIJssEEENS0_10empty_typeEEEZNS1_10merge_implIS3_NS0_12zip_iteratorINS5_IJN6thrust23THRUST_200600_302600_NS6detail15normal_iteratorINSC_10device_ptrIKsEEEESI_EEEEESK_NSA_INS5_IJNSE_INSF_IsEEEESM_EEEEEPS7_SP_SP_NSC_11hip_rocprim7__merge17predicate_wrapperIssNSC_7greaterIsEEEEEE10hipError_tPvRmT0_T1_T2_T3_T4_T5_mmT6_P12ihipStream_tbEUlT_E_NS1_11comp_targetILNS1_3genE0ELNS1_11target_archE4294967295ELNS1_3gpuE0ELNS1_3repE0EEENS1_30default_config_static_selectorELNS0_4arch9wavefront6targetE0EEEvS10_
    .private_segment_fixed_size: 0
    .sgpr_count:     0
    .sgpr_spill_count: 0
    .symbol:         _ZN7rocprim17ROCPRIM_400000_NS6detail17trampoline_kernelINS0_14default_configENS1_21merge_config_selectorINS0_5tupleIJssEEENS0_10empty_typeEEEZNS1_10merge_implIS3_NS0_12zip_iteratorINS5_IJN6thrust23THRUST_200600_302600_NS6detail15normal_iteratorINSC_10device_ptrIKsEEEESI_EEEEESK_NSA_INS5_IJNSE_INSF_IsEEEESM_EEEEEPS7_SP_SP_NSC_11hip_rocprim7__merge17predicate_wrapperIssNSC_7greaterIsEEEEEE10hipError_tPvRmT0_T1_T2_T3_T4_T5_mmT6_P12ihipStream_tbEUlT_E_NS1_11comp_targetILNS1_3genE0ELNS1_11target_archE4294967295ELNS1_3gpuE0ELNS1_3repE0EEENS1_30default_config_static_selectorELNS0_4arch9wavefront6targetE0EEEvS10_.kd
    .uniform_work_group_size: 1
    .uses_dynamic_stack: false
    .vgpr_count:     0
    .vgpr_spill_count: 0
    .wavefront_size: 32
    .workgroup_processor_mode: 1
  - .args:
      - .offset:         0
        .size:           64
        .value_kind:     by_value
    .group_segment_fixed_size: 0
    .kernarg_segment_align: 8
    .kernarg_segment_size: 64
    .language:       OpenCL C
    .language_version:
      - 2
      - 0
    .max_flat_workgroup_size: 256
    .name:           _ZN7rocprim17ROCPRIM_400000_NS6detail17trampoline_kernelINS0_14default_configENS1_21merge_config_selectorINS0_5tupleIJssEEENS0_10empty_typeEEEZNS1_10merge_implIS3_NS0_12zip_iteratorINS5_IJN6thrust23THRUST_200600_302600_NS6detail15normal_iteratorINSC_10device_ptrIKsEEEESI_EEEEESK_NSA_INS5_IJNSE_INSF_IsEEEESM_EEEEEPS7_SP_SP_NSC_11hip_rocprim7__merge17predicate_wrapperIssNSC_7greaterIsEEEEEE10hipError_tPvRmT0_T1_T2_T3_T4_T5_mmT6_P12ihipStream_tbEUlT_E_NS1_11comp_targetILNS1_3genE5ELNS1_11target_archE942ELNS1_3gpuE9ELNS1_3repE0EEENS1_30default_config_static_selectorELNS0_4arch9wavefront6targetE0EEEvS10_
    .private_segment_fixed_size: 0
    .sgpr_count:     0
    .sgpr_spill_count: 0
    .symbol:         _ZN7rocprim17ROCPRIM_400000_NS6detail17trampoline_kernelINS0_14default_configENS1_21merge_config_selectorINS0_5tupleIJssEEENS0_10empty_typeEEEZNS1_10merge_implIS3_NS0_12zip_iteratorINS5_IJN6thrust23THRUST_200600_302600_NS6detail15normal_iteratorINSC_10device_ptrIKsEEEESI_EEEEESK_NSA_INS5_IJNSE_INSF_IsEEEESM_EEEEEPS7_SP_SP_NSC_11hip_rocprim7__merge17predicate_wrapperIssNSC_7greaterIsEEEEEE10hipError_tPvRmT0_T1_T2_T3_T4_T5_mmT6_P12ihipStream_tbEUlT_E_NS1_11comp_targetILNS1_3genE5ELNS1_11target_archE942ELNS1_3gpuE9ELNS1_3repE0EEENS1_30default_config_static_selectorELNS0_4arch9wavefront6targetE0EEEvS10_.kd
    .uniform_work_group_size: 1
    .uses_dynamic_stack: false
    .vgpr_count:     0
    .vgpr_spill_count: 0
    .wavefront_size: 32
    .workgroup_processor_mode: 1
  - .args:
      - .offset:         0
        .size:           64
        .value_kind:     by_value
    .group_segment_fixed_size: 0
    .kernarg_segment_align: 8
    .kernarg_segment_size: 64
    .language:       OpenCL C
    .language_version:
      - 2
      - 0
    .max_flat_workgroup_size: 256
    .name:           _ZN7rocprim17ROCPRIM_400000_NS6detail17trampoline_kernelINS0_14default_configENS1_21merge_config_selectorINS0_5tupleIJssEEENS0_10empty_typeEEEZNS1_10merge_implIS3_NS0_12zip_iteratorINS5_IJN6thrust23THRUST_200600_302600_NS6detail15normal_iteratorINSC_10device_ptrIKsEEEESI_EEEEESK_NSA_INS5_IJNSE_INSF_IsEEEESM_EEEEEPS7_SP_SP_NSC_11hip_rocprim7__merge17predicate_wrapperIssNSC_7greaterIsEEEEEE10hipError_tPvRmT0_T1_T2_T3_T4_T5_mmT6_P12ihipStream_tbEUlT_E_NS1_11comp_targetILNS1_3genE4ELNS1_11target_archE910ELNS1_3gpuE8ELNS1_3repE0EEENS1_30default_config_static_selectorELNS0_4arch9wavefront6targetE0EEEvS10_
    .private_segment_fixed_size: 0
    .sgpr_count:     0
    .sgpr_spill_count: 0
    .symbol:         _ZN7rocprim17ROCPRIM_400000_NS6detail17trampoline_kernelINS0_14default_configENS1_21merge_config_selectorINS0_5tupleIJssEEENS0_10empty_typeEEEZNS1_10merge_implIS3_NS0_12zip_iteratorINS5_IJN6thrust23THRUST_200600_302600_NS6detail15normal_iteratorINSC_10device_ptrIKsEEEESI_EEEEESK_NSA_INS5_IJNSE_INSF_IsEEEESM_EEEEEPS7_SP_SP_NSC_11hip_rocprim7__merge17predicate_wrapperIssNSC_7greaterIsEEEEEE10hipError_tPvRmT0_T1_T2_T3_T4_T5_mmT6_P12ihipStream_tbEUlT_E_NS1_11comp_targetILNS1_3genE4ELNS1_11target_archE910ELNS1_3gpuE8ELNS1_3repE0EEENS1_30default_config_static_selectorELNS0_4arch9wavefront6targetE0EEEvS10_.kd
    .uniform_work_group_size: 1
    .uses_dynamic_stack: false
    .vgpr_count:     0
    .vgpr_spill_count: 0
    .wavefront_size: 32
    .workgroup_processor_mode: 1
  - .args:
      - .offset:         0
        .size:           64
        .value_kind:     by_value
    .group_segment_fixed_size: 0
    .kernarg_segment_align: 8
    .kernarg_segment_size: 64
    .language:       OpenCL C
    .language_version:
      - 2
      - 0
    .max_flat_workgroup_size: 256
    .name:           _ZN7rocprim17ROCPRIM_400000_NS6detail17trampoline_kernelINS0_14default_configENS1_21merge_config_selectorINS0_5tupleIJssEEENS0_10empty_typeEEEZNS1_10merge_implIS3_NS0_12zip_iteratorINS5_IJN6thrust23THRUST_200600_302600_NS6detail15normal_iteratorINSC_10device_ptrIKsEEEESI_EEEEESK_NSA_INS5_IJNSE_INSF_IsEEEESM_EEEEEPS7_SP_SP_NSC_11hip_rocprim7__merge17predicate_wrapperIssNSC_7greaterIsEEEEEE10hipError_tPvRmT0_T1_T2_T3_T4_T5_mmT6_P12ihipStream_tbEUlT_E_NS1_11comp_targetILNS1_3genE3ELNS1_11target_archE908ELNS1_3gpuE7ELNS1_3repE0EEENS1_30default_config_static_selectorELNS0_4arch9wavefront6targetE0EEEvS10_
    .private_segment_fixed_size: 0
    .sgpr_count:     0
    .sgpr_spill_count: 0
    .symbol:         _ZN7rocprim17ROCPRIM_400000_NS6detail17trampoline_kernelINS0_14default_configENS1_21merge_config_selectorINS0_5tupleIJssEEENS0_10empty_typeEEEZNS1_10merge_implIS3_NS0_12zip_iteratorINS5_IJN6thrust23THRUST_200600_302600_NS6detail15normal_iteratorINSC_10device_ptrIKsEEEESI_EEEEESK_NSA_INS5_IJNSE_INSF_IsEEEESM_EEEEEPS7_SP_SP_NSC_11hip_rocprim7__merge17predicate_wrapperIssNSC_7greaterIsEEEEEE10hipError_tPvRmT0_T1_T2_T3_T4_T5_mmT6_P12ihipStream_tbEUlT_E_NS1_11comp_targetILNS1_3genE3ELNS1_11target_archE908ELNS1_3gpuE7ELNS1_3repE0EEENS1_30default_config_static_selectorELNS0_4arch9wavefront6targetE0EEEvS10_.kd
    .uniform_work_group_size: 1
    .uses_dynamic_stack: false
    .vgpr_count:     0
    .vgpr_spill_count: 0
    .wavefront_size: 32
    .workgroup_processor_mode: 1
  - .args:
      - .offset:         0
        .size:           64
        .value_kind:     by_value
    .group_segment_fixed_size: 0
    .kernarg_segment_align: 8
    .kernarg_segment_size: 64
    .language:       OpenCL C
    .language_version:
      - 2
      - 0
    .max_flat_workgroup_size: 256
    .name:           _ZN7rocprim17ROCPRIM_400000_NS6detail17trampoline_kernelINS0_14default_configENS1_21merge_config_selectorINS0_5tupleIJssEEENS0_10empty_typeEEEZNS1_10merge_implIS3_NS0_12zip_iteratorINS5_IJN6thrust23THRUST_200600_302600_NS6detail15normal_iteratorINSC_10device_ptrIKsEEEESI_EEEEESK_NSA_INS5_IJNSE_INSF_IsEEEESM_EEEEEPS7_SP_SP_NSC_11hip_rocprim7__merge17predicate_wrapperIssNSC_7greaterIsEEEEEE10hipError_tPvRmT0_T1_T2_T3_T4_T5_mmT6_P12ihipStream_tbEUlT_E_NS1_11comp_targetILNS1_3genE2ELNS1_11target_archE906ELNS1_3gpuE6ELNS1_3repE0EEENS1_30default_config_static_selectorELNS0_4arch9wavefront6targetE0EEEvS10_
    .private_segment_fixed_size: 0
    .sgpr_count:     0
    .sgpr_spill_count: 0
    .symbol:         _ZN7rocprim17ROCPRIM_400000_NS6detail17trampoline_kernelINS0_14default_configENS1_21merge_config_selectorINS0_5tupleIJssEEENS0_10empty_typeEEEZNS1_10merge_implIS3_NS0_12zip_iteratorINS5_IJN6thrust23THRUST_200600_302600_NS6detail15normal_iteratorINSC_10device_ptrIKsEEEESI_EEEEESK_NSA_INS5_IJNSE_INSF_IsEEEESM_EEEEEPS7_SP_SP_NSC_11hip_rocprim7__merge17predicate_wrapperIssNSC_7greaterIsEEEEEE10hipError_tPvRmT0_T1_T2_T3_T4_T5_mmT6_P12ihipStream_tbEUlT_E_NS1_11comp_targetILNS1_3genE2ELNS1_11target_archE906ELNS1_3gpuE6ELNS1_3repE0EEENS1_30default_config_static_selectorELNS0_4arch9wavefront6targetE0EEEvS10_.kd
    .uniform_work_group_size: 1
    .uses_dynamic_stack: false
    .vgpr_count:     0
    .vgpr_spill_count: 0
    .wavefront_size: 32
    .workgroup_processor_mode: 1
  - .args:
      - .offset:         0
        .size:           64
        .value_kind:     by_value
    .group_segment_fixed_size: 0
    .kernarg_segment_align: 8
    .kernarg_segment_size: 64
    .language:       OpenCL C
    .language_version:
      - 2
      - 0
    .max_flat_workgroup_size: 1024
    .name:           _ZN7rocprim17ROCPRIM_400000_NS6detail17trampoline_kernelINS0_14default_configENS1_21merge_config_selectorINS0_5tupleIJssEEENS0_10empty_typeEEEZNS1_10merge_implIS3_NS0_12zip_iteratorINS5_IJN6thrust23THRUST_200600_302600_NS6detail15normal_iteratorINSC_10device_ptrIKsEEEESI_EEEEESK_NSA_INS5_IJNSE_INSF_IsEEEESM_EEEEEPS7_SP_SP_NSC_11hip_rocprim7__merge17predicate_wrapperIssNSC_7greaterIsEEEEEE10hipError_tPvRmT0_T1_T2_T3_T4_T5_mmT6_P12ihipStream_tbEUlT_E_NS1_11comp_targetILNS1_3genE10ELNS1_11target_archE1201ELNS1_3gpuE5ELNS1_3repE0EEENS1_30default_config_static_selectorELNS0_4arch9wavefront6targetE0EEEvS10_
    .private_segment_fixed_size: 0
    .sgpr_count:     0
    .sgpr_spill_count: 0
    .symbol:         _ZN7rocprim17ROCPRIM_400000_NS6detail17trampoline_kernelINS0_14default_configENS1_21merge_config_selectorINS0_5tupleIJssEEENS0_10empty_typeEEEZNS1_10merge_implIS3_NS0_12zip_iteratorINS5_IJN6thrust23THRUST_200600_302600_NS6detail15normal_iteratorINSC_10device_ptrIKsEEEESI_EEEEESK_NSA_INS5_IJNSE_INSF_IsEEEESM_EEEEEPS7_SP_SP_NSC_11hip_rocprim7__merge17predicate_wrapperIssNSC_7greaterIsEEEEEE10hipError_tPvRmT0_T1_T2_T3_T4_T5_mmT6_P12ihipStream_tbEUlT_E_NS1_11comp_targetILNS1_3genE10ELNS1_11target_archE1201ELNS1_3gpuE5ELNS1_3repE0EEENS1_30default_config_static_selectorELNS0_4arch9wavefront6targetE0EEEvS10_.kd
    .uniform_work_group_size: 1
    .uses_dynamic_stack: false
    .vgpr_count:     0
    .vgpr_spill_count: 0
    .wavefront_size: 32
    .workgroup_processor_mode: 1
  - .args:
      - .offset:         0
        .size:           64
        .value_kind:     by_value
    .group_segment_fixed_size: 0
    .kernarg_segment_align: 8
    .kernarg_segment_size: 64
    .language:       OpenCL C
    .language_version:
      - 2
      - 0
    .max_flat_workgroup_size: 1024
    .name:           _ZN7rocprim17ROCPRIM_400000_NS6detail17trampoline_kernelINS0_14default_configENS1_21merge_config_selectorINS0_5tupleIJssEEENS0_10empty_typeEEEZNS1_10merge_implIS3_NS0_12zip_iteratorINS5_IJN6thrust23THRUST_200600_302600_NS6detail15normal_iteratorINSC_10device_ptrIKsEEEESI_EEEEESK_NSA_INS5_IJNSE_INSF_IsEEEESM_EEEEEPS7_SP_SP_NSC_11hip_rocprim7__merge17predicate_wrapperIssNSC_7greaterIsEEEEEE10hipError_tPvRmT0_T1_T2_T3_T4_T5_mmT6_P12ihipStream_tbEUlT_E_NS1_11comp_targetILNS1_3genE10ELNS1_11target_archE1200ELNS1_3gpuE4ELNS1_3repE0EEENS1_30default_config_static_selectorELNS0_4arch9wavefront6targetE0EEEvS10_
    .private_segment_fixed_size: 0
    .sgpr_count:     0
    .sgpr_spill_count: 0
    .symbol:         _ZN7rocprim17ROCPRIM_400000_NS6detail17trampoline_kernelINS0_14default_configENS1_21merge_config_selectorINS0_5tupleIJssEEENS0_10empty_typeEEEZNS1_10merge_implIS3_NS0_12zip_iteratorINS5_IJN6thrust23THRUST_200600_302600_NS6detail15normal_iteratorINSC_10device_ptrIKsEEEESI_EEEEESK_NSA_INS5_IJNSE_INSF_IsEEEESM_EEEEEPS7_SP_SP_NSC_11hip_rocprim7__merge17predicate_wrapperIssNSC_7greaterIsEEEEEE10hipError_tPvRmT0_T1_T2_T3_T4_T5_mmT6_P12ihipStream_tbEUlT_E_NS1_11comp_targetILNS1_3genE10ELNS1_11target_archE1200ELNS1_3gpuE4ELNS1_3repE0EEENS1_30default_config_static_selectorELNS0_4arch9wavefront6targetE0EEEvS10_.kd
    .uniform_work_group_size: 1
    .uses_dynamic_stack: false
    .vgpr_count:     0
    .vgpr_spill_count: 0
    .wavefront_size: 32
    .workgroup_processor_mode: 1
  - .args:
      - .offset:         0
        .size:           64
        .value_kind:     by_value
    .group_segment_fixed_size: 0
    .kernarg_segment_align: 8
    .kernarg_segment_size: 64
    .language:       OpenCL C
    .language_version:
      - 2
      - 0
    .max_flat_workgroup_size: 1024
    .name:           _ZN7rocprim17ROCPRIM_400000_NS6detail17trampoline_kernelINS0_14default_configENS1_21merge_config_selectorINS0_5tupleIJssEEENS0_10empty_typeEEEZNS1_10merge_implIS3_NS0_12zip_iteratorINS5_IJN6thrust23THRUST_200600_302600_NS6detail15normal_iteratorINSC_10device_ptrIKsEEEESI_EEEEESK_NSA_INS5_IJNSE_INSF_IsEEEESM_EEEEEPS7_SP_SP_NSC_11hip_rocprim7__merge17predicate_wrapperIssNSC_7greaterIsEEEEEE10hipError_tPvRmT0_T1_T2_T3_T4_T5_mmT6_P12ihipStream_tbEUlT_E_NS1_11comp_targetILNS1_3genE9ELNS1_11target_archE1100ELNS1_3gpuE3ELNS1_3repE0EEENS1_30default_config_static_selectorELNS0_4arch9wavefront6targetE0EEEvS10_
    .private_segment_fixed_size: 0
    .sgpr_count:     0
    .sgpr_spill_count: 0
    .symbol:         _ZN7rocprim17ROCPRIM_400000_NS6detail17trampoline_kernelINS0_14default_configENS1_21merge_config_selectorINS0_5tupleIJssEEENS0_10empty_typeEEEZNS1_10merge_implIS3_NS0_12zip_iteratorINS5_IJN6thrust23THRUST_200600_302600_NS6detail15normal_iteratorINSC_10device_ptrIKsEEEESI_EEEEESK_NSA_INS5_IJNSE_INSF_IsEEEESM_EEEEEPS7_SP_SP_NSC_11hip_rocprim7__merge17predicate_wrapperIssNSC_7greaterIsEEEEEE10hipError_tPvRmT0_T1_T2_T3_T4_T5_mmT6_P12ihipStream_tbEUlT_E_NS1_11comp_targetILNS1_3genE9ELNS1_11target_archE1100ELNS1_3gpuE3ELNS1_3repE0EEENS1_30default_config_static_selectorELNS0_4arch9wavefront6targetE0EEEvS10_.kd
    .uniform_work_group_size: 1
    .uses_dynamic_stack: false
    .vgpr_count:     0
    .vgpr_spill_count: 0
    .wavefront_size: 32
    .workgroup_processor_mode: 1
  - .args:
      - .offset:         0
        .size:           64
        .value_kind:     by_value
      - .offset:         64
        .size:           4
        .value_kind:     hidden_block_count_x
      - .offset:         68
        .size:           4
        .value_kind:     hidden_block_count_y
      - .offset:         72
        .size:           4
        .value_kind:     hidden_block_count_z
      - .offset:         76
        .size:           2
        .value_kind:     hidden_group_size_x
      - .offset:         78
        .size:           2
        .value_kind:     hidden_group_size_y
      - .offset:         80
        .size:           2
        .value_kind:     hidden_group_size_z
      - .offset:         82
        .size:           2
        .value_kind:     hidden_remainder_x
      - .offset:         84
        .size:           2
        .value_kind:     hidden_remainder_y
      - .offset:         86
        .size:           2
        .value_kind:     hidden_remainder_z
      - .offset:         104
        .size:           8
        .value_kind:     hidden_global_offset_x
      - .offset:         112
        .size:           8
        .value_kind:     hidden_global_offset_y
      - .offset:         120
        .size:           8
        .value_kind:     hidden_global_offset_z
      - .offset:         128
        .size:           2
        .value_kind:     hidden_grid_dims
    .group_segment_fixed_size: 0
    .kernarg_segment_align: 8
    .kernarg_segment_size: 320
    .language:       OpenCL C
    .language_version:
      - 2
      - 0
    .max_flat_workgroup_size: 1024
    .name:           _ZN7rocprim17ROCPRIM_400000_NS6detail17trampoline_kernelINS0_14default_configENS1_21merge_config_selectorINS0_5tupleIJssEEENS0_10empty_typeEEEZNS1_10merge_implIS3_NS0_12zip_iteratorINS5_IJN6thrust23THRUST_200600_302600_NS6detail15normal_iteratorINSC_10device_ptrIKsEEEESI_EEEEESK_NSA_INS5_IJNSE_INSF_IsEEEESM_EEEEEPS7_SP_SP_NSC_11hip_rocprim7__merge17predicate_wrapperIssNSC_7greaterIsEEEEEE10hipError_tPvRmT0_T1_T2_T3_T4_T5_mmT6_P12ihipStream_tbEUlT_E_NS1_11comp_targetILNS1_3genE8ELNS1_11target_archE1030ELNS1_3gpuE2ELNS1_3repE0EEENS1_30default_config_static_selectorELNS0_4arch9wavefront6targetE0EEEvS10_
    .private_segment_fixed_size: 0
    .sgpr_count:     18
    .sgpr_spill_count: 0
    .symbol:         _ZN7rocprim17ROCPRIM_400000_NS6detail17trampoline_kernelINS0_14default_configENS1_21merge_config_selectorINS0_5tupleIJssEEENS0_10empty_typeEEEZNS1_10merge_implIS3_NS0_12zip_iteratorINS5_IJN6thrust23THRUST_200600_302600_NS6detail15normal_iteratorINSC_10device_ptrIKsEEEESI_EEEEESK_NSA_INS5_IJNSE_INSF_IsEEEESM_EEEEEPS7_SP_SP_NSC_11hip_rocprim7__merge17predicate_wrapperIssNSC_7greaterIsEEEEEE10hipError_tPvRmT0_T1_T2_T3_T4_T5_mmT6_P12ihipStream_tbEUlT_E_NS1_11comp_targetILNS1_3genE8ELNS1_11target_archE1030ELNS1_3gpuE2ELNS1_3repE0EEENS1_30default_config_static_selectorELNS0_4arch9wavefront6targetE0EEEvS10_.kd
    .uniform_work_group_size: 1
    .uses_dynamic_stack: false
    .vgpr_count:     13
    .vgpr_spill_count: 0
    .wavefront_size: 32
    .workgroup_processor_mode: 1
  - .args:
      - .offset:         0
        .size:           112
        .value_kind:     by_value
    .group_segment_fixed_size: 0
    .kernarg_segment_align: 8
    .kernarg_segment_size: 112
    .language:       OpenCL C
    .language_version:
      - 2
      - 0
    .max_flat_workgroup_size: 256
    .name:           _ZN7rocprim17ROCPRIM_400000_NS6detail17trampoline_kernelINS0_14default_configENS1_21merge_config_selectorINS0_5tupleIJssEEENS0_10empty_typeEEEZNS1_10merge_implIS3_NS0_12zip_iteratorINS5_IJN6thrust23THRUST_200600_302600_NS6detail15normal_iteratorINSC_10device_ptrIKsEEEESI_EEEEESK_NSA_INS5_IJNSE_INSF_IsEEEESM_EEEEEPS7_SP_SP_NSC_11hip_rocprim7__merge17predicate_wrapperIssNSC_7greaterIsEEEEEE10hipError_tPvRmT0_T1_T2_T3_T4_T5_mmT6_P12ihipStream_tbEUlT_E0_NS1_11comp_targetILNS1_3genE0ELNS1_11target_archE4294967295ELNS1_3gpuE0ELNS1_3repE0EEENS1_30default_config_static_selectorELNS0_4arch9wavefront6targetE0EEEvS10_
    .private_segment_fixed_size: 0
    .sgpr_count:     0
    .sgpr_spill_count: 0
    .symbol:         _ZN7rocprim17ROCPRIM_400000_NS6detail17trampoline_kernelINS0_14default_configENS1_21merge_config_selectorINS0_5tupleIJssEEENS0_10empty_typeEEEZNS1_10merge_implIS3_NS0_12zip_iteratorINS5_IJN6thrust23THRUST_200600_302600_NS6detail15normal_iteratorINSC_10device_ptrIKsEEEESI_EEEEESK_NSA_INS5_IJNSE_INSF_IsEEEESM_EEEEEPS7_SP_SP_NSC_11hip_rocprim7__merge17predicate_wrapperIssNSC_7greaterIsEEEEEE10hipError_tPvRmT0_T1_T2_T3_T4_T5_mmT6_P12ihipStream_tbEUlT_E0_NS1_11comp_targetILNS1_3genE0ELNS1_11target_archE4294967295ELNS1_3gpuE0ELNS1_3repE0EEENS1_30default_config_static_selectorELNS0_4arch9wavefront6targetE0EEEvS10_.kd
    .uniform_work_group_size: 1
    .uses_dynamic_stack: false
    .vgpr_count:     0
    .vgpr_spill_count: 0
    .wavefront_size: 32
    .workgroup_processor_mode: 1
  - .args:
      - .offset:         0
        .size:           112
        .value_kind:     by_value
    .group_segment_fixed_size: 0
    .kernarg_segment_align: 8
    .kernarg_segment_size: 112
    .language:       OpenCL C
    .language_version:
      - 2
      - 0
    .max_flat_workgroup_size: 256
    .name:           _ZN7rocprim17ROCPRIM_400000_NS6detail17trampoline_kernelINS0_14default_configENS1_21merge_config_selectorINS0_5tupleIJssEEENS0_10empty_typeEEEZNS1_10merge_implIS3_NS0_12zip_iteratorINS5_IJN6thrust23THRUST_200600_302600_NS6detail15normal_iteratorINSC_10device_ptrIKsEEEESI_EEEEESK_NSA_INS5_IJNSE_INSF_IsEEEESM_EEEEEPS7_SP_SP_NSC_11hip_rocprim7__merge17predicate_wrapperIssNSC_7greaterIsEEEEEE10hipError_tPvRmT0_T1_T2_T3_T4_T5_mmT6_P12ihipStream_tbEUlT_E0_NS1_11comp_targetILNS1_3genE5ELNS1_11target_archE942ELNS1_3gpuE9ELNS1_3repE0EEENS1_30default_config_static_selectorELNS0_4arch9wavefront6targetE0EEEvS10_
    .private_segment_fixed_size: 0
    .sgpr_count:     0
    .sgpr_spill_count: 0
    .symbol:         _ZN7rocprim17ROCPRIM_400000_NS6detail17trampoline_kernelINS0_14default_configENS1_21merge_config_selectorINS0_5tupleIJssEEENS0_10empty_typeEEEZNS1_10merge_implIS3_NS0_12zip_iteratorINS5_IJN6thrust23THRUST_200600_302600_NS6detail15normal_iteratorINSC_10device_ptrIKsEEEESI_EEEEESK_NSA_INS5_IJNSE_INSF_IsEEEESM_EEEEEPS7_SP_SP_NSC_11hip_rocprim7__merge17predicate_wrapperIssNSC_7greaterIsEEEEEE10hipError_tPvRmT0_T1_T2_T3_T4_T5_mmT6_P12ihipStream_tbEUlT_E0_NS1_11comp_targetILNS1_3genE5ELNS1_11target_archE942ELNS1_3gpuE9ELNS1_3repE0EEENS1_30default_config_static_selectorELNS0_4arch9wavefront6targetE0EEEvS10_.kd
    .uniform_work_group_size: 1
    .uses_dynamic_stack: false
    .vgpr_count:     0
    .vgpr_spill_count: 0
    .wavefront_size: 32
    .workgroup_processor_mode: 1
  - .args:
      - .offset:         0
        .size:           112
        .value_kind:     by_value
    .group_segment_fixed_size: 0
    .kernarg_segment_align: 8
    .kernarg_segment_size: 112
    .language:       OpenCL C
    .language_version:
      - 2
      - 0
    .max_flat_workgroup_size: 256
    .name:           _ZN7rocprim17ROCPRIM_400000_NS6detail17trampoline_kernelINS0_14default_configENS1_21merge_config_selectorINS0_5tupleIJssEEENS0_10empty_typeEEEZNS1_10merge_implIS3_NS0_12zip_iteratorINS5_IJN6thrust23THRUST_200600_302600_NS6detail15normal_iteratorINSC_10device_ptrIKsEEEESI_EEEEESK_NSA_INS5_IJNSE_INSF_IsEEEESM_EEEEEPS7_SP_SP_NSC_11hip_rocprim7__merge17predicate_wrapperIssNSC_7greaterIsEEEEEE10hipError_tPvRmT0_T1_T2_T3_T4_T5_mmT6_P12ihipStream_tbEUlT_E0_NS1_11comp_targetILNS1_3genE4ELNS1_11target_archE910ELNS1_3gpuE8ELNS1_3repE0EEENS1_30default_config_static_selectorELNS0_4arch9wavefront6targetE0EEEvS10_
    .private_segment_fixed_size: 0
    .sgpr_count:     0
    .sgpr_spill_count: 0
    .symbol:         _ZN7rocprim17ROCPRIM_400000_NS6detail17trampoline_kernelINS0_14default_configENS1_21merge_config_selectorINS0_5tupleIJssEEENS0_10empty_typeEEEZNS1_10merge_implIS3_NS0_12zip_iteratorINS5_IJN6thrust23THRUST_200600_302600_NS6detail15normal_iteratorINSC_10device_ptrIKsEEEESI_EEEEESK_NSA_INS5_IJNSE_INSF_IsEEEESM_EEEEEPS7_SP_SP_NSC_11hip_rocprim7__merge17predicate_wrapperIssNSC_7greaterIsEEEEEE10hipError_tPvRmT0_T1_T2_T3_T4_T5_mmT6_P12ihipStream_tbEUlT_E0_NS1_11comp_targetILNS1_3genE4ELNS1_11target_archE910ELNS1_3gpuE8ELNS1_3repE0EEENS1_30default_config_static_selectorELNS0_4arch9wavefront6targetE0EEEvS10_.kd
    .uniform_work_group_size: 1
    .uses_dynamic_stack: false
    .vgpr_count:     0
    .vgpr_spill_count: 0
    .wavefront_size: 32
    .workgroup_processor_mode: 1
  - .args:
      - .offset:         0
        .size:           112
        .value_kind:     by_value
    .group_segment_fixed_size: 0
    .kernarg_segment_align: 8
    .kernarg_segment_size: 112
    .language:       OpenCL C
    .language_version:
      - 2
      - 0
    .max_flat_workgroup_size: 256
    .name:           _ZN7rocprim17ROCPRIM_400000_NS6detail17trampoline_kernelINS0_14default_configENS1_21merge_config_selectorINS0_5tupleIJssEEENS0_10empty_typeEEEZNS1_10merge_implIS3_NS0_12zip_iteratorINS5_IJN6thrust23THRUST_200600_302600_NS6detail15normal_iteratorINSC_10device_ptrIKsEEEESI_EEEEESK_NSA_INS5_IJNSE_INSF_IsEEEESM_EEEEEPS7_SP_SP_NSC_11hip_rocprim7__merge17predicate_wrapperIssNSC_7greaterIsEEEEEE10hipError_tPvRmT0_T1_T2_T3_T4_T5_mmT6_P12ihipStream_tbEUlT_E0_NS1_11comp_targetILNS1_3genE3ELNS1_11target_archE908ELNS1_3gpuE7ELNS1_3repE0EEENS1_30default_config_static_selectorELNS0_4arch9wavefront6targetE0EEEvS10_
    .private_segment_fixed_size: 0
    .sgpr_count:     0
    .sgpr_spill_count: 0
    .symbol:         _ZN7rocprim17ROCPRIM_400000_NS6detail17trampoline_kernelINS0_14default_configENS1_21merge_config_selectorINS0_5tupleIJssEEENS0_10empty_typeEEEZNS1_10merge_implIS3_NS0_12zip_iteratorINS5_IJN6thrust23THRUST_200600_302600_NS6detail15normal_iteratorINSC_10device_ptrIKsEEEESI_EEEEESK_NSA_INS5_IJNSE_INSF_IsEEEESM_EEEEEPS7_SP_SP_NSC_11hip_rocprim7__merge17predicate_wrapperIssNSC_7greaterIsEEEEEE10hipError_tPvRmT0_T1_T2_T3_T4_T5_mmT6_P12ihipStream_tbEUlT_E0_NS1_11comp_targetILNS1_3genE3ELNS1_11target_archE908ELNS1_3gpuE7ELNS1_3repE0EEENS1_30default_config_static_selectorELNS0_4arch9wavefront6targetE0EEEvS10_.kd
    .uniform_work_group_size: 1
    .uses_dynamic_stack: false
    .vgpr_count:     0
    .vgpr_spill_count: 0
    .wavefront_size: 32
    .workgroup_processor_mode: 1
  - .args:
      - .offset:         0
        .size:           112
        .value_kind:     by_value
    .group_segment_fixed_size: 0
    .kernarg_segment_align: 8
    .kernarg_segment_size: 112
    .language:       OpenCL C
    .language_version:
      - 2
      - 0
    .max_flat_workgroup_size: 256
    .name:           _ZN7rocprim17ROCPRIM_400000_NS6detail17trampoline_kernelINS0_14default_configENS1_21merge_config_selectorINS0_5tupleIJssEEENS0_10empty_typeEEEZNS1_10merge_implIS3_NS0_12zip_iteratorINS5_IJN6thrust23THRUST_200600_302600_NS6detail15normal_iteratorINSC_10device_ptrIKsEEEESI_EEEEESK_NSA_INS5_IJNSE_INSF_IsEEEESM_EEEEEPS7_SP_SP_NSC_11hip_rocprim7__merge17predicate_wrapperIssNSC_7greaterIsEEEEEE10hipError_tPvRmT0_T1_T2_T3_T4_T5_mmT6_P12ihipStream_tbEUlT_E0_NS1_11comp_targetILNS1_3genE2ELNS1_11target_archE906ELNS1_3gpuE6ELNS1_3repE0EEENS1_30default_config_static_selectorELNS0_4arch9wavefront6targetE0EEEvS10_
    .private_segment_fixed_size: 0
    .sgpr_count:     0
    .sgpr_spill_count: 0
    .symbol:         _ZN7rocprim17ROCPRIM_400000_NS6detail17trampoline_kernelINS0_14default_configENS1_21merge_config_selectorINS0_5tupleIJssEEENS0_10empty_typeEEEZNS1_10merge_implIS3_NS0_12zip_iteratorINS5_IJN6thrust23THRUST_200600_302600_NS6detail15normal_iteratorINSC_10device_ptrIKsEEEESI_EEEEESK_NSA_INS5_IJNSE_INSF_IsEEEESM_EEEEEPS7_SP_SP_NSC_11hip_rocprim7__merge17predicate_wrapperIssNSC_7greaterIsEEEEEE10hipError_tPvRmT0_T1_T2_T3_T4_T5_mmT6_P12ihipStream_tbEUlT_E0_NS1_11comp_targetILNS1_3genE2ELNS1_11target_archE906ELNS1_3gpuE6ELNS1_3repE0EEENS1_30default_config_static_selectorELNS0_4arch9wavefront6targetE0EEEvS10_.kd
    .uniform_work_group_size: 1
    .uses_dynamic_stack: false
    .vgpr_count:     0
    .vgpr_spill_count: 0
    .wavefront_size: 32
    .workgroup_processor_mode: 1
  - .args:
      - .offset:         0
        .size:           112
        .value_kind:     by_value
    .group_segment_fixed_size: 0
    .kernarg_segment_align: 8
    .kernarg_segment_size: 112
    .language:       OpenCL C
    .language_version:
      - 2
      - 0
    .max_flat_workgroup_size: 1024
    .name:           _ZN7rocprim17ROCPRIM_400000_NS6detail17trampoline_kernelINS0_14default_configENS1_21merge_config_selectorINS0_5tupleIJssEEENS0_10empty_typeEEEZNS1_10merge_implIS3_NS0_12zip_iteratorINS5_IJN6thrust23THRUST_200600_302600_NS6detail15normal_iteratorINSC_10device_ptrIKsEEEESI_EEEEESK_NSA_INS5_IJNSE_INSF_IsEEEESM_EEEEEPS7_SP_SP_NSC_11hip_rocprim7__merge17predicate_wrapperIssNSC_7greaterIsEEEEEE10hipError_tPvRmT0_T1_T2_T3_T4_T5_mmT6_P12ihipStream_tbEUlT_E0_NS1_11comp_targetILNS1_3genE10ELNS1_11target_archE1201ELNS1_3gpuE5ELNS1_3repE0EEENS1_30default_config_static_selectorELNS0_4arch9wavefront6targetE0EEEvS10_
    .private_segment_fixed_size: 0
    .sgpr_count:     0
    .sgpr_spill_count: 0
    .symbol:         _ZN7rocprim17ROCPRIM_400000_NS6detail17trampoline_kernelINS0_14default_configENS1_21merge_config_selectorINS0_5tupleIJssEEENS0_10empty_typeEEEZNS1_10merge_implIS3_NS0_12zip_iteratorINS5_IJN6thrust23THRUST_200600_302600_NS6detail15normal_iteratorINSC_10device_ptrIKsEEEESI_EEEEESK_NSA_INS5_IJNSE_INSF_IsEEEESM_EEEEEPS7_SP_SP_NSC_11hip_rocprim7__merge17predicate_wrapperIssNSC_7greaterIsEEEEEE10hipError_tPvRmT0_T1_T2_T3_T4_T5_mmT6_P12ihipStream_tbEUlT_E0_NS1_11comp_targetILNS1_3genE10ELNS1_11target_archE1201ELNS1_3gpuE5ELNS1_3repE0EEENS1_30default_config_static_selectorELNS0_4arch9wavefront6targetE0EEEvS10_.kd
    .uniform_work_group_size: 1
    .uses_dynamic_stack: false
    .vgpr_count:     0
    .vgpr_spill_count: 0
    .wavefront_size: 32
    .workgroup_processor_mode: 1
  - .args:
      - .offset:         0
        .size:           112
        .value_kind:     by_value
    .group_segment_fixed_size: 0
    .kernarg_segment_align: 8
    .kernarg_segment_size: 112
    .language:       OpenCL C
    .language_version:
      - 2
      - 0
    .max_flat_workgroup_size: 1024
    .name:           _ZN7rocprim17ROCPRIM_400000_NS6detail17trampoline_kernelINS0_14default_configENS1_21merge_config_selectorINS0_5tupleIJssEEENS0_10empty_typeEEEZNS1_10merge_implIS3_NS0_12zip_iteratorINS5_IJN6thrust23THRUST_200600_302600_NS6detail15normal_iteratorINSC_10device_ptrIKsEEEESI_EEEEESK_NSA_INS5_IJNSE_INSF_IsEEEESM_EEEEEPS7_SP_SP_NSC_11hip_rocprim7__merge17predicate_wrapperIssNSC_7greaterIsEEEEEE10hipError_tPvRmT0_T1_T2_T3_T4_T5_mmT6_P12ihipStream_tbEUlT_E0_NS1_11comp_targetILNS1_3genE10ELNS1_11target_archE1200ELNS1_3gpuE4ELNS1_3repE0EEENS1_30default_config_static_selectorELNS0_4arch9wavefront6targetE0EEEvS10_
    .private_segment_fixed_size: 0
    .sgpr_count:     0
    .sgpr_spill_count: 0
    .symbol:         _ZN7rocprim17ROCPRIM_400000_NS6detail17trampoline_kernelINS0_14default_configENS1_21merge_config_selectorINS0_5tupleIJssEEENS0_10empty_typeEEEZNS1_10merge_implIS3_NS0_12zip_iteratorINS5_IJN6thrust23THRUST_200600_302600_NS6detail15normal_iteratorINSC_10device_ptrIKsEEEESI_EEEEESK_NSA_INS5_IJNSE_INSF_IsEEEESM_EEEEEPS7_SP_SP_NSC_11hip_rocprim7__merge17predicate_wrapperIssNSC_7greaterIsEEEEEE10hipError_tPvRmT0_T1_T2_T3_T4_T5_mmT6_P12ihipStream_tbEUlT_E0_NS1_11comp_targetILNS1_3genE10ELNS1_11target_archE1200ELNS1_3gpuE4ELNS1_3repE0EEENS1_30default_config_static_selectorELNS0_4arch9wavefront6targetE0EEEvS10_.kd
    .uniform_work_group_size: 1
    .uses_dynamic_stack: false
    .vgpr_count:     0
    .vgpr_spill_count: 0
    .wavefront_size: 32
    .workgroup_processor_mode: 1
  - .args:
      - .offset:         0
        .size:           112
        .value_kind:     by_value
    .group_segment_fixed_size: 0
    .kernarg_segment_align: 8
    .kernarg_segment_size: 112
    .language:       OpenCL C
    .language_version:
      - 2
      - 0
    .max_flat_workgroup_size: 1024
    .name:           _ZN7rocprim17ROCPRIM_400000_NS6detail17trampoline_kernelINS0_14default_configENS1_21merge_config_selectorINS0_5tupleIJssEEENS0_10empty_typeEEEZNS1_10merge_implIS3_NS0_12zip_iteratorINS5_IJN6thrust23THRUST_200600_302600_NS6detail15normal_iteratorINSC_10device_ptrIKsEEEESI_EEEEESK_NSA_INS5_IJNSE_INSF_IsEEEESM_EEEEEPS7_SP_SP_NSC_11hip_rocprim7__merge17predicate_wrapperIssNSC_7greaterIsEEEEEE10hipError_tPvRmT0_T1_T2_T3_T4_T5_mmT6_P12ihipStream_tbEUlT_E0_NS1_11comp_targetILNS1_3genE9ELNS1_11target_archE1100ELNS1_3gpuE3ELNS1_3repE0EEENS1_30default_config_static_selectorELNS0_4arch9wavefront6targetE0EEEvS10_
    .private_segment_fixed_size: 0
    .sgpr_count:     0
    .sgpr_spill_count: 0
    .symbol:         _ZN7rocprim17ROCPRIM_400000_NS6detail17trampoline_kernelINS0_14default_configENS1_21merge_config_selectorINS0_5tupleIJssEEENS0_10empty_typeEEEZNS1_10merge_implIS3_NS0_12zip_iteratorINS5_IJN6thrust23THRUST_200600_302600_NS6detail15normal_iteratorINSC_10device_ptrIKsEEEESI_EEEEESK_NSA_INS5_IJNSE_INSF_IsEEEESM_EEEEEPS7_SP_SP_NSC_11hip_rocprim7__merge17predicate_wrapperIssNSC_7greaterIsEEEEEE10hipError_tPvRmT0_T1_T2_T3_T4_T5_mmT6_P12ihipStream_tbEUlT_E0_NS1_11comp_targetILNS1_3genE9ELNS1_11target_archE1100ELNS1_3gpuE3ELNS1_3repE0EEENS1_30default_config_static_selectorELNS0_4arch9wavefront6targetE0EEEvS10_.kd
    .uniform_work_group_size: 1
    .uses_dynamic_stack: false
    .vgpr_count:     0
    .vgpr_spill_count: 0
    .wavefront_size: 32
    .workgroup_processor_mode: 1
  - .args:
      - .offset:         0
        .size:           112
        .value_kind:     by_value
    .group_segment_fixed_size: 33792
    .kernarg_segment_align: 8
    .kernarg_segment_size: 112
    .language:       OpenCL C
    .language_version:
      - 2
      - 0
    .max_flat_workgroup_size: 1024
    .name:           _ZN7rocprim17ROCPRIM_400000_NS6detail17trampoline_kernelINS0_14default_configENS1_21merge_config_selectorINS0_5tupleIJssEEENS0_10empty_typeEEEZNS1_10merge_implIS3_NS0_12zip_iteratorINS5_IJN6thrust23THRUST_200600_302600_NS6detail15normal_iteratorINSC_10device_ptrIKsEEEESI_EEEEESK_NSA_INS5_IJNSE_INSF_IsEEEESM_EEEEEPS7_SP_SP_NSC_11hip_rocprim7__merge17predicate_wrapperIssNSC_7greaterIsEEEEEE10hipError_tPvRmT0_T1_T2_T3_T4_T5_mmT6_P12ihipStream_tbEUlT_E0_NS1_11comp_targetILNS1_3genE8ELNS1_11target_archE1030ELNS1_3gpuE2ELNS1_3repE0EEENS1_30default_config_static_selectorELNS0_4arch9wavefront6targetE0EEEvS10_
    .private_segment_fixed_size: 0
    .sgpr_count:     28
    .sgpr_spill_count: 0
    .symbol:         _ZN7rocprim17ROCPRIM_400000_NS6detail17trampoline_kernelINS0_14default_configENS1_21merge_config_selectorINS0_5tupleIJssEEENS0_10empty_typeEEEZNS1_10merge_implIS3_NS0_12zip_iteratorINS5_IJN6thrust23THRUST_200600_302600_NS6detail15normal_iteratorINSC_10device_ptrIKsEEEESI_EEEEESK_NSA_INS5_IJNSE_INSF_IsEEEESM_EEEEEPS7_SP_SP_NSC_11hip_rocprim7__merge17predicate_wrapperIssNSC_7greaterIsEEEEEE10hipError_tPvRmT0_T1_T2_T3_T4_T5_mmT6_P12ihipStream_tbEUlT_E0_NS1_11comp_targetILNS1_3genE8ELNS1_11target_archE1030ELNS1_3gpuE2ELNS1_3repE0EEENS1_30default_config_static_selectorELNS0_4arch9wavefront6targetE0EEEvS10_.kd
    .uniform_work_group_size: 1
    .uses_dynamic_stack: false
    .vgpr_count:     37
    .vgpr_spill_count: 0
    .wavefront_size: 32
    .workgroup_processor_mode: 1
  - .args:
      - .offset:         0
        .size:           64
        .value_kind:     by_value
    .group_segment_fixed_size: 0
    .kernarg_segment_align: 8
    .kernarg_segment_size: 64
    .language:       OpenCL C
    .language_version:
      - 2
      - 0
    .max_flat_workgroup_size: 512
    .name:           _ZN7rocprim17ROCPRIM_400000_NS6detail17trampoline_kernelINS0_14default_configENS1_21merge_config_selectorINS0_5tupleIJyyEEENS0_10empty_typeEEEZNS1_10merge_implIS3_NS0_12zip_iteratorINS5_IJN6thrust23THRUST_200600_302600_NS6detail15normal_iteratorINSC_10device_ptrIKyEEEESI_EEEEESK_NSA_INS5_IJNSE_INSF_IyEEEESM_EEEEEPS7_SP_SP_NSC_11hip_rocprim7__merge17predicate_wrapperIyyNSC_4lessImEEEEEE10hipError_tPvRmT0_T1_T2_T3_T4_T5_mmT6_P12ihipStream_tbEUlT_E_NS1_11comp_targetILNS1_3genE0ELNS1_11target_archE4294967295ELNS1_3gpuE0ELNS1_3repE0EEENS1_30default_config_static_selectorELNS0_4arch9wavefront6targetE0EEEvS10_
    .private_segment_fixed_size: 0
    .sgpr_count:     0
    .sgpr_spill_count: 0
    .symbol:         _ZN7rocprim17ROCPRIM_400000_NS6detail17trampoline_kernelINS0_14default_configENS1_21merge_config_selectorINS0_5tupleIJyyEEENS0_10empty_typeEEEZNS1_10merge_implIS3_NS0_12zip_iteratorINS5_IJN6thrust23THRUST_200600_302600_NS6detail15normal_iteratorINSC_10device_ptrIKyEEEESI_EEEEESK_NSA_INS5_IJNSE_INSF_IyEEEESM_EEEEEPS7_SP_SP_NSC_11hip_rocprim7__merge17predicate_wrapperIyyNSC_4lessImEEEEEE10hipError_tPvRmT0_T1_T2_T3_T4_T5_mmT6_P12ihipStream_tbEUlT_E_NS1_11comp_targetILNS1_3genE0ELNS1_11target_archE4294967295ELNS1_3gpuE0ELNS1_3repE0EEENS1_30default_config_static_selectorELNS0_4arch9wavefront6targetE0EEEvS10_.kd
    .uniform_work_group_size: 1
    .uses_dynamic_stack: false
    .vgpr_count:     0
    .vgpr_spill_count: 0
    .wavefront_size: 32
    .workgroup_processor_mode: 1
  - .args:
      - .offset:         0
        .size:           64
        .value_kind:     by_value
    .group_segment_fixed_size: 0
    .kernarg_segment_align: 8
    .kernarg_segment_size: 64
    .language:       OpenCL C
    .language_version:
      - 2
      - 0
    .max_flat_workgroup_size: 256
    .name:           _ZN7rocprim17ROCPRIM_400000_NS6detail17trampoline_kernelINS0_14default_configENS1_21merge_config_selectorINS0_5tupleIJyyEEENS0_10empty_typeEEEZNS1_10merge_implIS3_NS0_12zip_iteratorINS5_IJN6thrust23THRUST_200600_302600_NS6detail15normal_iteratorINSC_10device_ptrIKyEEEESI_EEEEESK_NSA_INS5_IJNSE_INSF_IyEEEESM_EEEEEPS7_SP_SP_NSC_11hip_rocprim7__merge17predicate_wrapperIyyNSC_4lessImEEEEEE10hipError_tPvRmT0_T1_T2_T3_T4_T5_mmT6_P12ihipStream_tbEUlT_E_NS1_11comp_targetILNS1_3genE5ELNS1_11target_archE942ELNS1_3gpuE9ELNS1_3repE0EEENS1_30default_config_static_selectorELNS0_4arch9wavefront6targetE0EEEvS10_
    .private_segment_fixed_size: 0
    .sgpr_count:     0
    .sgpr_spill_count: 0
    .symbol:         _ZN7rocprim17ROCPRIM_400000_NS6detail17trampoline_kernelINS0_14default_configENS1_21merge_config_selectorINS0_5tupleIJyyEEENS0_10empty_typeEEEZNS1_10merge_implIS3_NS0_12zip_iteratorINS5_IJN6thrust23THRUST_200600_302600_NS6detail15normal_iteratorINSC_10device_ptrIKyEEEESI_EEEEESK_NSA_INS5_IJNSE_INSF_IyEEEESM_EEEEEPS7_SP_SP_NSC_11hip_rocprim7__merge17predicate_wrapperIyyNSC_4lessImEEEEEE10hipError_tPvRmT0_T1_T2_T3_T4_T5_mmT6_P12ihipStream_tbEUlT_E_NS1_11comp_targetILNS1_3genE5ELNS1_11target_archE942ELNS1_3gpuE9ELNS1_3repE0EEENS1_30default_config_static_selectorELNS0_4arch9wavefront6targetE0EEEvS10_.kd
    .uniform_work_group_size: 1
    .uses_dynamic_stack: false
    .vgpr_count:     0
    .vgpr_spill_count: 0
    .wavefront_size: 32
    .workgroup_processor_mode: 1
  - .args:
      - .offset:         0
        .size:           64
        .value_kind:     by_value
    .group_segment_fixed_size: 0
    .kernarg_segment_align: 8
    .kernarg_segment_size: 64
    .language:       OpenCL C
    .language_version:
      - 2
      - 0
    .max_flat_workgroup_size: 512
    .name:           _ZN7rocprim17ROCPRIM_400000_NS6detail17trampoline_kernelINS0_14default_configENS1_21merge_config_selectorINS0_5tupleIJyyEEENS0_10empty_typeEEEZNS1_10merge_implIS3_NS0_12zip_iteratorINS5_IJN6thrust23THRUST_200600_302600_NS6detail15normal_iteratorINSC_10device_ptrIKyEEEESI_EEEEESK_NSA_INS5_IJNSE_INSF_IyEEEESM_EEEEEPS7_SP_SP_NSC_11hip_rocprim7__merge17predicate_wrapperIyyNSC_4lessImEEEEEE10hipError_tPvRmT0_T1_T2_T3_T4_T5_mmT6_P12ihipStream_tbEUlT_E_NS1_11comp_targetILNS1_3genE4ELNS1_11target_archE910ELNS1_3gpuE8ELNS1_3repE0EEENS1_30default_config_static_selectorELNS0_4arch9wavefront6targetE0EEEvS10_
    .private_segment_fixed_size: 0
    .sgpr_count:     0
    .sgpr_spill_count: 0
    .symbol:         _ZN7rocprim17ROCPRIM_400000_NS6detail17trampoline_kernelINS0_14default_configENS1_21merge_config_selectorINS0_5tupleIJyyEEENS0_10empty_typeEEEZNS1_10merge_implIS3_NS0_12zip_iteratorINS5_IJN6thrust23THRUST_200600_302600_NS6detail15normal_iteratorINSC_10device_ptrIKyEEEESI_EEEEESK_NSA_INS5_IJNSE_INSF_IyEEEESM_EEEEEPS7_SP_SP_NSC_11hip_rocprim7__merge17predicate_wrapperIyyNSC_4lessImEEEEEE10hipError_tPvRmT0_T1_T2_T3_T4_T5_mmT6_P12ihipStream_tbEUlT_E_NS1_11comp_targetILNS1_3genE4ELNS1_11target_archE910ELNS1_3gpuE8ELNS1_3repE0EEENS1_30default_config_static_selectorELNS0_4arch9wavefront6targetE0EEEvS10_.kd
    .uniform_work_group_size: 1
    .uses_dynamic_stack: false
    .vgpr_count:     0
    .vgpr_spill_count: 0
    .wavefront_size: 32
    .workgroup_processor_mode: 1
  - .args:
      - .offset:         0
        .size:           64
        .value_kind:     by_value
    .group_segment_fixed_size: 0
    .kernarg_segment_align: 8
    .kernarg_segment_size: 64
    .language:       OpenCL C
    .language_version:
      - 2
      - 0
    .max_flat_workgroup_size: 512
    .name:           _ZN7rocprim17ROCPRIM_400000_NS6detail17trampoline_kernelINS0_14default_configENS1_21merge_config_selectorINS0_5tupleIJyyEEENS0_10empty_typeEEEZNS1_10merge_implIS3_NS0_12zip_iteratorINS5_IJN6thrust23THRUST_200600_302600_NS6detail15normal_iteratorINSC_10device_ptrIKyEEEESI_EEEEESK_NSA_INS5_IJNSE_INSF_IyEEEESM_EEEEEPS7_SP_SP_NSC_11hip_rocprim7__merge17predicate_wrapperIyyNSC_4lessImEEEEEE10hipError_tPvRmT0_T1_T2_T3_T4_T5_mmT6_P12ihipStream_tbEUlT_E_NS1_11comp_targetILNS1_3genE3ELNS1_11target_archE908ELNS1_3gpuE7ELNS1_3repE0EEENS1_30default_config_static_selectorELNS0_4arch9wavefront6targetE0EEEvS10_
    .private_segment_fixed_size: 0
    .sgpr_count:     0
    .sgpr_spill_count: 0
    .symbol:         _ZN7rocprim17ROCPRIM_400000_NS6detail17trampoline_kernelINS0_14default_configENS1_21merge_config_selectorINS0_5tupleIJyyEEENS0_10empty_typeEEEZNS1_10merge_implIS3_NS0_12zip_iteratorINS5_IJN6thrust23THRUST_200600_302600_NS6detail15normal_iteratorINSC_10device_ptrIKyEEEESI_EEEEESK_NSA_INS5_IJNSE_INSF_IyEEEESM_EEEEEPS7_SP_SP_NSC_11hip_rocprim7__merge17predicate_wrapperIyyNSC_4lessImEEEEEE10hipError_tPvRmT0_T1_T2_T3_T4_T5_mmT6_P12ihipStream_tbEUlT_E_NS1_11comp_targetILNS1_3genE3ELNS1_11target_archE908ELNS1_3gpuE7ELNS1_3repE0EEENS1_30default_config_static_selectorELNS0_4arch9wavefront6targetE0EEEvS10_.kd
    .uniform_work_group_size: 1
    .uses_dynamic_stack: false
    .vgpr_count:     0
    .vgpr_spill_count: 0
    .wavefront_size: 32
    .workgroup_processor_mode: 1
  - .args:
      - .offset:         0
        .size:           64
        .value_kind:     by_value
    .group_segment_fixed_size: 0
    .kernarg_segment_align: 8
    .kernarg_segment_size: 64
    .language:       OpenCL C
    .language_version:
      - 2
      - 0
    .max_flat_workgroup_size: 512
    .name:           _ZN7rocprim17ROCPRIM_400000_NS6detail17trampoline_kernelINS0_14default_configENS1_21merge_config_selectorINS0_5tupleIJyyEEENS0_10empty_typeEEEZNS1_10merge_implIS3_NS0_12zip_iteratorINS5_IJN6thrust23THRUST_200600_302600_NS6detail15normal_iteratorINSC_10device_ptrIKyEEEESI_EEEEESK_NSA_INS5_IJNSE_INSF_IyEEEESM_EEEEEPS7_SP_SP_NSC_11hip_rocprim7__merge17predicate_wrapperIyyNSC_4lessImEEEEEE10hipError_tPvRmT0_T1_T2_T3_T4_T5_mmT6_P12ihipStream_tbEUlT_E_NS1_11comp_targetILNS1_3genE2ELNS1_11target_archE906ELNS1_3gpuE6ELNS1_3repE0EEENS1_30default_config_static_selectorELNS0_4arch9wavefront6targetE0EEEvS10_
    .private_segment_fixed_size: 0
    .sgpr_count:     0
    .sgpr_spill_count: 0
    .symbol:         _ZN7rocprim17ROCPRIM_400000_NS6detail17trampoline_kernelINS0_14default_configENS1_21merge_config_selectorINS0_5tupleIJyyEEENS0_10empty_typeEEEZNS1_10merge_implIS3_NS0_12zip_iteratorINS5_IJN6thrust23THRUST_200600_302600_NS6detail15normal_iteratorINSC_10device_ptrIKyEEEESI_EEEEESK_NSA_INS5_IJNSE_INSF_IyEEEESM_EEEEEPS7_SP_SP_NSC_11hip_rocprim7__merge17predicate_wrapperIyyNSC_4lessImEEEEEE10hipError_tPvRmT0_T1_T2_T3_T4_T5_mmT6_P12ihipStream_tbEUlT_E_NS1_11comp_targetILNS1_3genE2ELNS1_11target_archE906ELNS1_3gpuE6ELNS1_3repE0EEENS1_30default_config_static_selectorELNS0_4arch9wavefront6targetE0EEEvS10_.kd
    .uniform_work_group_size: 1
    .uses_dynamic_stack: false
    .vgpr_count:     0
    .vgpr_spill_count: 0
    .wavefront_size: 32
    .workgroup_processor_mode: 1
  - .args:
      - .offset:         0
        .size:           64
        .value_kind:     by_value
    .group_segment_fixed_size: 0
    .kernarg_segment_align: 8
    .kernarg_segment_size: 64
    .language:       OpenCL C
    .language_version:
      - 2
      - 0
    .max_flat_workgroup_size: 512
    .name:           _ZN7rocprim17ROCPRIM_400000_NS6detail17trampoline_kernelINS0_14default_configENS1_21merge_config_selectorINS0_5tupleIJyyEEENS0_10empty_typeEEEZNS1_10merge_implIS3_NS0_12zip_iteratorINS5_IJN6thrust23THRUST_200600_302600_NS6detail15normal_iteratorINSC_10device_ptrIKyEEEESI_EEEEESK_NSA_INS5_IJNSE_INSF_IyEEEESM_EEEEEPS7_SP_SP_NSC_11hip_rocprim7__merge17predicate_wrapperIyyNSC_4lessImEEEEEE10hipError_tPvRmT0_T1_T2_T3_T4_T5_mmT6_P12ihipStream_tbEUlT_E_NS1_11comp_targetILNS1_3genE10ELNS1_11target_archE1201ELNS1_3gpuE5ELNS1_3repE0EEENS1_30default_config_static_selectorELNS0_4arch9wavefront6targetE0EEEvS10_
    .private_segment_fixed_size: 0
    .sgpr_count:     0
    .sgpr_spill_count: 0
    .symbol:         _ZN7rocprim17ROCPRIM_400000_NS6detail17trampoline_kernelINS0_14default_configENS1_21merge_config_selectorINS0_5tupleIJyyEEENS0_10empty_typeEEEZNS1_10merge_implIS3_NS0_12zip_iteratorINS5_IJN6thrust23THRUST_200600_302600_NS6detail15normal_iteratorINSC_10device_ptrIKyEEEESI_EEEEESK_NSA_INS5_IJNSE_INSF_IyEEEESM_EEEEEPS7_SP_SP_NSC_11hip_rocprim7__merge17predicate_wrapperIyyNSC_4lessImEEEEEE10hipError_tPvRmT0_T1_T2_T3_T4_T5_mmT6_P12ihipStream_tbEUlT_E_NS1_11comp_targetILNS1_3genE10ELNS1_11target_archE1201ELNS1_3gpuE5ELNS1_3repE0EEENS1_30default_config_static_selectorELNS0_4arch9wavefront6targetE0EEEvS10_.kd
    .uniform_work_group_size: 1
    .uses_dynamic_stack: false
    .vgpr_count:     0
    .vgpr_spill_count: 0
    .wavefront_size: 32
    .workgroup_processor_mode: 1
  - .args:
      - .offset:         0
        .size:           64
        .value_kind:     by_value
    .group_segment_fixed_size: 0
    .kernarg_segment_align: 8
    .kernarg_segment_size: 64
    .language:       OpenCL C
    .language_version:
      - 2
      - 0
    .max_flat_workgroup_size: 256
    .name:           _ZN7rocprim17ROCPRIM_400000_NS6detail17trampoline_kernelINS0_14default_configENS1_21merge_config_selectorINS0_5tupleIJyyEEENS0_10empty_typeEEEZNS1_10merge_implIS3_NS0_12zip_iteratorINS5_IJN6thrust23THRUST_200600_302600_NS6detail15normal_iteratorINSC_10device_ptrIKyEEEESI_EEEEESK_NSA_INS5_IJNSE_INSF_IyEEEESM_EEEEEPS7_SP_SP_NSC_11hip_rocprim7__merge17predicate_wrapperIyyNSC_4lessImEEEEEE10hipError_tPvRmT0_T1_T2_T3_T4_T5_mmT6_P12ihipStream_tbEUlT_E_NS1_11comp_targetILNS1_3genE10ELNS1_11target_archE1200ELNS1_3gpuE4ELNS1_3repE0EEENS1_30default_config_static_selectorELNS0_4arch9wavefront6targetE0EEEvS10_
    .private_segment_fixed_size: 0
    .sgpr_count:     0
    .sgpr_spill_count: 0
    .symbol:         _ZN7rocprim17ROCPRIM_400000_NS6detail17trampoline_kernelINS0_14default_configENS1_21merge_config_selectorINS0_5tupleIJyyEEENS0_10empty_typeEEEZNS1_10merge_implIS3_NS0_12zip_iteratorINS5_IJN6thrust23THRUST_200600_302600_NS6detail15normal_iteratorINSC_10device_ptrIKyEEEESI_EEEEESK_NSA_INS5_IJNSE_INSF_IyEEEESM_EEEEEPS7_SP_SP_NSC_11hip_rocprim7__merge17predicate_wrapperIyyNSC_4lessImEEEEEE10hipError_tPvRmT0_T1_T2_T3_T4_T5_mmT6_P12ihipStream_tbEUlT_E_NS1_11comp_targetILNS1_3genE10ELNS1_11target_archE1200ELNS1_3gpuE4ELNS1_3repE0EEENS1_30default_config_static_selectorELNS0_4arch9wavefront6targetE0EEEvS10_.kd
    .uniform_work_group_size: 1
    .uses_dynamic_stack: false
    .vgpr_count:     0
    .vgpr_spill_count: 0
    .wavefront_size: 32
    .workgroup_processor_mode: 1
  - .args:
      - .offset:         0
        .size:           64
        .value_kind:     by_value
    .group_segment_fixed_size: 0
    .kernarg_segment_align: 8
    .kernarg_segment_size: 64
    .language:       OpenCL C
    .language_version:
      - 2
      - 0
    .max_flat_workgroup_size: 1024
    .name:           _ZN7rocprim17ROCPRIM_400000_NS6detail17trampoline_kernelINS0_14default_configENS1_21merge_config_selectorINS0_5tupleIJyyEEENS0_10empty_typeEEEZNS1_10merge_implIS3_NS0_12zip_iteratorINS5_IJN6thrust23THRUST_200600_302600_NS6detail15normal_iteratorINSC_10device_ptrIKyEEEESI_EEEEESK_NSA_INS5_IJNSE_INSF_IyEEEESM_EEEEEPS7_SP_SP_NSC_11hip_rocprim7__merge17predicate_wrapperIyyNSC_4lessImEEEEEE10hipError_tPvRmT0_T1_T2_T3_T4_T5_mmT6_P12ihipStream_tbEUlT_E_NS1_11comp_targetILNS1_3genE9ELNS1_11target_archE1100ELNS1_3gpuE3ELNS1_3repE0EEENS1_30default_config_static_selectorELNS0_4arch9wavefront6targetE0EEEvS10_
    .private_segment_fixed_size: 0
    .sgpr_count:     0
    .sgpr_spill_count: 0
    .symbol:         _ZN7rocprim17ROCPRIM_400000_NS6detail17trampoline_kernelINS0_14default_configENS1_21merge_config_selectorINS0_5tupleIJyyEEENS0_10empty_typeEEEZNS1_10merge_implIS3_NS0_12zip_iteratorINS5_IJN6thrust23THRUST_200600_302600_NS6detail15normal_iteratorINSC_10device_ptrIKyEEEESI_EEEEESK_NSA_INS5_IJNSE_INSF_IyEEEESM_EEEEEPS7_SP_SP_NSC_11hip_rocprim7__merge17predicate_wrapperIyyNSC_4lessImEEEEEE10hipError_tPvRmT0_T1_T2_T3_T4_T5_mmT6_P12ihipStream_tbEUlT_E_NS1_11comp_targetILNS1_3genE9ELNS1_11target_archE1100ELNS1_3gpuE3ELNS1_3repE0EEENS1_30default_config_static_selectorELNS0_4arch9wavefront6targetE0EEEvS10_.kd
    .uniform_work_group_size: 1
    .uses_dynamic_stack: false
    .vgpr_count:     0
    .vgpr_spill_count: 0
    .wavefront_size: 32
    .workgroup_processor_mode: 1
  - .args:
      - .offset:         0
        .size:           64
        .value_kind:     by_value
      - .offset:         64
        .size:           4
        .value_kind:     hidden_block_count_x
      - .offset:         68
        .size:           4
        .value_kind:     hidden_block_count_y
      - .offset:         72
        .size:           4
        .value_kind:     hidden_block_count_z
      - .offset:         76
        .size:           2
        .value_kind:     hidden_group_size_x
      - .offset:         78
        .size:           2
        .value_kind:     hidden_group_size_y
      - .offset:         80
        .size:           2
        .value_kind:     hidden_group_size_z
      - .offset:         82
        .size:           2
        .value_kind:     hidden_remainder_x
      - .offset:         84
        .size:           2
        .value_kind:     hidden_remainder_y
      - .offset:         86
        .size:           2
        .value_kind:     hidden_remainder_z
      - .offset:         104
        .size:           8
        .value_kind:     hidden_global_offset_x
      - .offset:         112
        .size:           8
        .value_kind:     hidden_global_offset_y
      - .offset:         120
        .size:           8
        .value_kind:     hidden_global_offset_z
      - .offset:         128
        .size:           2
        .value_kind:     hidden_grid_dims
    .group_segment_fixed_size: 0
    .kernarg_segment_align: 8
    .kernarg_segment_size: 320
    .language:       OpenCL C
    .language_version:
      - 2
      - 0
    .max_flat_workgroup_size: 256
    .name:           _ZN7rocprim17ROCPRIM_400000_NS6detail17trampoline_kernelINS0_14default_configENS1_21merge_config_selectorINS0_5tupleIJyyEEENS0_10empty_typeEEEZNS1_10merge_implIS3_NS0_12zip_iteratorINS5_IJN6thrust23THRUST_200600_302600_NS6detail15normal_iteratorINSC_10device_ptrIKyEEEESI_EEEEESK_NSA_INS5_IJNSE_INSF_IyEEEESM_EEEEEPS7_SP_SP_NSC_11hip_rocprim7__merge17predicate_wrapperIyyNSC_4lessImEEEEEE10hipError_tPvRmT0_T1_T2_T3_T4_T5_mmT6_P12ihipStream_tbEUlT_E_NS1_11comp_targetILNS1_3genE8ELNS1_11target_archE1030ELNS1_3gpuE2ELNS1_3repE0EEENS1_30default_config_static_selectorELNS0_4arch9wavefront6targetE0EEEvS10_
    .private_segment_fixed_size: 0
    .sgpr_count:     18
    .sgpr_spill_count: 0
    .symbol:         _ZN7rocprim17ROCPRIM_400000_NS6detail17trampoline_kernelINS0_14default_configENS1_21merge_config_selectorINS0_5tupleIJyyEEENS0_10empty_typeEEEZNS1_10merge_implIS3_NS0_12zip_iteratorINS5_IJN6thrust23THRUST_200600_302600_NS6detail15normal_iteratorINSC_10device_ptrIKyEEEESI_EEEEESK_NSA_INS5_IJNSE_INSF_IyEEEESM_EEEEEPS7_SP_SP_NSC_11hip_rocprim7__merge17predicate_wrapperIyyNSC_4lessImEEEEEE10hipError_tPvRmT0_T1_T2_T3_T4_T5_mmT6_P12ihipStream_tbEUlT_E_NS1_11comp_targetILNS1_3genE8ELNS1_11target_archE1030ELNS1_3gpuE2ELNS1_3repE0EEENS1_30default_config_static_selectorELNS0_4arch9wavefront6targetE0EEEvS10_.kd
    .uniform_work_group_size: 1
    .uses_dynamic_stack: false
    .vgpr_count:     14
    .vgpr_spill_count: 0
    .wavefront_size: 32
    .workgroup_processor_mode: 1
  - .args:
      - .offset:         0
        .size:           112
        .value_kind:     by_value
    .group_segment_fixed_size: 0
    .kernarg_segment_align: 8
    .kernarg_segment_size: 112
    .language:       OpenCL C
    .language_version:
      - 2
      - 0
    .max_flat_workgroup_size: 512
    .name:           _ZN7rocprim17ROCPRIM_400000_NS6detail17trampoline_kernelINS0_14default_configENS1_21merge_config_selectorINS0_5tupleIJyyEEENS0_10empty_typeEEEZNS1_10merge_implIS3_NS0_12zip_iteratorINS5_IJN6thrust23THRUST_200600_302600_NS6detail15normal_iteratorINSC_10device_ptrIKyEEEESI_EEEEESK_NSA_INS5_IJNSE_INSF_IyEEEESM_EEEEEPS7_SP_SP_NSC_11hip_rocprim7__merge17predicate_wrapperIyyNSC_4lessImEEEEEE10hipError_tPvRmT0_T1_T2_T3_T4_T5_mmT6_P12ihipStream_tbEUlT_E0_NS1_11comp_targetILNS1_3genE0ELNS1_11target_archE4294967295ELNS1_3gpuE0ELNS1_3repE0EEENS1_30default_config_static_selectorELNS0_4arch9wavefront6targetE0EEEvS10_
    .private_segment_fixed_size: 0
    .sgpr_count:     0
    .sgpr_spill_count: 0
    .symbol:         _ZN7rocprim17ROCPRIM_400000_NS6detail17trampoline_kernelINS0_14default_configENS1_21merge_config_selectorINS0_5tupleIJyyEEENS0_10empty_typeEEEZNS1_10merge_implIS3_NS0_12zip_iteratorINS5_IJN6thrust23THRUST_200600_302600_NS6detail15normal_iteratorINSC_10device_ptrIKyEEEESI_EEEEESK_NSA_INS5_IJNSE_INSF_IyEEEESM_EEEEEPS7_SP_SP_NSC_11hip_rocprim7__merge17predicate_wrapperIyyNSC_4lessImEEEEEE10hipError_tPvRmT0_T1_T2_T3_T4_T5_mmT6_P12ihipStream_tbEUlT_E0_NS1_11comp_targetILNS1_3genE0ELNS1_11target_archE4294967295ELNS1_3gpuE0ELNS1_3repE0EEENS1_30default_config_static_selectorELNS0_4arch9wavefront6targetE0EEEvS10_.kd
    .uniform_work_group_size: 1
    .uses_dynamic_stack: false
    .vgpr_count:     0
    .vgpr_spill_count: 0
    .wavefront_size: 32
    .workgroup_processor_mode: 1
  - .args:
      - .offset:         0
        .size:           112
        .value_kind:     by_value
    .group_segment_fixed_size: 0
    .kernarg_segment_align: 8
    .kernarg_segment_size: 112
    .language:       OpenCL C
    .language_version:
      - 2
      - 0
    .max_flat_workgroup_size: 256
    .name:           _ZN7rocprim17ROCPRIM_400000_NS6detail17trampoline_kernelINS0_14default_configENS1_21merge_config_selectorINS0_5tupleIJyyEEENS0_10empty_typeEEEZNS1_10merge_implIS3_NS0_12zip_iteratorINS5_IJN6thrust23THRUST_200600_302600_NS6detail15normal_iteratorINSC_10device_ptrIKyEEEESI_EEEEESK_NSA_INS5_IJNSE_INSF_IyEEEESM_EEEEEPS7_SP_SP_NSC_11hip_rocprim7__merge17predicate_wrapperIyyNSC_4lessImEEEEEE10hipError_tPvRmT0_T1_T2_T3_T4_T5_mmT6_P12ihipStream_tbEUlT_E0_NS1_11comp_targetILNS1_3genE5ELNS1_11target_archE942ELNS1_3gpuE9ELNS1_3repE0EEENS1_30default_config_static_selectorELNS0_4arch9wavefront6targetE0EEEvS10_
    .private_segment_fixed_size: 0
    .sgpr_count:     0
    .sgpr_spill_count: 0
    .symbol:         _ZN7rocprim17ROCPRIM_400000_NS6detail17trampoline_kernelINS0_14default_configENS1_21merge_config_selectorINS0_5tupleIJyyEEENS0_10empty_typeEEEZNS1_10merge_implIS3_NS0_12zip_iteratorINS5_IJN6thrust23THRUST_200600_302600_NS6detail15normal_iteratorINSC_10device_ptrIKyEEEESI_EEEEESK_NSA_INS5_IJNSE_INSF_IyEEEESM_EEEEEPS7_SP_SP_NSC_11hip_rocprim7__merge17predicate_wrapperIyyNSC_4lessImEEEEEE10hipError_tPvRmT0_T1_T2_T3_T4_T5_mmT6_P12ihipStream_tbEUlT_E0_NS1_11comp_targetILNS1_3genE5ELNS1_11target_archE942ELNS1_3gpuE9ELNS1_3repE0EEENS1_30default_config_static_selectorELNS0_4arch9wavefront6targetE0EEEvS10_.kd
    .uniform_work_group_size: 1
    .uses_dynamic_stack: false
    .vgpr_count:     0
    .vgpr_spill_count: 0
    .wavefront_size: 32
    .workgroup_processor_mode: 1
  - .args:
      - .offset:         0
        .size:           112
        .value_kind:     by_value
    .group_segment_fixed_size: 0
    .kernarg_segment_align: 8
    .kernarg_segment_size: 112
    .language:       OpenCL C
    .language_version:
      - 2
      - 0
    .max_flat_workgroup_size: 512
    .name:           _ZN7rocprim17ROCPRIM_400000_NS6detail17trampoline_kernelINS0_14default_configENS1_21merge_config_selectorINS0_5tupleIJyyEEENS0_10empty_typeEEEZNS1_10merge_implIS3_NS0_12zip_iteratorINS5_IJN6thrust23THRUST_200600_302600_NS6detail15normal_iteratorINSC_10device_ptrIKyEEEESI_EEEEESK_NSA_INS5_IJNSE_INSF_IyEEEESM_EEEEEPS7_SP_SP_NSC_11hip_rocprim7__merge17predicate_wrapperIyyNSC_4lessImEEEEEE10hipError_tPvRmT0_T1_T2_T3_T4_T5_mmT6_P12ihipStream_tbEUlT_E0_NS1_11comp_targetILNS1_3genE4ELNS1_11target_archE910ELNS1_3gpuE8ELNS1_3repE0EEENS1_30default_config_static_selectorELNS0_4arch9wavefront6targetE0EEEvS10_
    .private_segment_fixed_size: 0
    .sgpr_count:     0
    .sgpr_spill_count: 0
    .symbol:         _ZN7rocprim17ROCPRIM_400000_NS6detail17trampoline_kernelINS0_14default_configENS1_21merge_config_selectorINS0_5tupleIJyyEEENS0_10empty_typeEEEZNS1_10merge_implIS3_NS0_12zip_iteratorINS5_IJN6thrust23THRUST_200600_302600_NS6detail15normal_iteratorINSC_10device_ptrIKyEEEESI_EEEEESK_NSA_INS5_IJNSE_INSF_IyEEEESM_EEEEEPS7_SP_SP_NSC_11hip_rocprim7__merge17predicate_wrapperIyyNSC_4lessImEEEEEE10hipError_tPvRmT0_T1_T2_T3_T4_T5_mmT6_P12ihipStream_tbEUlT_E0_NS1_11comp_targetILNS1_3genE4ELNS1_11target_archE910ELNS1_3gpuE8ELNS1_3repE0EEENS1_30default_config_static_selectorELNS0_4arch9wavefront6targetE0EEEvS10_.kd
    .uniform_work_group_size: 1
    .uses_dynamic_stack: false
    .vgpr_count:     0
    .vgpr_spill_count: 0
    .wavefront_size: 32
    .workgroup_processor_mode: 1
  - .args:
      - .offset:         0
        .size:           112
        .value_kind:     by_value
    .group_segment_fixed_size: 0
    .kernarg_segment_align: 8
    .kernarg_segment_size: 112
    .language:       OpenCL C
    .language_version:
      - 2
      - 0
    .max_flat_workgroup_size: 512
    .name:           _ZN7rocprim17ROCPRIM_400000_NS6detail17trampoline_kernelINS0_14default_configENS1_21merge_config_selectorINS0_5tupleIJyyEEENS0_10empty_typeEEEZNS1_10merge_implIS3_NS0_12zip_iteratorINS5_IJN6thrust23THRUST_200600_302600_NS6detail15normal_iteratorINSC_10device_ptrIKyEEEESI_EEEEESK_NSA_INS5_IJNSE_INSF_IyEEEESM_EEEEEPS7_SP_SP_NSC_11hip_rocprim7__merge17predicate_wrapperIyyNSC_4lessImEEEEEE10hipError_tPvRmT0_T1_T2_T3_T4_T5_mmT6_P12ihipStream_tbEUlT_E0_NS1_11comp_targetILNS1_3genE3ELNS1_11target_archE908ELNS1_3gpuE7ELNS1_3repE0EEENS1_30default_config_static_selectorELNS0_4arch9wavefront6targetE0EEEvS10_
    .private_segment_fixed_size: 0
    .sgpr_count:     0
    .sgpr_spill_count: 0
    .symbol:         _ZN7rocprim17ROCPRIM_400000_NS6detail17trampoline_kernelINS0_14default_configENS1_21merge_config_selectorINS0_5tupleIJyyEEENS0_10empty_typeEEEZNS1_10merge_implIS3_NS0_12zip_iteratorINS5_IJN6thrust23THRUST_200600_302600_NS6detail15normal_iteratorINSC_10device_ptrIKyEEEESI_EEEEESK_NSA_INS5_IJNSE_INSF_IyEEEESM_EEEEEPS7_SP_SP_NSC_11hip_rocprim7__merge17predicate_wrapperIyyNSC_4lessImEEEEEE10hipError_tPvRmT0_T1_T2_T3_T4_T5_mmT6_P12ihipStream_tbEUlT_E0_NS1_11comp_targetILNS1_3genE3ELNS1_11target_archE908ELNS1_3gpuE7ELNS1_3repE0EEENS1_30default_config_static_selectorELNS0_4arch9wavefront6targetE0EEEvS10_.kd
    .uniform_work_group_size: 1
    .uses_dynamic_stack: false
    .vgpr_count:     0
    .vgpr_spill_count: 0
    .wavefront_size: 32
    .workgroup_processor_mode: 1
  - .args:
      - .offset:         0
        .size:           112
        .value_kind:     by_value
    .group_segment_fixed_size: 0
    .kernarg_segment_align: 8
    .kernarg_segment_size: 112
    .language:       OpenCL C
    .language_version:
      - 2
      - 0
    .max_flat_workgroup_size: 512
    .name:           _ZN7rocprim17ROCPRIM_400000_NS6detail17trampoline_kernelINS0_14default_configENS1_21merge_config_selectorINS0_5tupleIJyyEEENS0_10empty_typeEEEZNS1_10merge_implIS3_NS0_12zip_iteratorINS5_IJN6thrust23THRUST_200600_302600_NS6detail15normal_iteratorINSC_10device_ptrIKyEEEESI_EEEEESK_NSA_INS5_IJNSE_INSF_IyEEEESM_EEEEEPS7_SP_SP_NSC_11hip_rocprim7__merge17predicate_wrapperIyyNSC_4lessImEEEEEE10hipError_tPvRmT0_T1_T2_T3_T4_T5_mmT6_P12ihipStream_tbEUlT_E0_NS1_11comp_targetILNS1_3genE2ELNS1_11target_archE906ELNS1_3gpuE6ELNS1_3repE0EEENS1_30default_config_static_selectorELNS0_4arch9wavefront6targetE0EEEvS10_
    .private_segment_fixed_size: 0
    .sgpr_count:     0
    .sgpr_spill_count: 0
    .symbol:         _ZN7rocprim17ROCPRIM_400000_NS6detail17trampoline_kernelINS0_14default_configENS1_21merge_config_selectorINS0_5tupleIJyyEEENS0_10empty_typeEEEZNS1_10merge_implIS3_NS0_12zip_iteratorINS5_IJN6thrust23THRUST_200600_302600_NS6detail15normal_iteratorINSC_10device_ptrIKyEEEESI_EEEEESK_NSA_INS5_IJNSE_INSF_IyEEEESM_EEEEEPS7_SP_SP_NSC_11hip_rocprim7__merge17predicate_wrapperIyyNSC_4lessImEEEEEE10hipError_tPvRmT0_T1_T2_T3_T4_T5_mmT6_P12ihipStream_tbEUlT_E0_NS1_11comp_targetILNS1_3genE2ELNS1_11target_archE906ELNS1_3gpuE6ELNS1_3repE0EEENS1_30default_config_static_selectorELNS0_4arch9wavefront6targetE0EEEvS10_.kd
    .uniform_work_group_size: 1
    .uses_dynamic_stack: false
    .vgpr_count:     0
    .vgpr_spill_count: 0
    .wavefront_size: 32
    .workgroup_processor_mode: 1
  - .args:
      - .offset:         0
        .size:           112
        .value_kind:     by_value
    .group_segment_fixed_size: 0
    .kernarg_segment_align: 8
    .kernarg_segment_size: 112
    .language:       OpenCL C
    .language_version:
      - 2
      - 0
    .max_flat_workgroup_size: 512
    .name:           _ZN7rocprim17ROCPRIM_400000_NS6detail17trampoline_kernelINS0_14default_configENS1_21merge_config_selectorINS0_5tupleIJyyEEENS0_10empty_typeEEEZNS1_10merge_implIS3_NS0_12zip_iteratorINS5_IJN6thrust23THRUST_200600_302600_NS6detail15normal_iteratorINSC_10device_ptrIKyEEEESI_EEEEESK_NSA_INS5_IJNSE_INSF_IyEEEESM_EEEEEPS7_SP_SP_NSC_11hip_rocprim7__merge17predicate_wrapperIyyNSC_4lessImEEEEEE10hipError_tPvRmT0_T1_T2_T3_T4_T5_mmT6_P12ihipStream_tbEUlT_E0_NS1_11comp_targetILNS1_3genE10ELNS1_11target_archE1201ELNS1_3gpuE5ELNS1_3repE0EEENS1_30default_config_static_selectorELNS0_4arch9wavefront6targetE0EEEvS10_
    .private_segment_fixed_size: 0
    .sgpr_count:     0
    .sgpr_spill_count: 0
    .symbol:         _ZN7rocprim17ROCPRIM_400000_NS6detail17trampoline_kernelINS0_14default_configENS1_21merge_config_selectorINS0_5tupleIJyyEEENS0_10empty_typeEEEZNS1_10merge_implIS3_NS0_12zip_iteratorINS5_IJN6thrust23THRUST_200600_302600_NS6detail15normal_iteratorINSC_10device_ptrIKyEEEESI_EEEEESK_NSA_INS5_IJNSE_INSF_IyEEEESM_EEEEEPS7_SP_SP_NSC_11hip_rocprim7__merge17predicate_wrapperIyyNSC_4lessImEEEEEE10hipError_tPvRmT0_T1_T2_T3_T4_T5_mmT6_P12ihipStream_tbEUlT_E0_NS1_11comp_targetILNS1_3genE10ELNS1_11target_archE1201ELNS1_3gpuE5ELNS1_3repE0EEENS1_30default_config_static_selectorELNS0_4arch9wavefront6targetE0EEEvS10_.kd
    .uniform_work_group_size: 1
    .uses_dynamic_stack: false
    .vgpr_count:     0
    .vgpr_spill_count: 0
    .wavefront_size: 32
    .workgroup_processor_mode: 1
  - .args:
      - .offset:         0
        .size:           112
        .value_kind:     by_value
    .group_segment_fixed_size: 0
    .kernarg_segment_align: 8
    .kernarg_segment_size: 112
    .language:       OpenCL C
    .language_version:
      - 2
      - 0
    .max_flat_workgroup_size: 256
    .name:           _ZN7rocprim17ROCPRIM_400000_NS6detail17trampoline_kernelINS0_14default_configENS1_21merge_config_selectorINS0_5tupleIJyyEEENS0_10empty_typeEEEZNS1_10merge_implIS3_NS0_12zip_iteratorINS5_IJN6thrust23THRUST_200600_302600_NS6detail15normal_iteratorINSC_10device_ptrIKyEEEESI_EEEEESK_NSA_INS5_IJNSE_INSF_IyEEEESM_EEEEEPS7_SP_SP_NSC_11hip_rocprim7__merge17predicate_wrapperIyyNSC_4lessImEEEEEE10hipError_tPvRmT0_T1_T2_T3_T4_T5_mmT6_P12ihipStream_tbEUlT_E0_NS1_11comp_targetILNS1_3genE10ELNS1_11target_archE1200ELNS1_3gpuE4ELNS1_3repE0EEENS1_30default_config_static_selectorELNS0_4arch9wavefront6targetE0EEEvS10_
    .private_segment_fixed_size: 0
    .sgpr_count:     0
    .sgpr_spill_count: 0
    .symbol:         _ZN7rocprim17ROCPRIM_400000_NS6detail17trampoline_kernelINS0_14default_configENS1_21merge_config_selectorINS0_5tupleIJyyEEENS0_10empty_typeEEEZNS1_10merge_implIS3_NS0_12zip_iteratorINS5_IJN6thrust23THRUST_200600_302600_NS6detail15normal_iteratorINSC_10device_ptrIKyEEEESI_EEEEESK_NSA_INS5_IJNSE_INSF_IyEEEESM_EEEEEPS7_SP_SP_NSC_11hip_rocprim7__merge17predicate_wrapperIyyNSC_4lessImEEEEEE10hipError_tPvRmT0_T1_T2_T3_T4_T5_mmT6_P12ihipStream_tbEUlT_E0_NS1_11comp_targetILNS1_3genE10ELNS1_11target_archE1200ELNS1_3gpuE4ELNS1_3repE0EEENS1_30default_config_static_selectorELNS0_4arch9wavefront6targetE0EEEvS10_.kd
    .uniform_work_group_size: 1
    .uses_dynamic_stack: false
    .vgpr_count:     0
    .vgpr_spill_count: 0
    .wavefront_size: 32
    .workgroup_processor_mode: 1
  - .args:
      - .offset:         0
        .size:           112
        .value_kind:     by_value
    .group_segment_fixed_size: 0
    .kernarg_segment_align: 8
    .kernarg_segment_size: 112
    .language:       OpenCL C
    .language_version:
      - 2
      - 0
    .max_flat_workgroup_size: 1024
    .name:           _ZN7rocprim17ROCPRIM_400000_NS6detail17trampoline_kernelINS0_14default_configENS1_21merge_config_selectorINS0_5tupleIJyyEEENS0_10empty_typeEEEZNS1_10merge_implIS3_NS0_12zip_iteratorINS5_IJN6thrust23THRUST_200600_302600_NS6detail15normal_iteratorINSC_10device_ptrIKyEEEESI_EEEEESK_NSA_INS5_IJNSE_INSF_IyEEEESM_EEEEEPS7_SP_SP_NSC_11hip_rocprim7__merge17predicate_wrapperIyyNSC_4lessImEEEEEE10hipError_tPvRmT0_T1_T2_T3_T4_T5_mmT6_P12ihipStream_tbEUlT_E0_NS1_11comp_targetILNS1_3genE9ELNS1_11target_archE1100ELNS1_3gpuE3ELNS1_3repE0EEENS1_30default_config_static_selectorELNS0_4arch9wavefront6targetE0EEEvS10_
    .private_segment_fixed_size: 0
    .sgpr_count:     0
    .sgpr_spill_count: 0
    .symbol:         _ZN7rocprim17ROCPRIM_400000_NS6detail17trampoline_kernelINS0_14default_configENS1_21merge_config_selectorINS0_5tupleIJyyEEENS0_10empty_typeEEEZNS1_10merge_implIS3_NS0_12zip_iteratorINS5_IJN6thrust23THRUST_200600_302600_NS6detail15normal_iteratorINSC_10device_ptrIKyEEEESI_EEEEESK_NSA_INS5_IJNSE_INSF_IyEEEESM_EEEEEPS7_SP_SP_NSC_11hip_rocprim7__merge17predicate_wrapperIyyNSC_4lessImEEEEEE10hipError_tPvRmT0_T1_T2_T3_T4_T5_mmT6_P12ihipStream_tbEUlT_E0_NS1_11comp_targetILNS1_3genE9ELNS1_11target_archE1100ELNS1_3gpuE3ELNS1_3repE0EEENS1_30default_config_static_selectorELNS0_4arch9wavefront6targetE0EEEvS10_.kd
    .uniform_work_group_size: 1
    .uses_dynamic_stack: false
    .vgpr_count:     0
    .vgpr_spill_count: 0
    .wavefront_size: 32
    .workgroup_processor_mode: 1
  - .args:
      - .offset:         0
        .size:           112
        .value_kind:     by_value
    .group_segment_fixed_size: 33792
    .kernarg_segment_align: 8
    .kernarg_segment_size: 112
    .language:       OpenCL C
    .language_version:
      - 2
      - 0
    .max_flat_workgroup_size: 256
    .name:           _ZN7rocprim17ROCPRIM_400000_NS6detail17trampoline_kernelINS0_14default_configENS1_21merge_config_selectorINS0_5tupleIJyyEEENS0_10empty_typeEEEZNS1_10merge_implIS3_NS0_12zip_iteratorINS5_IJN6thrust23THRUST_200600_302600_NS6detail15normal_iteratorINSC_10device_ptrIKyEEEESI_EEEEESK_NSA_INS5_IJNSE_INSF_IyEEEESM_EEEEEPS7_SP_SP_NSC_11hip_rocprim7__merge17predicate_wrapperIyyNSC_4lessImEEEEEE10hipError_tPvRmT0_T1_T2_T3_T4_T5_mmT6_P12ihipStream_tbEUlT_E0_NS1_11comp_targetILNS1_3genE8ELNS1_11target_archE1030ELNS1_3gpuE2ELNS1_3repE0EEENS1_30default_config_static_selectorELNS0_4arch9wavefront6targetE0EEEvS10_
    .private_segment_fixed_size: 0
    .sgpr_count:     28
    .sgpr_spill_count: 0
    .symbol:         _ZN7rocprim17ROCPRIM_400000_NS6detail17trampoline_kernelINS0_14default_configENS1_21merge_config_selectorINS0_5tupleIJyyEEENS0_10empty_typeEEEZNS1_10merge_implIS3_NS0_12zip_iteratorINS5_IJN6thrust23THRUST_200600_302600_NS6detail15normal_iteratorINSC_10device_ptrIKyEEEESI_EEEEESK_NSA_INS5_IJNSE_INSF_IyEEEESM_EEEEEPS7_SP_SP_NSC_11hip_rocprim7__merge17predicate_wrapperIyyNSC_4lessImEEEEEE10hipError_tPvRmT0_T1_T2_T3_T4_T5_mmT6_P12ihipStream_tbEUlT_E0_NS1_11comp_targetILNS1_3genE8ELNS1_11target_archE1030ELNS1_3gpuE2ELNS1_3repE0EEENS1_30default_config_static_selectorELNS0_4arch9wavefront6targetE0EEEvS10_.kd
    .uniform_work_group_size: 1
    .uses_dynamic_stack: false
    .vgpr_count:     63
    .vgpr_spill_count: 0
    .wavefront_size: 32
    .workgroup_processor_mode: 1
  - .args:
      - .offset:         0
        .size:           64
        .value_kind:     by_value
    .group_segment_fixed_size: 0
    .kernarg_segment_align: 8
    .kernarg_segment_size: 64
    .language:       OpenCL C
    .language_version:
      - 2
      - 0
    .max_flat_workgroup_size: 512
    .name:           _ZN7rocprim17ROCPRIM_400000_NS6detail17trampoline_kernelINS0_14default_configENS1_21merge_config_selectorINS0_5tupleIJddEEENS0_10empty_typeEEEZNS1_10merge_implIS3_NS0_12zip_iteratorINS5_IJN6thrust23THRUST_200600_302600_NS6detail15normal_iteratorINSC_10device_ptrIKdEEEESI_EEEEESK_NSA_INS5_IJNSC_16discard_iteratorINSC_11use_defaultEEESN_EEEEEPS7_SQ_SQ_NSC_11hip_rocprim7__merge17predicate_wrapperIddNSC_4lessIdEEEEEE10hipError_tPvRmT0_T1_T2_T3_T4_T5_mmT6_P12ihipStream_tbEUlT_E_NS1_11comp_targetILNS1_3genE0ELNS1_11target_archE4294967295ELNS1_3gpuE0ELNS1_3repE0EEENS1_30default_config_static_selectorELNS0_4arch9wavefront6targetE0EEEvS11_
    .private_segment_fixed_size: 0
    .sgpr_count:     0
    .sgpr_spill_count: 0
    .symbol:         _ZN7rocprim17ROCPRIM_400000_NS6detail17trampoline_kernelINS0_14default_configENS1_21merge_config_selectorINS0_5tupleIJddEEENS0_10empty_typeEEEZNS1_10merge_implIS3_NS0_12zip_iteratorINS5_IJN6thrust23THRUST_200600_302600_NS6detail15normal_iteratorINSC_10device_ptrIKdEEEESI_EEEEESK_NSA_INS5_IJNSC_16discard_iteratorINSC_11use_defaultEEESN_EEEEEPS7_SQ_SQ_NSC_11hip_rocprim7__merge17predicate_wrapperIddNSC_4lessIdEEEEEE10hipError_tPvRmT0_T1_T2_T3_T4_T5_mmT6_P12ihipStream_tbEUlT_E_NS1_11comp_targetILNS1_3genE0ELNS1_11target_archE4294967295ELNS1_3gpuE0ELNS1_3repE0EEENS1_30default_config_static_selectorELNS0_4arch9wavefront6targetE0EEEvS11_.kd
    .uniform_work_group_size: 1
    .uses_dynamic_stack: false
    .vgpr_count:     0
    .vgpr_spill_count: 0
    .wavefront_size: 32
    .workgroup_processor_mode: 1
  - .args:
      - .offset:         0
        .size:           64
        .value_kind:     by_value
    .group_segment_fixed_size: 0
    .kernarg_segment_align: 8
    .kernarg_segment_size: 64
    .language:       OpenCL C
    .language_version:
      - 2
      - 0
    .max_flat_workgroup_size: 256
    .name:           _ZN7rocprim17ROCPRIM_400000_NS6detail17trampoline_kernelINS0_14default_configENS1_21merge_config_selectorINS0_5tupleIJddEEENS0_10empty_typeEEEZNS1_10merge_implIS3_NS0_12zip_iteratorINS5_IJN6thrust23THRUST_200600_302600_NS6detail15normal_iteratorINSC_10device_ptrIKdEEEESI_EEEEESK_NSA_INS5_IJNSC_16discard_iteratorINSC_11use_defaultEEESN_EEEEEPS7_SQ_SQ_NSC_11hip_rocprim7__merge17predicate_wrapperIddNSC_4lessIdEEEEEE10hipError_tPvRmT0_T1_T2_T3_T4_T5_mmT6_P12ihipStream_tbEUlT_E_NS1_11comp_targetILNS1_3genE5ELNS1_11target_archE942ELNS1_3gpuE9ELNS1_3repE0EEENS1_30default_config_static_selectorELNS0_4arch9wavefront6targetE0EEEvS11_
    .private_segment_fixed_size: 0
    .sgpr_count:     0
    .sgpr_spill_count: 0
    .symbol:         _ZN7rocprim17ROCPRIM_400000_NS6detail17trampoline_kernelINS0_14default_configENS1_21merge_config_selectorINS0_5tupleIJddEEENS0_10empty_typeEEEZNS1_10merge_implIS3_NS0_12zip_iteratorINS5_IJN6thrust23THRUST_200600_302600_NS6detail15normal_iteratorINSC_10device_ptrIKdEEEESI_EEEEESK_NSA_INS5_IJNSC_16discard_iteratorINSC_11use_defaultEEESN_EEEEEPS7_SQ_SQ_NSC_11hip_rocprim7__merge17predicate_wrapperIddNSC_4lessIdEEEEEE10hipError_tPvRmT0_T1_T2_T3_T4_T5_mmT6_P12ihipStream_tbEUlT_E_NS1_11comp_targetILNS1_3genE5ELNS1_11target_archE942ELNS1_3gpuE9ELNS1_3repE0EEENS1_30default_config_static_selectorELNS0_4arch9wavefront6targetE0EEEvS11_.kd
    .uniform_work_group_size: 1
    .uses_dynamic_stack: false
    .vgpr_count:     0
    .vgpr_spill_count: 0
    .wavefront_size: 32
    .workgroup_processor_mode: 1
  - .args:
      - .offset:         0
        .size:           64
        .value_kind:     by_value
    .group_segment_fixed_size: 0
    .kernarg_segment_align: 8
    .kernarg_segment_size: 64
    .language:       OpenCL C
    .language_version:
      - 2
      - 0
    .max_flat_workgroup_size: 512
    .name:           _ZN7rocprim17ROCPRIM_400000_NS6detail17trampoline_kernelINS0_14default_configENS1_21merge_config_selectorINS0_5tupleIJddEEENS0_10empty_typeEEEZNS1_10merge_implIS3_NS0_12zip_iteratorINS5_IJN6thrust23THRUST_200600_302600_NS6detail15normal_iteratorINSC_10device_ptrIKdEEEESI_EEEEESK_NSA_INS5_IJNSC_16discard_iteratorINSC_11use_defaultEEESN_EEEEEPS7_SQ_SQ_NSC_11hip_rocprim7__merge17predicate_wrapperIddNSC_4lessIdEEEEEE10hipError_tPvRmT0_T1_T2_T3_T4_T5_mmT6_P12ihipStream_tbEUlT_E_NS1_11comp_targetILNS1_3genE4ELNS1_11target_archE910ELNS1_3gpuE8ELNS1_3repE0EEENS1_30default_config_static_selectorELNS0_4arch9wavefront6targetE0EEEvS11_
    .private_segment_fixed_size: 0
    .sgpr_count:     0
    .sgpr_spill_count: 0
    .symbol:         _ZN7rocprim17ROCPRIM_400000_NS6detail17trampoline_kernelINS0_14default_configENS1_21merge_config_selectorINS0_5tupleIJddEEENS0_10empty_typeEEEZNS1_10merge_implIS3_NS0_12zip_iteratorINS5_IJN6thrust23THRUST_200600_302600_NS6detail15normal_iteratorINSC_10device_ptrIKdEEEESI_EEEEESK_NSA_INS5_IJNSC_16discard_iteratorINSC_11use_defaultEEESN_EEEEEPS7_SQ_SQ_NSC_11hip_rocprim7__merge17predicate_wrapperIddNSC_4lessIdEEEEEE10hipError_tPvRmT0_T1_T2_T3_T4_T5_mmT6_P12ihipStream_tbEUlT_E_NS1_11comp_targetILNS1_3genE4ELNS1_11target_archE910ELNS1_3gpuE8ELNS1_3repE0EEENS1_30default_config_static_selectorELNS0_4arch9wavefront6targetE0EEEvS11_.kd
    .uniform_work_group_size: 1
    .uses_dynamic_stack: false
    .vgpr_count:     0
    .vgpr_spill_count: 0
    .wavefront_size: 32
    .workgroup_processor_mode: 1
  - .args:
      - .offset:         0
        .size:           64
        .value_kind:     by_value
    .group_segment_fixed_size: 0
    .kernarg_segment_align: 8
    .kernarg_segment_size: 64
    .language:       OpenCL C
    .language_version:
      - 2
      - 0
    .max_flat_workgroup_size: 512
    .name:           _ZN7rocprim17ROCPRIM_400000_NS6detail17trampoline_kernelINS0_14default_configENS1_21merge_config_selectorINS0_5tupleIJddEEENS0_10empty_typeEEEZNS1_10merge_implIS3_NS0_12zip_iteratorINS5_IJN6thrust23THRUST_200600_302600_NS6detail15normal_iteratorINSC_10device_ptrIKdEEEESI_EEEEESK_NSA_INS5_IJNSC_16discard_iteratorINSC_11use_defaultEEESN_EEEEEPS7_SQ_SQ_NSC_11hip_rocprim7__merge17predicate_wrapperIddNSC_4lessIdEEEEEE10hipError_tPvRmT0_T1_T2_T3_T4_T5_mmT6_P12ihipStream_tbEUlT_E_NS1_11comp_targetILNS1_3genE3ELNS1_11target_archE908ELNS1_3gpuE7ELNS1_3repE0EEENS1_30default_config_static_selectorELNS0_4arch9wavefront6targetE0EEEvS11_
    .private_segment_fixed_size: 0
    .sgpr_count:     0
    .sgpr_spill_count: 0
    .symbol:         _ZN7rocprim17ROCPRIM_400000_NS6detail17trampoline_kernelINS0_14default_configENS1_21merge_config_selectorINS0_5tupleIJddEEENS0_10empty_typeEEEZNS1_10merge_implIS3_NS0_12zip_iteratorINS5_IJN6thrust23THRUST_200600_302600_NS6detail15normal_iteratorINSC_10device_ptrIKdEEEESI_EEEEESK_NSA_INS5_IJNSC_16discard_iteratorINSC_11use_defaultEEESN_EEEEEPS7_SQ_SQ_NSC_11hip_rocprim7__merge17predicate_wrapperIddNSC_4lessIdEEEEEE10hipError_tPvRmT0_T1_T2_T3_T4_T5_mmT6_P12ihipStream_tbEUlT_E_NS1_11comp_targetILNS1_3genE3ELNS1_11target_archE908ELNS1_3gpuE7ELNS1_3repE0EEENS1_30default_config_static_selectorELNS0_4arch9wavefront6targetE0EEEvS11_.kd
    .uniform_work_group_size: 1
    .uses_dynamic_stack: false
    .vgpr_count:     0
    .vgpr_spill_count: 0
    .wavefront_size: 32
    .workgroup_processor_mode: 1
  - .args:
      - .offset:         0
        .size:           64
        .value_kind:     by_value
    .group_segment_fixed_size: 0
    .kernarg_segment_align: 8
    .kernarg_segment_size: 64
    .language:       OpenCL C
    .language_version:
      - 2
      - 0
    .max_flat_workgroup_size: 512
    .name:           _ZN7rocprim17ROCPRIM_400000_NS6detail17trampoline_kernelINS0_14default_configENS1_21merge_config_selectorINS0_5tupleIJddEEENS0_10empty_typeEEEZNS1_10merge_implIS3_NS0_12zip_iteratorINS5_IJN6thrust23THRUST_200600_302600_NS6detail15normal_iteratorINSC_10device_ptrIKdEEEESI_EEEEESK_NSA_INS5_IJNSC_16discard_iteratorINSC_11use_defaultEEESN_EEEEEPS7_SQ_SQ_NSC_11hip_rocprim7__merge17predicate_wrapperIddNSC_4lessIdEEEEEE10hipError_tPvRmT0_T1_T2_T3_T4_T5_mmT6_P12ihipStream_tbEUlT_E_NS1_11comp_targetILNS1_3genE2ELNS1_11target_archE906ELNS1_3gpuE6ELNS1_3repE0EEENS1_30default_config_static_selectorELNS0_4arch9wavefront6targetE0EEEvS11_
    .private_segment_fixed_size: 0
    .sgpr_count:     0
    .sgpr_spill_count: 0
    .symbol:         _ZN7rocprim17ROCPRIM_400000_NS6detail17trampoline_kernelINS0_14default_configENS1_21merge_config_selectorINS0_5tupleIJddEEENS0_10empty_typeEEEZNS1_10merge_implIS3_NS0_12zip_iteratorINS5_IJN6thrust23THRUST_200600_302600_NS6detail15normal_iteratorINSC_10device_ptrIKdEEEESI_EEEEESK_NSA_INS5_IJNSC_16discard_iteratorINSC_11use_defaultEEESN_EEEEEPS7_SQ_SQ_NSC_11hip_rocprim7__merge17predicate_wrapperIddNSC_4lessIdEEEEEE10hipError_tPvRmT0_T1_T2_T3_T4_T5_mmT6_P12ihipStream_tbEUlT_E_NS1_11comp_targetILNS1_3genE2ELNS1_11target_archE906ELNS1_3gpuE6ELNS1_3repE0EEENS1_30default_config_static_selectorELNS0_4arch9wavefront6targetE0EEEvS11_.kd
    .uniform_work_group_size: 1
    .uses_dynamic_stack: false
    .vgpr_count:     0
    .vgpr_spill_count: 0
    .wavefront_size: 32
    .workgroup_processor_mode: 1
  - .args:
      - .offset:         0
        .size:           64
        .value_kind:     by_value
    .group_segment_fixed_size: 0
    .kernarg_segment_align: 8
    .kernarg_segment_size: 64
    .language:       OpenCL C
    .language_version:
      - 2
      - 0
    .max_flat_workgroup_size: 512
    .name:           _ZN7rocprim17ROCPRIM_400000_NS6detail17trampoline_kernelINS0_14default_configENS1_21merge_config_selectorINS0_5tupleIJddEEENS0_10empty_typeEEEZNS1_10merge_implIS3_NS0_12zip_iteratorINS5_IJN6thrust23THRUST_200600_302600_NS6detail15normal_iteratorINSC_10device_ptrIKdEEEESI_EEEEESK_NSA_INS5_IJNSC_16discard_iteratorINSC_11use_defaultEEESN_EEEEEPS7_SQ_SQ_NSC_11hip_rocprim7__merge17predicate_wrapperIddNSC_4lessIdEEEEEE10hipError_tPvRmT0_T1_T2_T3_T4_T5_mmT6_P12ihipStream_tbEUlT_E_NS1_11comp_targetILNS1_3genE10ELNS1_11target_archE1201ELNS1_3gpuE5ELNS1_3repE0EEENS1_30default_config_static_selectorELNS0_4arch9wavefront6targetE0EEEvS11_
    .private_segment_fixed_size: 0
    .sgpr_count:     0
    .sgpr_spill_count: 0
    .symbol:         _ZN7rocprim17ROCPRIM_400000_NS6detail17trampoline_kernelINS0_14default_configENS1_21merge_config_selectorINS0_5tupleIJddEEENS0_10empty_typeEEEZNS1_10merge_implIS3_NS0_12zip_iteratorINS5_IJN6thrust23THRUST_200600_302600_NS6detail15normal_iteratorINSC_10device_ptrIKdEEEESI_EEEEESK_NSA_INS5_IJNSC_16discard_iteratorINSC_11use_defaultEEESN_EEEEEPS7_SQ_SQ_NSC_11hip_rocprim7__merge17predicate_wrapperIddNSC_4lessIdEEEEEE10hipError_tPvRmT0_T1_T2_T3_T4_T5_mmT6_P12ihipStream_tbEUlT_E_NS1_11comp_targetILNS1_3genE10ELNS1_11target_archE1201ELNS1_3gpuE5ELNS1_3repE0EEENS1_30default_config_static_selectorELNS0_4arch9wavefront6targetE0EEEvS11_.kd
    .uniform_work_group_size: 1
    .uses_dynamic_stack: false
    .vgpr_count:     0
    .vgpr_spill_count: 0
    .wavefront_size: 32
    .workgroup_processor_mode: 1
  - .args:
      - .offset:         0
        .size:           64
        .value_kind:     by_value
    .group_segment_fixed_size: 0
    .kernarg_segment_align: 8
    .kernarg_segment_size: 64
    .language:       OpenCL C
    .language_version:
      - 2
      - 0
    .max_flat_workgroup_size: 256
    .name:           _ZN7rocprim17ROCPRIM_400000_NS6detail17trampoline_kernelINS0_14default_configENS1_21merge_config_selectorINS0_5tupleIJddEEENS0_10empty_typeEEEZNS1_10merge_implIS3_NS0_12zip_iteratorINS5_IJN6thrust23THRUST_200600_302600_NS6detail15normal_iteratorINSC_10device_ptrIKdEEEESI_EEEEESK_NSA_INS5_IJNSC_16discard_iteratorINSC_11use_defaultEEESN_EEEEEPS7_SQ_SQ_NSC_11hip_rocprim7__merge17predicate_wrapperIddNSC_4lessIdEEEEEE10hipError_tPvRmT0_T1_T2_T3_T4_T5_mmT6_P12ihipStream_tbEUlT_E_NS1_11comp_targetILNS1_3genE10ELNS1_11target_archE1200ELNS1_3gpuE4ELNS1_3repE0EEENS1_30default_config_static_selectorELNS0_4arch9wavefront6targetE0EEEvS11_
    .private_segment_fixed_size: 0
    .sgpr_count:     0
    .sgpr_spill_count: 0
    .symbol:         _ZN7rocprim17ROCPRIM_400000_NS6detail17trampoline_kernelINS0_14default_configENS1_21merge_config_selectorINS0_5tupleIJddEEENS0_10empty_typeEEEZNS1_10merge_implIS3_NS0_12zip_iteratorINS5_IJN6thrust23THRUST_200600_302600_NS6detail15normal_iteratorINSC_10device_ptrIKdEEEESI_EEEEESK_NSA_INS5_IJNSC_16discard_iteratorINSC_11use_defaultEEESN_EEEEEPS7_SQ_SQ_NSC_11hip_rocprim7__merge17predicate_wrapperIddNSC_4lessIdEEEEEE10hipError_tPvRmT0_T1_T2_T3_T4_T5_mmT6_P12ihipStream_tbEUlT_E_NS1_11comp_targetILNS1_3genE10ELNS1_11target_archE1200ELNS1_3gpuE4ELNS1_3repE0EEENS1_30default_config_static_selectorELNS0_4arch9wavefront6targetE0EEEvS11_.kd
    .uniform_work_group_size: 1
    .uses_dynamic_stack: false
    .vgpr_count:     0
    .vgpr_spill_count: 0
    .wavefront_size: 32
    .workgroup_processor_mode: 1
  - .args:
      - .offset:         0
        .size:           64
        .value_kind:     by_value
    .group_segment_fixed_size: 0
    .kernarg_segment_align: 8
    .kernarg_segment_size: 64
    .language:       OpenCL C
    .language_version:
      - 2
      - 0
    .max_flat_workgroup_size: 1024
    .name:           _ZN7rocprim17ROCPRIM_400000_NS6detail17trampoline_kernelINS0_14default_configENS1_21merge_config_selectorINS0_5tupleIJddEEENS0_10empty_typeEEEZNS1_10merge_implIS3_NS0_12zip_iteratorINS5_IJN6thrust23THRUST_200600_302600_NS6detail15normal_iteratorINSC_10device_ptrIKdEEEESI_EEEEESK_NSA_INS5_IJNSC_16discard_iteratorINSC_11use_defaultEEESN_EEEEEPS7_SQ_SQ_NSC_11hip_rocprim7__merge17predicate_wrapperIddNSC_4lessIdEEEEEE10hipError_tPvRmT0_T1_T2_T3_T4_T5_mmT6_P12ihipStream_tbEUlT_E_NS1_11comp_targetILNS1_3genE9ELNS1_11target_archE1100ELNS1_3gpuE3ELNS1_3repE0EEENS1_30default_config_static_selectorELNS0_4arch9wavefront6targetE0EEEvS11_
    .private_segment_fixed_size: 0
    .sgpr_count:     0
    .sgpr_spill_count: 0
    .symbol:         _ZN7rocprim17ROCPRIM_400000_NS6detail17trampoline_kernelINS0_14default_configENS1_21merge_config_selectorINS0_5tupleIJddEEENS0_10empty_typeEEEZNS1_10merge_implIS3_NS0_12zip_iteratorINS5_IJN6thrust23THRUST_200600_302600_NS6detail15normal_iteratorINSC_10device_ptrIKdEEEESI_EEEEESK_NSA_INS5_IJNSC_16discard_iteratorINSC_11use_defaultEEESN_EEEEEPS7_SQ_SQ_NSC_11hip_rocprim7__merge17predicate_wrapperIddNSC_4lessIdEEEEEE10hipError_tPvRmT0_T1_T2_T3_T4_T5_mmT6_P12ihipStream_tbEUlT_E_NS1_11comp_targetILNS1_3genE9ELNS1_11target_archE1100ELNS1_3gpuE3ELNS1_3repE0EEENS1_30default_config_static_selectorELNS0_4arch9wavefront6targetE0EEEvS11_.kd
    .uniform_work_group_size: 1
    .uses_dynamic_stack: false
    .vgpr_count:     0
    .vgpr_spill_count: 0
    .wavefront_size: 32
    .workgroup_processor_mode: 1
  - .args:
      - .offset:         0
        .size:           64
        .value_kind:     by_value
      - .offset:         64
        .size:           4
        .value_kind:     hidden_block_count_x
      - .offset:         68
        .size:           4
        .value_kind:     hidden_block_count_y
      - .offset:         72
        .size:           4
        .value_kind:     hidden_block_count_z
      - .offset:         76
        .size:           2
        .value_kind:     hidden_group_size_x
      - .offset:         78
        .size:           2
        .value_kind:     hidden_group_size_y
      - .offset:         80
        .size:           2
        .value_kind:     hidden_group_size_z
      - .offset:         82
        .size:           2
        .value_kind:     hidden_remainder_x
      - .offset:         84
        .size:           2
        .value_kind:     hidden_remainder_y
      - .offset:         86
        .size:           2
        .value_kind:     hidden_remainder_z
      - .offset:         104
        .size:           8
        .value_kind:     hidden_global_offset_x
      - .offset:         112
        .size:           8
        .value_kind:     hidden_global_offset_y
      - .offset:         120
        .size:           8
        .value_kind:     hidden_global_offset_z
      - .offset:         128
        .size:           2
        .value_kind:     hidden_grid_dims
    .group_segment_fixed_size: 0
    .kernarg_segment_align: 8
    .kernarg_segment_size: 320
    .language:       OpenCL C
    .language_version:
      - 2
      - 0
    .max_flat_workgroup_size: 256
    .name:           _ZN7rocprim17ROCPRIM_400000_NS6detail17trampoline_kernelINS0_14default_configENS1_21merge_config_selectorINS0_5tupleIJddEEENS0_10empty_typeEEEZNS1_10merge_implIS3_NS0_12zip_iteratorINS5_IJN6thrust23THRUST_200600_302600_NS6detail15normal_iteratorINSC_10device_ptrIKdEEEESI_EEEEESK_NSA_INS5_IJNSC_16discard_iteratorINSC_11use_defaultEEESN_EEEEEPS7_SQ_SQ_NSC_11hip_rocprim7__merge17predicate_wrapperIddNSC_4lessIdEEEEEE10hipError_tPvRmT0_T1_T2_T3_T4_T5_mmT6_P12ihipStream_tbEUlT_E_NS1_11comp_targetILNS1_3genE8ELNS1_11target_archE1030ELNS1_3gpuE2ELNS1_3repE0EEENS1_30default_config_static_selectorELNS0_4arch9wavefront6targetE0EEEvS11_
    .private_segment_fixed_size: 0
    .sgpr_count:     18
    .sgpr_spill_count: 0
    .symbol:         _ZN7rocprim17ROCPRIM_400000_NS6detail17trampoline_kernelINS0_14default_configENS1_21merge_config_selectorINS0_5tupleIJddEEENS0_10empty_typeEEEZNS1_10merge_implIS3_NS0_12zip_iteratorINS5_IJN6thrust23THRUST_200600_302600_NS6detail15normal_iteratorINSC_10device_ptrIKdEEEESI_EEEEESK_NSA_INS5_IJNSC_16discard_iteratorINSC_11use_defaultEEESN_EEEEEPS7_SQ_SQ_NSC_11hip_rocprim7__merge17predicate_wrapperIddNSC_4lessIdEEEEEE10hipError_tPvRmT0_T1_T2_T3_T4_T5_mmT6_P12ihipStream_tbEUlT_E_NS1_11comp_targetILNS1_3genE8ELNS1_11target_archE1030ELNS1_3gpuE2ELNS1_3repE0EEENS1_30default_config_static_selectorELNS0_4arch9wavefront6targetE0EEEvS11_.kd
    .uniform_work_group_size: 1
    .uses_dynamic_stack: false
    .vgpr_count:     13
    .vgpr_spill_count: 0
    .wavefront_size: 32
    .workgroup_processor_mode: 1
  - .args:
      - .offset:         0
        .size:           128
        .value_kind:     by_value
    .group_segment_fixed_size: 0
    .kernarg_segment_align: 8
    .kernarg_segment_size: 128
    .language:       OpenCL C
    .language_version:
      - 2
      - 0
    .max_flat_workgroup_size: 512
    .name:           _ZN7rocprim17ROCPRIM_400000_NS6detail17trampoline_kernelINS0_14default_configENS1_21merge_config_selectorINS0_5tupleIJddEEENS0_10empty_typeEEEZNS1_10merge_implIS3_NS0_12zip_iteratorINS5_IJN6thrust23THRUST_200600_302600_NS6detail15normal_iteratorINSC_10device_ptrIKdEEEESI_EEEEESK_NSA_INS5_IJNSC_16discard_iteratorINSC_11use_defaultEEESN_EEEEEPS7_SQ_SQ_NSC_11hip_rocprim7__merge17predicate_wrapperIddNSC_4lessIdEEEEEE10hipError_tPvRmT0_T1_T2_T3_T4_T5_mmT6_P12ihipStream_tbEUlT_E0_NS1_11comp_targetILNS1_3genE0ELNS1_11target_archE4294967295ELNS1_3gpuE0ELNS1_3repE0EEENS1_30default_config_static_selectorELNS0_4arch9wavefront6targetE0EEEvS11_
    .private_segment_fixed_size: 0
    .sgpr_count:     0
    .sgpr_spill_count: 0
    .symbol:         _ZN7rocprim17ROCPRIM_400000_NS6detail17trampoline_kernelINS0_14default_configENS1_21merge_config_selectorINS0_5tupleIJddEEENS0_10empty_typeEEEZNS1_10merge_implIS3_NS0_12zip_iteratorINS5_IJN6thrust23THRUST_200600_302600_NS6detail15normal_iteratorINSC_10device_ptrIKdEEEESI_EEEEESK_NSA_INS5_IJNSC_16discard_iteratorINSC_11use_defaultEEESN_EEEEEPS7_SQ_SQ_NSC_11hip_rocprim7__merge17predicate_wrapperIddNSC_4lessIdEEEEEE10hipError_tPvRmT0_T1_T2_T3_T4_T5_mmT6_P12ihipStream_tbEUlT_E0_NS1_11comp_targetILNS1_3genE0ELNS1_11target_archE4294967295ELNS1_3gpuE0ELNS1_3repE0EEENS1_30default_config_static_selectorELNS0_4arch9wavefront6targetE0EEEvS11_.kd
    .uniform_work_group_size: 1
    .uses_dynamic_stack: false
    .vgpr_count:     0
    .vgpr_spill_count: 0
    .wavefront_size: 32
    .workgroup_processor_mode: 1
  - .args:
      - .offset:         0
        .size:           128
        .value_kind:     by_value
    .group_segment_fixed_size: 0
    .kernarg_segment_align: 8
    .kernarg_segment_size: 128
    .language:       OpenCL C
    .language_version:
      - 2
      - 0
    .max_flat_workgroup_size: 256
    .name:           _ZN7rocprim17ROCPRIM_400000_NS6detail17trampoline_kernelINS0_14default_configENS1_21merge_config_selectorINS0_5tupleIJddEEENS0_10empty_typeEEEZNS1_10merge_implIS3_NS0_12zip_iteratorINS5_IJN6thrust23THRUST_200600_302600_NS6detail15normal_iteratorINSC_10device_ptrIKdEEEESI_EEEEESK_NSA_INS5_IJNSC_16discard_iteratorINSC_11use_defaultEEESN_EEEEEPS7_SQ_SQ_NSC_11hip_rocprim7__merge17predicate_wrapperIddNSC_4lessIdEEEEEE10hipError_tPvRmT0_T1_T2_T3_T4_T5_mmT6_P12ihipStream_tbEUlT_E0_NS1_11comp_targetILNS1_3genE5ELNS1_11target_archE942ELNS1_3gpuE9ELNS1_3repE0EEENS1_30default_config_static_selectorELNS0_4arch9wavefront6targetE0EEEvS11_
    .private_segment_fixed_size: 0
    .sgpr_count:     0
    .sgpr_spill_count: 0
    .symbol:         _ZN7rocprim17ROCPRIM_400000_NS6detail17trampoline_kernelINS0_14default_configENS1_21merge_config_selectorINS0_5tupleIJddEEENS0_10empty_typeEEEZNS1_10merge_implIS3_NS0_12zip_iteratorINS5_IJN6thrust23THRUST_200600_302600_NS6detail15normal_iteratorINSC_10device_ptrIKdEEEESI_EEEEESK_NSA_INS5_IJNSC_16discard_iteratorINSC_11use_defaultEEESN_EEEEEPS7_SQ_SQ_NSC_11hip_rocprim7__merge17predicate_wrapperIddNSC_4lessIdEEEEEE10hipError_tPvRmT0_T1_T2_T3_T4_T5_mmT6_P12ihipStream_tbEUlT_E0_NS1_11comp_targetILNS1_3genE5ELNS1_11target_archE942ELNS1_3gpuE9ELNS1_3repE0EEENS1_30default_config_static_selectorELNS0_4arch9wavefront6targetE0EEEvS11_.kd
    .uniform_work_group_size: 1
    .uses_dynamic_stack: false
    .vgpr_count:     0
    .vgpr_spill_count: 0
    .wavefront_size: 32
    .workgroup_processor_mode: 1
  - .args:
      - .offset:         0
        .size:           128
        .value_kind:     by_value
    .group_segment_fixed_size: 0
    .kernarg_segment_align: 8
    .kernarg_segment_size: 128
    .language:       OpenCL C
    .language_version:
      - 2
      - 0
    .max_flat_workgroup_size: 512
    .name:           _ZN7rocprim17ROCPRIM_400000_NS6detail17trampoline_kernelINS0_14default_configENS1_21merge_config_selectorINS0_5tupleIJddEEENS0_10empty_typeEEEZNS1_10merge_implIS3_NS0_12zip_iteratorINS5_IJN6thrust23THRUST_200600_302600_NS6detail15normal_iteratorINSC_10device_ptrIKdEEEESI_EEEEESK_NSA_INS5_IJNSC_16discard_iteratorINSC_11use_defaultEEESN_EEEEEPS7_SQ_SQ_NSC_11hip_rocprim7__merge17predicate_wrapperIddNSC_4lessIdEEEEEE10hipError_tPvRmT0_T1_T2_T3_T4_T5_mmT6_P12ihipStream_tbEUlT_E0_NS1_11comp_targetILNS1_3genE4ELNS1_11target_archE910ELNS1_3gpuE8ELNS1_3repE0EEENS1_30default_config_static_selectorELNS0_4arch9wavefront6targetE0EEEvS11_
    .private_segment_fixed_size: 0
    .sgpr_count:     0
    .sgpr_spill_count: 0
    .symbol:         _ZN7rocprim17ROCPRIM_400000_NS6detail17trampoline_kernelINS0_14default_configENS1_21merge_config_selectorINS0_5tupleIJddEEENS0_10empty_typeEEEZNS1_10merge_implIS3_NS0_12zip_iteratorINS5_IJN6thrust23THRUST_200600_302600_NS6detail15normal_iteratorINSC_10device_ptrIKdEEEESI_EEEEESK_NSA_INS5_IJNSC_16discard_iteratorINSC_11use_defaultEEESN_EEEEEPS7_SQ_SQ_NSC_11hip_rocprim7__merge17predicate_wrapperIddNSC_4lessIdEEEEEE10hipError_tPvRmT0_T1_T2_T3_T4_T5_mmT6_P12ihipStream_tbEUlT_E0_NS1_11comp_targetILNS1_3genE4ELNS1_11target_archE910ELNS1_3gpuE8ELNS1_3repE0EEENS1_30default_config_static_selectorELNS0_4arch9wavefront6targetE0EEEvS11_.kd
    .uniform_work_group_size: 1
    .uses_dynamic_stack: false
    .vgpr_count:     0
    .vgpr_spill_count: 0
    .wavefront_size: 32
    .workgroup_processor_mode: 1
  - .args:
      - .offset:         0
        .size:           128
        .value_kind:     by_value
    .group_segment_fixed_size: 0
    .kernarg_segment_align: 8
    .kernarg_segment_size: 128
    .language:       OpenCL C
    .language_version:
      - 2
      - 0
    .max_flat_workgroup_size: 512
    .name:           _ZN7rocprim17ROCPRIM_400000_NS6detail17trampoline_kernelINS0_14default_configENS1_21merge_config_selectorINS0_5tupleIJddEEENS0_10empty_typeEEEZNS1_10merge_implIS3_NS0_12zip_iteratorINS5_IJN6thrust23THRUST_200600_302600_NS6detail15normal_iteratorINSC_10device_ptrIKdEEEESI_EEEEESK_NSA_INS5_IJNSC_16discard_iteratorINSC_11use_defaultEEESN_EEEEEPS7_SQ_SQ_NSC_11hip_rocprim7__merge17predicate_wrapperIddNSC_4lessIdEEEEEE10hipError_tPvRmT0_T1_T2_T3_T4_T5_mmT6_P12ihipStream_tbEUlT_E0_NS1_11comp_targetILNS1_3genE3ELNS1_11target_archE908ELNS1_3gpuE7ELNS1_3repE0EEENS1_30default_config_static_selectorELNS0_4arch9wavefront6targetE0EEEvS11_
    .private_segment_fixed_size: 0
    .sgpr_count:     0
    .sgpr_spill_count: 0
    .symbol:         _ZN7rocprim17ROCPRIM_400000_NS6detail17trampoline_kernelINS0_14default_configENS1_21merge_config_selectorINS0_5tupleIJddEEENS0_10empty_typeEEEZNS1_10merge_implIS3_NS0_12zip_iteratorINS5_IJN6thrust23THRUST_200600_302600_NS6detail15normal_iteratorINSC_10device_ptrIKdEEEESI_EEEEESK_NSA_INS5_IJNSC_16discard_iteratorINSC_11use_defaultEEESN_EEEEEPS7_SQ_SQ_NSC_11hip_rocprim7__merge17predicate_wrapperIddNSC_4lessIdEEEEEE10hipError_tPvRmT0_T1_T2_T3_T4_T5_mmT6_P12ihipStream_tbEUlT_E0_NS1_11comp_targetILNS1_3genE3ELNS1_11target_archE908ELNS1_3gpuE7ELNS1_3repE0EEENS1_30default_config_static_selectorELNS0_4arch9wavefront6targetE0EEEvS11_.kd
    .uniform_work_group_size: 1
    .uses_dynamic_stack: false
    .vgpr_count:     0
    .vgpr_spill_count: 0
    .wavefront_size: 32
    .workgroup_processor_mode: 1
  - .args:
      - .offset:         0
        .size:           128
        .value_kind:     by_value
    .group_segment_fixed_size: 0
    .kernarg_segment_align: 8
    .kernarg_segment_size: 128
    .language:       OpenCL C
    .language_version:
      - 2
      - 0
    .max_flat_workgroup_size: 512
    .name:           _ZN7rocprim17ROCPRIM_400000_NS6detail17trampoline_kernelINS0_14default_configENS1_21merge_config_selectorINS0_5tupleIJddEEENS0_10empty_typeEEEZNS1_10merge_implIS3_NS0_12zip_iteratorINS5_IJN6thrust23THRUST_200600_302600_NS6detail15normal_iteratorINSC_10device_ptrIKdEEEESI_EEEEESK_NSA_INS5_IJNSC_16discard_iteratorINSC_11use_defaultEEESN_EEEEEPS7_SQ_SQ_NSC_11hip_rocprim7__merge17predicate_wrapperIddNSC_4lessIdEEEEEE10hipError_tPvRmT0_T1_T2_T3_T4_T5_mmT6_P12ihipStream_tbEUlT_E0_NS1_11comp_targetILNS1_3genE2ELNS1_11target_archE906ELNS1_3gpuE6ELNS1_3repE0EEENS1_30default_config_static_selectorELNS0_4arch9wavefront6targetE0EEEvS11_
    .private_segment_fixed_size: 0
    .sgpr_count:     0
    .sgpr_spill_count: 0
    .symbol:         _ZN7rocprim17ROCPRIM_400000_NS6detail17trampoline_kernelINS0_14default_configENS1_21merge_config_selectorINS0_5tupleIJddEEENS0_10empty_typeEEEZNS1_10merge_implIS3_NS0_12zip_iteratorINS5_IJN6thrust23THRUST_200600_302600_NS6detail15normal_iteratorINSC_10device_ptrIKdEEEESI_EEEEESK_NSA_INS5_IJNSC_16discard_iteratorINSC_11use_defaultEEESN_EEEEEPS7_SQ_SQ_NSC_11hip_rocprim7__merge17predicate_wrapperIddNSC_4lessIdEEEEEE10hipError_tPvRmT0_T1_T2_T3_T4_T5_mmT6_P12ihipStream_tbEUlT_E0_NS1_11comp_targetILNS1_3genE2ELNS1_11target_archE906ELNS1_3gpuE6ELNS1_3repE0EEENS1_30default_config_static_selectorELNS0_4arch9wavefront6targetE0EEEvS11_.kd
    .uniform_work_group_size: 1
    .uses_dynamic_stack: false
    .vgpr_count:     0
    .vgpr_spill_count: 0
    .wavefront_size: 32
    .workgroup_processor_mode: 1
  - .args:
      - .offset:         0
        .size:           128
        .value_kind:     by_value
    .group_segment_fixed_size: 0
    .kernarg_segment_align: 8
    .kernarg_segment_size: 128
    .language:       OpenCL C
    .language_version:
      - 2
      - 0
    .max_flat_workgroup_size: 512
    .name:           _ZN7rocprim17ROCPRIM_400000_NS6detail17trampoline_kernelINS0_14default_configENS1_21merge_config_selectorINS0_5tupleIJddEEENS0_10empty_typeEEEZNS1_10merge_implIS3_NS0_12zip_iteratorINS5_IJN6thrust23THRUST_200600_302600_NS6detail15normal_iteratorINSC_10device_ptrIKdEEEESI_EEEEESK_NSA_INS5_IJNSC_16discard_iteratorINSC_11use_defaultEEESN_EEEEEPS7_SQ_SQ_NSC_11hip_rocprim7__merge17predicate_wrapperIddNSC_4lessIdEEEEEE10hipError_tPvRmT0_T1_T2_T3_T4_T5_mmT6_P12ihipStream_tbEUlT_E0_NS1_11comp_targetILNS1_3genE10ELNS1_11target_archE1201ELNS1_3gpuE5ELNS1_3repE0EEENS1_30default_config_static_selectorELNS0_4arch9wavefront6targetE0EEEvS11_
    .private_segment_fixed_size: 0
    .sgpr_count:     0
    .sgpr_spill_count: 0
    .symbol:         _ZN7rocprim17ROCPRIM_400000_NS6detail17trampoline_kernelINS0_14default_configENS1_21merge_config_selectorINS0_5tupleIJddEEENS0_10empty_typeEEEZNS1_10merge_implIS3_NS0_12zip_iteratorINS5_IJN6thrust23THRUST_200600_302600_NS6detail15normal_iteratorINSC_10device_ptrIKdEEEESI_EEEEESK_NSA_INS5_IJNSC_16discard_iteratorINSC_11use_defaultEEESN_EEEEEPS7_SQ_SQ_NSC_11hip_rocprim7__merge17predicate_wrapperIddNSC_4lessIdEEEEEE10hipError_tPvRmT0_T1_T2_T3_T4_T5_mmT6_P12ihipStream_tbEUlT_E0_NS1_11comp_targetILNS1_3genE10ELNS1_11target_archE1201ELNS1_3gpuE5ELNS1_3repE0EEENS1_30default_config_static_selectorELNS0_4arch9wavefront6targetE0EEEvS11_.kd
    .uniform_work_group_size: 1
    .uses_dynamic_stack: false
    .vgpr_count:     0
    .vgpr_spill_count: 0
    .wavefront_size: 32
    .workgroup_processor_mode: 1
  - .args:
      - .offset:         0
        .size:           128
        .value_kind:     by_value
    .group_segment_fixed_size: 0
    .kernarg_segment_align: 8
    .kernarg_segment_size: 128
    .language:       OpenCL C
    .language_version:
      - 2
      - 0
    .max_flat_workgroup_size: 256
    .name:           _ZN7rocprim17ROCPRIM_400000_NS6detail17trampoline_kernelINS0_14default_configENS1_21merge_config_selectorINS0_5tupleIJddEEENS0_10empty_typeEEEZNS1_10merge_implIS3_NS0_12zip_iteratorINS5_IJN6thrust23THRUST_200600_302600_NS6detail15normal_iteratorINSC_10device_ptrIKdEEEESI_EEEEESK_NSA_INS5_IJNSC_16discard_iteratorINSC_11use_defaultEEESN_EEEEEPS7_SQ_SQ_NSC_11hip_rocprim7__merge17predicate_wrapperIddNSC_4lessIdEEEEEE10hipError_tPvRmT0_T1_T2_T3_T4_T5_mmT6_P12ihipStream_tbEUlT_E0_NS1_11comp_targetILNS1_3genE10ELNS1_11target_archE1200ELNS1_3gpuE4ELNS1_3repE0EEENS1_30default_config_static_selectorELNS0_4arch9wavefront6targetE0EEEvS11_
    .private_segment_fixed_size: 0
    .sgpr_count:     0
    .sgpr_spill_count: 0
    .symbol:         _ZN7rocprim17ROCPRIM_400000_NS6detail17trampoline_kernelINS0_14default_configENS1_21merge_config_selectorINS0_5tupleIJddEEENS0_10empty_typeEEEZNS1_10merge_implIS3_NS0_12zip_iteratorINS5_IJN6thrust23THRUST_200600_302600_NS6detail15normal_iteratorINSC_10device_ptrIKdEEEESI_EEEEESK_NSA_INS5_IJNSC_16discard_iteratorINSC_11use_defaultEEESN_EEEEEPS7_SQ_SQ_NSC_11hip_rocprim7__merge17predicate_wrapperIddNSC_4lessIdEEEEEE10hipError_tPvRmT0_T1_T2_T3_T4_T5_mmT6_P12ihipStream_tbEUlT_E0_NS1_11comp_targetILNS1_3genE10ELNS1_11target_archE1200ELNS1_3gpuE4ELNS1_3repE0EEENS1_30default_config_static_selectorELNS0_4arch9wavefront6targetE0EEEvS11_.kd
    .uniform_work_group_size: 1
    .uses_dynamic_stack: false
    .vgpr_count:     0
    .vgpr_spill_count: 0
    .wavefront_size: 32
    .workgroup_processor_mode: 1
  - .args:
      - .offset:         0
        .size:           128
        .value_kind:     by_value
    .group_segment_fixed_size: 0
    .kernarg_segment_align: 8
    .kernarg_segment_size: 128
    .language:       OpenCL C
    .language_version:
      - 2
      - 0
    .max_flat_workgroup_size: 1024
    .name:           _ZN7rocprim17ROCPRIM_400000_NS6detail17trampoline_kernelINS0_14default_configENS1_21merge_config_selectorINS0_5tupleIJddEEENS0_10empty_typeEEEZNS1_10merge_implIS3_NS0_12zip_iteratorINS5_IJN6thrust23THRUST_200600_302600_NS6detail15normal_iteratorINSC_10device_ptrIKdEEEESI_EEEEESK_NSA_INS5_IJNSC_16discard_iteratorINSC_11use_defaultEEESN_EEEEEPS7_SQ_SQ_NSC_11hip_rocprim7__merge17predicate_wrapperIddNSC_4lessIdEEEEEE10hipError_tPvRmT0_T1_T2_T3_T4_T5_mmT6_P12ihipStream_tbEUlT_E0_NS1_11comp_targetILNS1_3genE9ELNS1_11target_archE1100ELNS1_3gpuE3ELNS1_3repE0EEENS1_30default_config_static_selectorELNS0_4arch9wavefront6targetE0EEEvS11_
    .private_segment_fixed_size: 0
    .sgpr_count:     0
    .sgpr_spill_count: 0
    .symbol:         _ZN7rocprim17ROCPRIM_400000_NS6detail17trampoline_kernelINS0_14default_configENS1_21merge_config_selectorINS0_5tupleIJddEEENS0_10empty_typeEEEZNS1_10merge_implIS3_NS0_12zip_iteratorINS5_IJN6thrust23THRUST_200600_302600_NS6detail15normal_iteratorINSC_10device_ptrIKdEEEESI_EEEEESK_NSA_INS5_IJNSC_16discard_iteratorINSC_11use_defaultEEESN_EEEEEPS7_SQ_SQ_NSC_11hip_rocprim7__merge17predicate_wrapperIddNSC_4lessIdEEEEEE10hipError_tPvRmT0_T1_T2_T3_T4_T5_mmT6_P12ihipStream_tbEUlT_E0_NS1_11comp_targetILNS1_3genE9ELNS1_11target_archE1100ELNS1_3gpuE3ELNS1_3repE0EEENS1_30default_config_static_selectorELNS0_4arch9wavefront6targetE0EEEvS11_.kd
    .uniform_work_group_size: 1
    .uses_dynamic_stack: false
    .vgpr_count:     0
    .vgpr_spill_count: 0
    .wavefront_size: 32
    .workgroup_processor_mode: 1
  - .args:
      - .offset:         0
        .size:           128
        .value_kind:     by_value
    .group_segment_fixed_size: 33792
    .kernarg_segment_align: 8
    .kernarg_segment_size: 128
    .language:       OpenCL C
    .language_version:
      - 2
      - 0
    .max_flat_workgroup_size: 256
    .name:           _ZN7rocprim17ROCPRIM_400000_NS6detail17trampoline_kernelINS0_14default_configENS1_21merge_config_selectorINS0_5tupleIJddEEENS0_10empty_typeEEEZNS1_10merge_implIS3_NS0_12zip_iteratorINS5_IJN6thrust23THRUST_200600_302600_NS6detail15normal_iteratorINSC_10device_ptrIKdEEEESI_EEEEESK_NSA_INS5_IJNSC_16discard_iteratorINSC_11use_defaultEEESN_EEEEEPS7_SQ_SQ_NSC_11hip_rocprim7__merge17predicate_wrapperIddNSC_4lessIdEEEEEE10hipError_tPvRmT0_T1_T2_T3_T4_T5_mmT6_P12ihipStream_tbEUlT_E0_NS1_11comp_targetILNS1_3genE8ELNS1_11target_archE1030ELNS1_3gpuE2ELNS1_3repE0EEENS1_30default_config_static_selectorELNS0_4arch9wavefront6targetE0EEEvS11_
    .private_segment_fixed_size: 0
    .sgpr_count:     26
    .sgpr_spill_count: 0
    .symbol:         _ZN7rocprim17ROCPRIM_400000_NS6detail17trampoline_kernelINS0_14default_configENS1_21merge_config_selectorINS0_5tupleIJddEEENS0_10empty_typeEEEZNS1_10merge_implIS3_NS0_12zip_iteratorINS5_IJN6thrust23THRUST_200600_302600_NS6detail15normal_iteratorINSC_10device_ptrIKdEEEESI_EEEEESK_NSA_INS5_IJNSC_16discard_iteratorINSC_11use_defaultEEESN_EEEEEPS7_SQ_SQ_NSC_11hip_rocprim7__merge17predicate_wrapperIddNSC_4lessIdEEEEEE10hipError_tPvRmT0_T1_T2_T3_T4_T5_mmT6_P12ihipStream_tbEUlT_E0_NS1_11comp_targetILNS1_3genE8ELNS1_11target_archE1030ELNS1_3gpuE2ELNS1_3repE0EEENS1_30default_config_static_selectorELNS0_4arch9wavefront6targetE0EEEvS11_.kd
    .uniform_work_group_size: 1
    .uses_dynamic_stack: false
    .vgpr_count:     55
    .vgpr_spill_count: 0
    .wavefront_size: 32
    .workgroup_processor_mode: 1
  - .args:
      - .offset:         0
        .size:           64
        .value_kind:     by_value
    .group_segment_fixed_size: 0
    .kernarg_segment_align: 8
    .kernarg_segment_size: 64
    .language:       OpenCL C
    .language_version:
      - 2
      - 0
    .max_flat_workgroup_size: 256
    .name:           _ZN7rocprim17ROCPRIM_400000_NS6detail17trampoline_kernelINS0_14default_configENS1_21merge_config_selectorINS0_5tupleIJffEEENS0_10empty_typeEEEZNS1_10merge_implIS3_NS0_12zip_iteratorINS5_IJN6thrust23THRUST_200600_302600_NS6detail15normal_iteratorINSC_10device_ptrIKfEEEESI_EEEEESK_NSA_INS5_IJNSC_16discard_iteratorINSC_11use_defaultEEESN_EEEEEPS7_SQ_SQ_NSC_11hip_rocprim7__merge17predicate_wrapperIffNSC_4lessIfEEEEEE10hipError_tPvRmT0_T1_T2_T3_T4_T5_mmT6_P12ihipStream_tbEUlT_E_NS1_11comp_targetILNS1_3genE0ELNS1_11target_archE4294967295ELNS1_3gpuE0ELNS1_3repE0EEENS1_30default_config_static_selectorELNS0_4arch9wavefront6targetE0EEEvS11_
    .private_segment_fixed_size: 0
    .sgpr_count:     0
    .sgpr_spill_count: 0
    .symbol:         _ZN7rocprim17ROCPRIM_400000_NS6detail17trampoline_kernelINS0_14default_configENS1_21merge_config_selectorINS0_5tupleIJffEEENS0_10empty_typeEEEZNS1_10merge_implIS3_NS0_12zip_iteratorINS5_IJN6thrust23THRUST_200600_302600_NS6detail15normal_iteratorINSC_10device_ptrIKfEEEESI_EEEEESK_NSA_INS5_IJNSC_16discard_iteratorINSC_11use_defaultEEESN_EEEEEPS7_SQ_SQ_NSC_11hip_rocprim7__merge17predicate_wrapperIffNSC_4lessIfEEEEEE10hipError_tPvRmT0_T1_T2_T3_T4_T5_mmT6_P12ihipStream_tbEUlT_E_NS1_11comp_targetILNS1_3genE0ELNS1_11target_archE4294967295ELNS1_3gpuE0ELNS1_3repE0EEENS1_30default_config_static_selectorELNS0_4arch9wavefront6targetE0EEEvS11_.kd
    .uniform_work_group_size: 1
    .uses_dynamic_stack: false
    .vgpr_count:     0
    .vgpr_spill_count: 0
    .wavefront_size: 32
    .workgroup_processor_mode: 1
  - .args:
      - .offset:         0
        .size:           64
        .value_kind:     by_value
    .group_segment_fixed_size: 0
    .kernarg_segment_align: 8
    .kernarg_segment_size: 64
    .language:       OpenCL C
    .language_version:
      - 2
      - 0
    .max_flat_workgroup_size: 256
    .name:           _ZN7rocprim17ROCPRIM_400000_NS6detail17trampoline_kernelINS0_14default_configENS1_21merge_config_selectorINS0_5tupleIJffEEENS0_10empty_typeEEEZNS1_10merge_implIS3_NS0_12zip_iteratorINS5_IJN6thrust23THRUST_200600_302600_NS6detail15normal_iteratorINSC_10device_ptrIKfEEEESI_EEEEESK_NSA_INS5_IJNSC_16discard_iteratorINSC_11use_defaultEEESN_EEEEEPS7_SQ_SQ_NSC_11hip_rocprim7__merge17predicate_wrapperIffNSC_4lessIfEEEEEE10hipError_tPvRmT0_T1_T2_T3_T4_T5_mmT6_P12ihipStream_tbEUlT_E_NS1_11comp_targetILNS1_3genE5ELNS1_11target_archE942ELNS1_3gpuE9ELNS1_3repE0EEENS1_30default_config_static_selectorELNS0_4arch9wavefront6targetE0EEEvS11_
    .private_segment_fixed_size: 0
    .sgpr_count:     0
    .sgpr_spill_count: 0
    .symbol:         _ZN7rocprim17ROCPRIM_400000_NS6detail17trampoline_kernelINS0_14default_configENS1_21merge_config_selectorINS0_5tupleIJffEEENS0_10empty_typeEEEZNS1_10merge_implIS3_NS0_12zip_iteratorINS5_IJN6thrust23THRUST_200600_302600_NS6detail15normal_iteratorINSC_10device_ptrIKfEEEESI_EEEEESK_NSA_INS5_IJNSC_16discard_iteratorINSC_11use_defaultEEESN_EEEEEPS7_SQ_SQ_NSC_11hip_rocprim7__merge17predicate_wrapperIffNSC_4lessIfEEEEEE10hipError_tPvRmT0_T1_T2_T3_T4_T5_mmT6_P12ihipStream_tbEUlT_E_NS1_11comp_targetILNS1_3genE5ELNS1_11target_archE942ELNS1_3gpuE9ELNS1_3repE0EEENS1_30default_config_static_selectorELNS0_4arch9wavefront6targetE0EEEvS11_.kd
    .uniform_work_group_size: 1
    .uses_dynamic_stack: false
    .vgpr_count:     0
    .vgpr_spill_count: 0
    .wavefront_size: 32
    .workgroup_processor_mode: 1
  - .args:
      - .offset:         0
        .size:           64
        .value_kind:     by_value
    .group_segment_fixed_size: 0
    .kernarg_segment_align: 8
    .kernarg_segment_size: 64
    .language:       OpenCL C
    .language_version:
      - 2
      - 0
    .max_flat_workgroup_size: 256
    .name:           _ZN7rocprim17ROCPRIM_400000_NS6detail17trampoline_kernelINS0_14default_configENS1_21merge_config_selectorINS0_5tupleIJffEEENS0_10empty_typeEEEZNS1_10merge_implIS3_NS0_12zip_iteratorINS5_IJN6thrust23THRUST_200600_302600_NS6detail15normal_iteratorINSC_10device_ptrIKfEEEESI_EEEEESK_NSA_INS5_IJNSC_16discard_iteratorINSC_11use_defaultEEESN_EEEEEPS7_SQ_SQ_NSC_11hip_rocprim7__merge17predicate_wrapperIffNSC_4lessIfEEEEEE10hipError_tPvRmT0_T1_T2_T3_T4_T5_mmT6_P12ihipStream_tbEUlT_E_NS1_11comp_targetILNS1_3genE4ELNS1_11target_archE910ELNS1_3gpuE8ELNS1_3repE0EEENS1_30default_config_static_selectorELNS0_4arch9wavefront6targetE0EEEvS11_
    .private_segment_fixed_size: 0
    .sgpr_count:     0
    .sgpr_spill_count: 0
    .symbol:         _ZN7rocprim17ROCPRIM_400000_NS6detail17trampoline_kernelINS0_14default_configENS1_21merge_config_selectorINS0_5tupleIJffEEENS0_10empty_typeEEEZNS1_10merge_implIS3_NS0_12zip_iteratorINS5_IJN6thrust23THRUST_200600_302600_NS6detail15normal_iteratorINSC_10device_ptrIKfEEEESI_EEEEESK_NSA_INS5_IJNSC_16discard_iteratorINSC_11use_defaultEEESN_EEEEEPS7_SQ_SQ_NSC_11hip_rocprim7__merge17predicate_wrapperIffNSC_4lessIfEEEEEE10hipError_tPvRmT0_T1_T2_T3_T4_T5_mmT6_P12ihipStream_tbEUlT_E_NS1_11comp_targetILNS1_3genE4ELNS1_11target_archE910ELNS1_3gpuE8ELNS1_3repE0EEENS1_30default_config_static_selectorELNS0_4arch9wavefront6targetE0EEEvS11_.kd
    .uniform_work_group_size: 1
    .uses_dynamic_stack: false
    .vgpr_count:     0
    .vgpr_spill_count: 0
    .wavefront_size: 32
    .workgroup_processor_mode: 1
  - .args:
      - .offset:         0
        .size:           64
        .value_kind:     by_value
    .group_segment_fixed_size: 0
    .kernarg_segment_align: 8
    .kernarg_segment_size: 64
    .language:       OpenCL C
    .language_version:
      - 2
      - 0
    .max_flat_workgroup_size: 256
    .name:           _ZN7rocprim17ROCPRIM_400000_NS6detail17trampoline_kernelINS0_14default_configENS1_21merge_config_selectorINS0_5tupleIJffEEENS0_10empty_typeEEEZNS1_10merge_implIS3_NS0_12zip_iteratorINS5_IJN6thrust23THRUST_200600_302600_NS6detail15normal_iteratorINSC_10device_ptrIKfEEEESI_EEEEESK_NSA_INS5_IJNSC_16discard_iteratorINSC_11use_defaultEEESN_EEEEEPS7_SQ_SQ_NSC_11hip_rocprim7__merge17predicate_wrapperIffNSC_4lessIfEEEEEE10hipError_tPvRmT0_T1_T2_T3_T4_T5_mmT6_P12ihipStream_tbEUlT_E_NS1_11comp_targetILNS1_3genE3ELNS1_11target_archE908ELNS1_3gpuE7ELNS1_3repE0EEENS1_30default_config_static_selectorELNS0_4arch9wavefront6targetE0EEEvS11_
    .private_segment_fixed_size: 0
    .sgpr_count:     0
    .sgpr_spill_count: 0
    .symbol:         _ZN7rocprim17ROCPRIM_400000_NS6detail17trampoline_kernelINS0_14default_configENS1_21merge_config_selectorINS0_5tupleIJffEEENS0_10empty_typeEEEZNS1_10merge_implIS3_NS0_12zip_iteratorINS5_IJN6thrust23THRUST_200600_302600_NS6detail15normal_iteratorINSC_10device_ptrIKfEEEESI_EEEEESK_NSA_INS5_IJNSC_16discard_iteratorINSC_11use_defaultEEESN_EEEEEPS7_SQ_SQ_NSC_11hip_rocprim7__merge17predicate_wrapperIffNSC_4lessIfEEEEEE10hipError_tPvRmT0_T1_T2_T3_T4_T5_mmT6_P12ihipStream_tbEUlT_E_NS1_11comp_targetILNS1_3genE3ELNS1_11target_archE908ELNS1_3gpuE7ELNS1_3repE0EEENS1_30default_config_static_selectorELNS0_4arch9wavefront6targetE0EEEvS11_.kd
    .uniform_work_group_size: 1
    .uses_dynamic_stack: false
    .vgpr_count:     0
    .vgpr_spill_count: 0
    .wavefront_size: 32
    .workgroup_processor_mode: 1
  - .args:
      - .offset:         0
        .size:           64
        .value_kind:     by_value
    .group_segment_fixed_size: 0
    .kernarg_segment_align: 8
    .kernarg_segment_size: 64
    .language:       OpenCL C
    .language_version:
      - 2
      - 0
    .max_flat_workgroup_size: 256
    .name:           _ZN7rocprim17ROCPRIM_400000_NS6detail17trampoline_kernelINS0_14default_configENS1_21merge_config_selectorINS0_5tupleIJffEEENS0_10empty_typeEEEZNS1_10merge_implIS3_NS0_12zip_iteratorINS5_IJN6thrust23THRUST_200600_302600_NS6detail15normal_iteratorINSC_10device_ptrIKfEEEESI_EEEEESK_NSA_INS5_IJNSC_16discard_iteratorINSC_11use_defaultEEESN_EEEEEPS7_SQ_SQ_NSC_11hip_rocprim7__merge17predicate_wrapperIffNSC_4lessIfEEEEEE10hipError_tPvRmT0_T1_T2_T3_T4_T5_mmT6_P12ihipStream_tbEUlT_E_NS1_11comp_targetILNS1_3genE2ELNS1_11target_archE906ELNS1_3gpuE6ELNS1_3repE0EEENS1_30default_config_static_selectorELNS0_4arch9wavefront6targetE0EEEvS11_
    .private_segment_fixed_size: 0
    .sgpr_count:     0
    .sgpr_spill_count: 0
    .symbol:         _ZN7rocprim17ROCPRIM_400000_NS6detail17trampoline_kernelINS0_14default_configENS1_21merge_config_selectorINS0_5tupleIJffEEENS0_10empty_typeEEEZNS1_10merge_implIS3_NS0_12zip_iteratorINS5_IJN6thrust23THRUST_200600_302600_NS6detail15normal_iteratorINSC_10device_ptrIKfEEEESI_EEEEESK_NSA_INS5_IJNSC_16discard_iteratorINSC_11use_defaultEEESN_EEEEEPS7_SQ_SQ_NSC_11hip_rocprim7__merge17predicate_wrapperIffNSC_4lessIfEEEEEE10hipError_tPvRmT0_T1_T2_T3_T4_T5_mmT6_P12ihipStream_tbEUlT_E_NS1_11comp_targetILNS1_3genE2ELNS1_11target_archE906ELNS1_3gpuE6ELNS1_3repE0EEENS1_30default_config_static_selectorELNS0_4arch9wavefront6targetE0EEEvS11_.kd
    .uniform_work_group_size: 1
    .uses_dynamic_stack: false
    .vgpr_count:     0
    .vgpr_spill_count: 0
    .wavefront_size: 32
    .workgroup_processor_mode: 1
  - .args:
      - .offset:         0
        .size:           64
        .value_kind:     by_value
    .group_segment_fixed_size: 0
    .kernarg_segment_align: 8
    .kernarg_segment_size: 64
    .language:       OpenCL C
    .language_version:
      - 2
      - 0
    .max_flat_workgroup_size: 512
    .name:           _ZN7rocprim17ROCPRIM_400000_NS6detail17trampoline_kernelINS0_14default_configENS1_21merge_config_selectorINS0_5tupleIJffEEENS0_10empty_typeEEEZNS1_10merge_implIS3_NS0_12zip_iteratorINS5_IJN6thrust23THRUST_200600_302600_NS6detail15normal_iteratorINSC_10device_ptrIKfEEEESI_EEEEESK_NSA_INS5_IJNSC_16discard_iteratorINSC_11use_defaultEEESN_EEEEEPS7_SQ_SQ_NSC_11hip_rocprim7__merge17predicate_wrapperIffNSC_4lessIfEEEEEE10hipError_tPvRmT0_T1_T2_T3_T4_T5_mmT6_P12ihipStream_tbEUlT_E_NS1_11comp_targetILNS1_3genE10ELNS1_11target_archE1201ELNS1_3gpuE5ELNS1_3repE0EEENS1_30default_config_static_selectorELNS0_4arch9wavefront6targetE0EEEvS11_
    .private_segment_fixed_size: 0
    .sgpr_count:     0
    .sgpr_spill_count: 0
    .symbol:         _ZN7rocprim17ROCPRIM_400000_NS6detail17trampoline_kernelINS0_14default_configENS1_21merge_config_selectorINS0_5tupleIJffEEENS0_10empty_typeEEEZNS1_10merge_implIS3_NS0_12zip_iteratorINS5_IJN6thrust23THRUST_200600_302600_NS6detail15normal_iteratorINSC_10device_ptrIKfEEEESI_EEEEESK_NSA_INS5_IJNSC_16discard_iteratorINSC_11use_defaultEEESN_EEEEEPS7_SQ_SQ_NSC_11hip_rocprim7__merge17predicate_wrapperIffNSC_4lessIfEEEEEE10hipError_tPvRmT0_T1_T2_T3_T4_T5_mmT6_P12ihipStream_tbEUlT_E_NS1_11comp_targetILNS1_3genE10ELNS1_11target_archE1201ELNS1_3gpuE5ELNS1_3repE0EEENS1_30default_config_static_selectorELNS0_4arch9wavefront6targetE0EEEvS11_.kd
    .uniform_work_group_size: 1
    .uses_dynamic_stack: false
    .vgpr_count:     0
    .vgpr_spill_count: 0
    .wavefront_size: 32
    .workgroup_processor_mode: 1
  - .args:
      - .offset:         0
        .size:           64
        .value_kind:     by_value
    .group_segment_fixed_size: 0
    .kernarg_segment_align: 8
    .kernarg_segment_size: 64
    .language:       OpenCL C
    .language_version:
      - 2
      - 0
    .max_flat_workgroup_size: 1024
    .name:           _ZN7rocprim17ROCPRIM_400000_NS6detail17trampoline_kernelINS0_14default_configENS1_21merge_config_selectorINS0_5tupleIJffEEENS0_10empty_typeEEEZNS1_10merge_implIS3_NS0_12zip_iteratorINS5_IJN6thrust23THRUST_200600_302600_NS6detail15normal_iteratorINSC_10device_ptrIKfEEEESI_EEEEESK_NSA_INS5_IJNSC_16discard_iteratorINSC_11use_defaultEEESN_EEEEEPS7_SQ_SQ_NSC_11hip_rocprim7__merge17predicate_wrapperIffNSC_4lessIfEEEEEE10hipError_tPvRmT0_T1_T2_T3_T4_T5_mmT6_P12ihipStream_tbEUlT_E_NS1_11comp_targetILNS1_3genE10ELNS1_11target_archE1200ELNS1_3gpuE4ELNS1_3repE0EEENS1_30default_config_static_selectorELNS0_4arch9wavefront6targetE0EEEvS11_
    .private_segment_fixed_size: 0
    .sgpr_count:     0
    .sgpr_spill_count: 0
    .symbol:         _ZN7rocprim17ROCPRIM_400000_NS6detail17trampoline_kernelINS0_14default_configENS1_21merge_config_selectorINS0_5tupleIJffEEENS0_10empty_typeEEEZNS1_10merge_implIS3_NS0_12zip_iteratorINS5_IJN6thrust23THRUST_200600_302600_NS6detail15normal_iteratorINSC_10device_ptrIKfEEEESI_EEEEESK_NSA_INS5_IJNSC_16discard_iteratorINSC_11use_defaultEEESN_EEEEEPS7_SQ_SQ_NSC_11hip_rocprim7__merge17predicate_wrapperIffNSC_4lessIfEEEEEE10hipError_tPvRmT0_T1_T2_T3_T4_T5_mmT6_P12ihipStream_tbEUlT_E_NS1_11comp_targetILNS1_3genE10ELNS1_11target_archE1200ELNS1_3gpuE4ELNS1_3repE0EEENS1_30default_config_static_selectorELNS0_4arch9wavefront6targetE0EEEvS11_.kd
    .uniform_work_group_size: 1
    .uses_dynamic_stack: false
    .vgpr_count:     0
    .vgpr_spill_count: 0
    .wavefront_size: 32
    .workgroup_processor_mode: 1
  - .args:
      - .offset:         0
        .size:           64
        .value_kind:     by_value
    .group_segment_fixed_size: 0
    .kernarg_segment_align: 8
    .kernarg_segment_size: 64
    .language:       OpenCL C
    .language_version:
      - 2
      - 0
    .max_flat_workgroup_size: 1024
    .name:           _ZN7rocprim17ROCPRIM_400000_NS6detail17trampoline_kernelINS0_14default_configENS1_21merge_config_selectorINS0_5tupleIJffEEENS0_10empty_typeEEEZNS1_10merge_implIS3_NS0_12zip_iteratorINS5_IJN6thrust23THRUST_200600_302600_NS6detail15normal_iteratorINSC_10device_ptrIKfEEEESI_EEEEESK_NSA_INS5_IJNSC_16discard_iteratorINSC_11use_defaultEEESN_EEEEEPS7_SQ_SQ_NSC_11hip_rocprim7__merge17predicate_wrapperIffNSC_4lessIfEEEEEE10hipError_tPvRmT0_T1_T2_T3_T4_T5_mmT6_P12ihipStream_tbEUlT_E_NS1_11comp_targetILNS1_3genE9ELNS1_11target_archE1100ELNS1_3gpuE3ELNS1_3repE0EEENS1_30default_config_static_selectorELNS0_4arch9wavefront6targetE0EEEvS11_
    .private_segment_fixed_size: 0
    .sgpr_count:     0
    .sgpr_spill_count: 0
    .symbol:         _ZN7rocprim17ROCPRIM_400000_NS6detail17trampoline_kernelINS0_14default_configENS1_21merge_config_selectorINS0_5tupleIJffEEENS0_10empty_typeEEEZNS1_10merge_implIS3_NS0_12zip_iteratorINS5_IJN6thrust23THRUST_200600_302600_NS6detail15normal_iteratorINSC_10device_ptrIKfEEEESI_EEEEESK_NSA_INS5_IJNSC_16discard_iteratorINSC_11use_defaultEEESN_EEEEEPS7_SQ_SQ_NSC_11hip_rocprim7__merge17predicate_wrapperIffNSC_4lessIfEEEEEE10hipError_tPvRmT0_T1_T2_T3_T4_T5_mmT6_P12ihipStream_tbEUlT_E_NS1_11comp_targetILNS1_3genE9ELNS1_11target_archE1100ELNS1_3gpuE3ELNS1_3repE0EEENS1_30default_config_static_selectorELNS0_4arch9wavefront6targetE0EEEvS11_.kd
    .uniform_work_group_size: 1
    .uses_dynamic_stack: false
    .vgpr_count:     0
    .vgpr_spill_count: 0
    .wavefront_size: 32
    .workgroup_processor_mode: 1
  - .args:
      - .offset:         0
        .size:           64
        .value_kind:     by_value
      - .offset:         64
        .size:           4
        .value_kind:     hidden_block_count_x
      - .offset:         68
        .size:           4
        .value_kind:     hidden_block_count_y
      - .offset:         72
        .size:           4
        .value_kind:     hidden_block_count_z
      - .offset:         76
        .size:           2
        .value_kind:     hidden_group_size_x
      - .offset:         78
        .size:           2
        .value_kind:     hidden_group_size_y
      - .offset:         80
        .size:           2
        .value_kind:     hidden_group_size_z
      - .offset:         82
        .size:           2
        .value_kind:     hidden_remainder_x
      - .offset:         84
        .size:           2
        .value_kind:     hidden_remainder_y
      - .offset:         86
        .size:           2
        .value_kind:     hidden_remainder_z
      - .offset:         104
        .size:           8
        .value_kind:     hidden_global_offset_x
      - .offset:         112
        .size:           8
        .value_kind:     hidden_global_offset_y
      - .offset:         120
        .size:           8
        .value_kind:     hidden_global_offset_z
      - .offset:         128
        .size:           2
        .value_kind:     hidden_grid_dims
    .group_segment_fixed_size: 0
    .kernarg_segment_align: 8
    .kernarg_segment_size: 320
    .language:       OpenCL C
    .language_version:
      - 2
      - 0
    .max_flat_workgroup_size: 256
    .name:           _ZN7rocprim17ROCPRIM_400000_NS6detail17trampoline_kernelINS0_14default_configENS1_21merge_config_selectorINS0_5tupleIJffEEENS0_10empty_typeEEEZNS1_10merge_implIS3_NS0_12zip_iteratorINS5_IJN6thrust23THRUST_200600_302600_NS6detail15normal_iteratorINSC_10device_ptrIKfEEEESI_EEEEESK_NSA_INS5_IJNSC_16discard_iteratorINSC_11use_defaultEEESN_EEEEEPS7_SQ_SQ_NSC_11hip_rocprim7__merge17predicate_wrapperIffNSC_4lessIfEEEEEE10hipError_tPvRmT0_T1_T2_T3_T4_T5_mmT6_P12ihipStream_tbEUlT_E_NS1_11comp_targetILNS1_3genE8ELNS1_11target_archE1030ELNS1_3gpuE2ELNS1_3repE0EEENS1_30default_config_static_selectorELNS0_4arch9wavefront6targetE0EEEvS11_
    .private_segment_fixed_size: 0
    .sgpr_count:     18
    .sgpr_spill_count: 0
    .symbol:         _ZN7rocprim17ROCPRIM_400000_NS6detail17trampoline_kernelINS0_14default_configENS1_21merge_config_selectorINS0_5tupleIJffEEENS0_10empty_typeEEEZNS1_10merge_implIS3_NS0_12zip_iteratorINS5_IJN6thrust23THRUST_200600_302600_NS6detail15normal_iteratorINSC_10device_ptrIKfEEEESI_EEEEESK_NSA_INS5_IJNSC_16discard_iteratorINSC_11use_defaultEEESN_EEEEEPS7_SQ_SQ_NSC_11hip_rocprim7__merge17predicate_wrapperIffNSC_4lessIfEEEEEE10hipError_tPvRmT0_T1_T2_T3_T4_T5_mmT6_P12ihipStream_tbEUlT_E_NS1_11comp_targetILNS1_3genE8ELNS1_11target_archE1030ELNS1_3gpuE2ELNS1_3repE0EEENS1_30default_config_static_selectorELNS0_4arch9wavefront6targetE0EEEvS11_.kd
    .uniform_work_group_size: 1
    .uses_dynamic_stack: false
    .vgpr_count:     13
    .vgpr_spill_count: 0
    .wavefront_size: 32
    .workgroup_processor_mode: 1
  - .args:
      - .offset:         0
        .size:           128
        .value_kind:     by_value
    .group_segment_fixed_size: 0
    .kernarg_segment_align: 8
    .kernarg_segment_size: 128
    .language:       OpenCL C
    .language_version:
      - 2
      - 0
    .max_flat_workgroup_size: 256
    .name:           _ZN7rocprim17ROCPRIM_400000_NS6detail17trampoline_kernelINS0_14default_configENS1_21merge_config_selectorINS0_5tupleIJffEEENS0_10empty_typeEEEZNS1_10merge_implIS3_NS0_12zip_iteratorINS5_IJN6thrust23THRUST_200600_302600_NS6detail15normal_iteratorINSC_10device_ptrIKfEEEESI_EEEEESK_NSA_INS5_IJNSC_16discard_iteratorINSC_11use_defaultEEESN_EEEEEPS7_SQ_SQ_NSC_11hip_rocprim7__merge17predicate_wrapperIffNSC_4lessIfEEEEEE10hipError_tPvRmT0_T1_T2_T3_T4_T5_mmT6_P12ihipStream_tbEUlT_E0_NS1_11comp_targetILNS1_3genE0ELNS1_11target_archE4294967295ELNS1_3gpuE0ELNS1_3repE0EEENS1_30default_config_static_selectorELNS0_4arch9wavefront6targetE0EEEvS11_
    .private_segment_fixed_size: 0
    .sgpr_count:     0
    .sgpr_spill_count: 0
    .symbol:         _ZN7rocprim17ROCPRIM_400000_NS6detail17trampoline_kernelINS0_14default_configENS1_21merge_config_selectorINS0_5tupleIJffEEENS0_10empty_typeEEEZNS1_10merge_implIS3_NS0_12zip_iteratorINS5_IJN6thrust23THRUST_200600_302600_NS6detail15normal_iteratorINSC_10device_ptrIKfEEEESI_EEEEESK_NSA_INS5_IJNSC_16discard_iteratorINSC_11use_defaultEEESN_EEEEEPS7_SQ_SQ_NSC_11hip_rocprim7__merge17predicate_wrapperIffNSC_4lessIfEEEEEE10hipError_tPvRmT0_T1_T2_T3_T4_T5_mmT6_P12ihipStream_tbEUlT_E0_NS1_11comp_targetILNS1_3genE0ELNS1_11target_archE4294967295ELNS1_3gpuE0ELNS1_3repE0EEENS1_30default_config_static_selectorELNS0_4arch9wavefront6targetE0EEEvS11_.kd
    .uniform_work_group_size: 1
    .uses_dynamic_stack: false
    .vgpr_count:     0
    .vgpr_spill_count: 0
    .wavefront_size: 32
    .workgroup_processor_mode: 1
  - .args:
      - .offset:         0
        .size:           128
        .value_kind:     by_value
    .group_segment_fixed_size: 0
    .kernarg_segment_align: 8
    .kernarg_segment_size: 128
    .language:       OpenCL C
    .language_version:
      - 2
      - 0
    .max_flat_workgroup_size: 256
    .name:           _ZN7rocprim17ROCPRIM_400000_NS6detail17trampoline_kernelINS0_14default_configENS1_21merge_config_selectorINS0_5tupleIJffEEENS0_10empty_typeEEEZNS1_10merge_implIS3_NS0_12zip_iteratorINS5_IJN6thrust23THRUST_200600_302600_NS6detail15normal_iteratorINSC_10device_ptrIKfEEEESI_EEEEESK_NSA_INS5_IJNSC_16discard_iteratorINSC_11use_defaultEEESN_EEEEEPS7_SQ_SQ_NSC_11hip_rocprim7__merge17predicate_wrapperIffNSC_4lessIfEEEEEE10hipError_tPvRmT0_T1_T2_T3_T4_T5_mmT6_P12ihipStream_tbEUlT_E0_NS1_11comp_targetILNS1_3genE5ELNS1_11target_archE942ELNS1_3gpuE9ELNS1_3repE0EEENS1_30default_config_static_selectorELNS0_4arch9wavefront6targetE0EEEvS11_
    .private_segment_fixed_size: 0
    .sgpr_count:     0
    .sgpr_spill_count: 0
    .symbol:         _ZN7rocprim17ROCPRIM_400000_NS6detail17trampoline_kernelINS0_14default_configENS1_21merge_config_selectorINS0_5tupleIJffEEENS0_10empty_typeEEEZNS1_10merge_implIS3_NS0_12zip_iteratorINS5_IJN6thrust23THRUST_200600_302600_NS6detail15normal_iteratorINSC_10device_ptrIKfEEEESI_EEEEESK_NSA_INS5_IJNSC_16discard_iteratorINSC_11use_defaultEEESN_EEEEEPS7_SQ_SQ_NSC_11hip_rocprim7__merge17predicate_wrapperIffNSC_4lessIfEEEEEE10hipError_tPvRmT0_T1_T2_T3_T4_T5_mmT6_P12ihipStream_tbEUlT_E0_NS1_11comp_targetILNS1_3genE5ELNS1_11target_archE942ELNS1_3gpuE9ELNS1_3repE0EEENS1_30default_config_static_selectorELNS0_4arch9wavefront6targetE0EEEvS11_.kd
    .uniform_work_group_size: 1
    .uses_dynamic_stack: false
    .vgpr_count:     0
    .vgpr_spill_count: 0
    .wavefront_size: 32
    .workgroup_processor_mode: 1
  - .args:
      - .offset:         0
        .size:           128
        .value_kind:     by_value
    .group_segment_fixed_size: 0
    .kernarg_segment_align: 8
    .kernarg_segment_size: 128
    .language:       OpenCL C
    .language_version:
      - 2
      - 0
    .max_flat_workgroup_size: 256
    .name:           _ZN7rocprim17ROCPRIM_400000_NS6detail17trampoline_kernelINS0_14default_configENS1_21merge_config_selectorINS0_5tupleIJffEEENS0_10empty_typeEEEZNS1_10merge_implIS3_NS0_12zip_iteratorINS5_IJN6thrust23THRUST_200600_302600_NS6detail15normal_iteratorINSC_10device_ptrIKfEEEESI_EEEEESK_NSA_INS5_IJNSC_16discard_iteratorINSC_11use_defaultEEESN_EEEEEPS7_SQ_SQ_NSC_11hip_rocprim7__merge17predicate_wrapperIffNSC_4lessIfEEEEEE10hipError_tPvRmT0_T1_T2_T3_T4_T5_mmT6_P12ihipStream_tbEUlT_E0_NS1_11comp_targetILNS1_3genE4ELNS1_11target_archE910ELNS1_3gpuE8ELNS1_3repE0EEENS1_30default_config_static_selectorELNS0_4arch9wavefront6targetE0EEEvS11_
    .private_segment_fixed_size: 0
    .sgpr_count:     0
    .sgpr_spill_count: 0
    .symbol:         _ZN7rocprim17ROCPRIM_400000_NS6detail17trampoline_kernelINS0_14default_configENS1_21merge_config_selectorINS0_5tupleIJffEEENS0_10empty_typeEEEZNS1_10merge_implIS3_NS0_12zip_iteratorINS5_IJN6thrust23THRUST_200600_302600_NS6detail15normal_iteratorINSC_10device_ptrIKfEEEESI_EEEEESK_NSA_INS5_IJNSC_16discard_iteratorINSC_11use_defaultEEESN_EEEEEPS7_SQ_SQ_NSC_11hip_rocprim7__merge17predicate_wrapperIffNSC_4lessIfEEEEEE10hipError_tPvRmT0_T1_T2_T3_T4_T5_mmT6_P12ihipStream_tbEUlT_E0_NS1_11comp_targetILNS1_3genE4ELNS1_11target_archE910ELNS1_3gpuE8ELNS1_3repE0EEENS1_30default_config_static_selectorELNS0_4arch9wavefront6targetE0EEEvS11_.kd
    .uniform_work_group_size: 1
    .uses_dynamic_stack: false
    .vgpr_count:     0
    .vgpr_spill_count: 0
    .wavefront_size: 32
    .workgroup_processor_mode: 1
  - .args:
      - .offset:         0
        .size:           128
        .value_kind:     by_value
    .group_segment_fixed_size: 0
    .kernarg_segment_align: 8
    .kernarg_segment_size: 128
    .language:       OpenCL C
    .language_version:
      - 2
      - 0
    .max_flat_workgroup_size: 256
    .name:           _ZN7rocprim17ROCPRIM_400000_NS6detail17trampoline_kernelINS0_14default_configENS1_21merge_config_selectorINS0_5tupleIJffEEENS0_10empty_typeEEEZNS1_10merge_implIS3_NS0_12zip_iteratorINS5_IJN6thrust23THRUST_200600_302600_NS6detail15normal_iteratorINSC_10device_ptrIKfEEEESI_EEEEESK_NSA_INS5_IJNSC_16discard_iteratorINSC_11use_defaultEEESN_EEEEEPS7_SQ_SQ_NSC_11hip_rocprim7__merge17predicate_wrapperIffNSC_4lessIfEEEEEE10hipError_tPvRmT0_T1_T2_T3_T4_T5_mmT6_P12ihipStream_tbEUlT_E0_NS1_11comp_targetILNS1_3genE3ELNS1_11target_archE908ELNS1_3gpuE7ELNS1_3repE0EEENS1_30default_config_static_selectorELNS0_4arch9wavefront6targetE0EEEvS11_
    .private_segment_fixed_size: 0
    .sgpr_count:     0
    .sgpr_spill_count: 0
    .symbol:         _ZN7rocprim17ROCPRIM_400000_NS6detail17trampoline_kernelINS0_14default_configENS1_21merge_config_selectorINS0_5tupleIJffEEENS0_10empty_typeEEEZNS1_10merge_implIS3_NS0_12zip_iteratorINS5_IJN6thrust23THRUST_200600_302600_NS6detail15normal_iteratorINSC_10device_ptrIKfEEEESI_EEEEESK_NSA_INS5_IJNSC_16discard_iteratorINSC_11use_defaultEEESN_EEEEEPS7_SQ_SQ_NSC_11hip_rocprim7__merge17predicate_wrapperIffNSC_4lessIfEEEEEE10hipError_tPvRmT0_T1_T2_T3_T4_T5_mmT6_P12ihipStream_tbEUlT_E0_NS1_11comp_targetILNS1_3genE3ELNS1_11target_archE908ELNS1_3gpuE7ELNS1_3repE0EEENS1_30default_config_static_selectorELNS0_4arch9wavefront6targetE0EEEvS11_.kd
    .uniform_work_group_size: 1
    .uses_dynamic_stack: false
    .vgpr_count:     0
    .vgpr_spill_count: 0
    .wavefront_size: 32
    .workgroup_processor_mode: 1
  - .args:
      - .offset:         0
        .size:           128
        .value_kind:     by_value
    .group_segment_fixed_size: 0
    .kernarg_segment_align: 8
    .kernarg_segment_size: 128
    .language:       OpenCL C
    .language_version:
      - 2
      - 0
    .max_flat_workgroup_size: 256
    .name:           _ZN7rocprim17ROCPRIM_400000_NS6detail17trampoline_kernelINS0_14default_configENS1_21merge_config_selectorINS0_5tupleIJffEEENS0_10empty_typeEEEZNS1_10merge_implIS3_NS0_12zip_iteratorINS5_IJN6thrust23THRUST_200600_302600_NS6detail15normal_iteratorINSC_10device_ptrIKfEEEESI_EEEEESK_NSA_INS5_IJNSC_16discard_iteratorINSC_11use_defaultEEESN_EEEEEPS7_SQ_SQ_NSC_11hip_rocprim7__merge17predicate_wrapperIffNSC_4lessIfEEEEEE10hipError_tPvRmT0_T1_T2_T3_T4_T5_mmT6_P12ihipStream_tbEUlT_E0_NS1_11comp_targetILNS1_3genE2ELNS1_11target_archE906ELNS1_3gpuE6ELNS1_3repE0EEENS1_30default_config_static_selectorELNS0_4arch9wavefront6targetE0EEEvS11_
    .private_segment_fixed_size: 0
    .sgpr_count:     0
    .sgpr_spill_count: 0
    .symbol:         _ZN7rocprim17ROCPRIM_400000_NS6detail17trampoline_kernelINS0_14default_configENS1_21merge_config_selectorINS0_5tupleIJffEEENS0_10empty_typeEEEZNS1_10merge_implIS3_NS0_12zip_iteratorINS5_IJN6thrust23THRUST_200600_302600_NS6detail15normal_iteratorINSC_10device_ptrIKfEEEESI_EEEEESK_NSA_INS5_IJNSC_16discard_iteratorINSC_11use_defaultEEESN_EEEEEPS7_SQ_SQ_NSC_11hip_rocprim7__merge17predicate_wrapperIffNSC_4lessIfEEEEEE10hipError_tPvRmT0_T1_T2_T3_T4_T5_mmT6_P12ihipStream_tbEUlT_E0_NS1_11comp_targetILNS1_3genE2ELNS1_11target_archE906ELNS1_3gpuE6ELNS1_3repE0EEENS1_30default_config_static_selectorELNS0_4arch9wavefront6targetE0EEEvS11_.kd
    .uniform_work_group_size: 1
    .uses_dynamic_stack: false
    .vgpr_count:     0
    .vgpr_spill_count: 0
    .wavefront_size: 32
    .workgroup_processor_mode: 1
  - .args:
      - .offset:         0
        .size:           128
        .value_kind:     by_value
    .group_segment_fixed_size: 0
    .kernarg_segment_align: 8
    .kernarg_segment_size: 128
    .language:       OpenCL C
    .language_version:
      - 2
      - 0
    .max_flat_workgroup_size: 512
    .name:           _ZN7rocprim17ROCPRIM_400000_NS6detail17trampoline_kernelINS0_14default_configENS1_21merge_config_selectorINS0_5tupleIJffEEENS0_10empty_typeEEEZNS1_10merge_implIS3_NS0_12zip_iteratorINS5_IJN6thrust23THRUST_200600_302600_NS6detail15normal_iteratorINSC_10device_ptrIKfEEEESI_EEEEESK_NSA_INS5_IJNSC_16discard_iteratorINSC_11use_defaultEEESN_EEEEEPS7_SQ_SQ_NSC_11hip_rocprim7__merge17predicate_wrapperIffNSC_4lessIfEEEEEE10hipError_tPvRmT0_T1_T2_T3_T4_T5_mmT6_P12ihipStream_tbEUlT_E0_NS1_11comp_targetILNS1_3genE10ELNS1_11target_archE1201ELNS1_3gpuE5ELNS1_3repE0EEENS1_30default_config_static_selectorELNS0_4arch9wavefront6targetE0EEEvS11_
    .private_segment_fixed_size: 0
    .sgpr_count:     0
    .sgpr_spill_count: 0
    .symbol:         _ZN7rocprim17ROCPRIM_400000_NS6detail17trampoline_kernelINS0_14default_configENS1_21merge_config_selectorINS0_5tupleIJffEEENS0_10empty_typeEEEZNS1_10merge_implIS3_NS0_12zip_iteratorINS5_IJN6thrust23THRUST_200600_302600_NS6detail15normal_iteratorINSC_10device_ptrIKfEEEESI_EEEEESK_NSA_INS5_IJNSC_16discard_iteratorINSC_11use_defaultEEESN_EEEEEPS7_SQ_SQ_NSC_11hip_rocprim7__merge17predicate_wrapperIffNSC_4lessIfEEEEEE10hipError_tPvRmT0_T1_T2_T3_T4_T5_mmT6_P12ihipStream_tbEUlT_E0_NS1_11comp_targetILNS1_3genE10ELNS1_11target_archE1201ELNS1_3gpuE5ELNS1_3repE0EEENS1_30default_config_static_selectorELNS0_4arch9wavefront6targetE0EEEvS11_.kd
    .uniform_work_group_size: 1
    .uses_dynamic_stack: false
    .vgpr_count:     0
    .vgpr_spill_count: 0
    .wavefront_size: 32
    .workgroup_processor_mode: 1
  - .args:
      - .offset:         0
        .size:           128
        .value_kind:     by_value
    .group_segment_fixed_size: 0
    .kernarg_segment_align: 8
    .kernarg_segment_size: 128
    .language:       OpenCL C
    .language_version:
      - 2
      - 0
    .max_flat_workgroup_size: 1024
    .name:           _ZN7rocprim17ROCPRIM_400000_NS6detail17trampoline_kernelINS0_14default_configENS1_21merge_config_selectorINS0_5tupleIJffEEENS0_10empty_typeEEEZNS1_10merge_implIS3_NS0_12zip_iteratorINS5_IJN6thrust23THRUST_200600_302600_NS6detail15normal_iteratorINSC_10device_ptrIKfEEEESI_EEEEESK_NSA_INS5_IJNSC_16discard_iteratorINSC_11use_defaultEEESN_EEEEEPS7_SQ_SQ_NSC_11hip_rocprim7__merge17predicate_wrapperIffNSC_4lessIfEEEEEE10hipError_tPvRmT0_T1_T2_T3_T4_T5_mmT6_P12ihipStream_tbEUlT_E0_NS1_11comp_targetILNS1_3genE10ELNS1_11target_archE1200ELNS1_3gpuE4ELNS1_3repE0EEENS1_30default_config_static_selectorELNS0_4arch9wavefront6targetE0EEEvS11_
    .private_segment_fixed_size: 0
    .sgpr_count:     0
    .sgpr_spill_count: 0
    .symbol:         _ZN7rocprim17ROCPRIM_400000_NS6detail17trampoline_kernelINS0_14default_configENS1_21merge_config_selectorINS0_5tupleIJffEEENS0_10empty_typeEEEZNS1_10merge_implIS3_NS0_12zip_iteratorINS5_IJN6thrust23THRUST_200600_302600_NS6detail15normal_iteratorINSC_10device_ptrIKfEEEESI_EEEEESK_NSA_INS5_IJNSC_16discard_iteratorINSC_11use_defaultEEESN_EEEEEPS7_SQ_SQ_NSC_11hip_rocprim7__merge17predicate_wrapperIffNSC_4lessIfEEEEEE10hipError_tPvRmT0_T1_T2_T3_T4_T5_mmT6_P12ihipStream_tbEUlT_E0_NS1_11comp_targetILNS1_3genE10ELNS1_11target_archE1200ELNS1_3gpuE4ELNS1_3repE0EEENS1_30default_config_static_selectorELNS0_4arch9wavefront6targetE0EEEvS11_.kd
    .uniform_work_group_size: 1
    .uses_dynamic_stack: false
    .vgpr_count:     0
    .vgpr_spill_count: 0
    .wavefront_size: 32
    .workgroup_processor_mode: 1
  - .args:
      - .offset:         0
        .size:           128
        .value_kind:     by_value
    .group_segment_fixed_size: 0
    .kernarg_segment_align: 8
    .kernarg_segment_size: 128
    .language:       OpenCL C
    .language_version:
      - 2
      - 0
    .max_flat_workgroup_size: 1024
    .name:           _ZN7rocprim17ROCPRIM_400000_NS6detail17trampoline_kernelINS0_14default_configENS1_21merge_config_selectorINS0_5tupleIJffEEENS0_10empty_typeEEEZNS1_10merge_implIS3_NS0_12zip_iteratorINS5_IJN6thrust23THRUST_200600_302600_NS6detail15normal_iteratorINSC_10device_ptrIKfEEEESI_EEEEESK_NSA_INS5_IJNSC_16discard_iteratorINSC_11use_defaultEEESN_EEEEEPS7_SQ_SQ_NSC_11hip_rocprim7__merge17predicate_wrapperIffNSC_4lessIfEEEEEE10hipError_tPvRmT0_T1_T2_T3_T4_T5_mmT6_P12ihipStream_tbEUlT_E0_NS1_11comp_targetILNS1_3genE9ELNS1_11target_archE1100ELNS1_3gpuE3ELNS1_3repE0EEENS1_30default_config_static_selectorELNS0_4arch9wavefront6targetE0EEEvS11_
    .private_segment_fixed_size: 0
    .sgpr_count:     0
    .sgpr_spill_count: 0
    .symbol:         _ZN7rocprim17ROCPRIM_400000_NS6detail17trampoline_kernelINS0_14default_configENS1_21merge_config_selectorINS0_5tupleIJffEEENS0_10empty_typeEEEZNS1_10merge_implIS3_NS0_12zip_iteratorINS5_IJN6thrust23THRUST_200600_302600_NS6detail15normal_iteratorINSC_10device_ptrIKfEEEESI_EEEEESK_NSA_INS5_IJNSC_16discard_iteratorINSC_11use_defaultEEESN_EEEEEPS7_SQ_SQ_NSC_11hip_rocprim7__merge17predicate_wrapperIffNSC_4lessIfEEEEEE10hipError_tPvRmT0_T1_T2_T3_T4_T5_mmT6_P12ihipStream_tbEUlT_E0_NS1_11comp_targetILNS1_3genE9ELNS1_11target_archE1100ELNS1_3gpuE3ELNS1_3repE0EEENS1_30default_config_static_selectorELNS0_4arch9wavefront6targetE0EEEvS11_.kd
    .uniform_work_group_size: 1
    .uses_dynamic_stack: false
    .vgpr_count:     0
    .vgpr_spill_count: 0
    .wavefront_size: 32
    .workgroup_processor_mode: 1
  - .args:
      - .offset:         0
        .size:           128
        .value_kind:     by_value
    .group_segment_fixed_size: 33792
    .kernarg_segment_align: 8
    .kernarg_segment_size: 128
    .language:       OpenCL C
    .language_version:
      - 2
      - 0
    .max_flat_workgroup_size: 256
    .name:           _ZN7rocprim17ROCPRIM_400000_NS6detail17trampoline_kernelINS0_14default_configENS1_21merge_config_selectorINS0_5tupleIJffEEENS0_10empty_typeEEEZNS1_10merge_implIS3_NS0_12zip_iteratorINS5_IJN6thrust23THRUST_200600_302600_NS6detail15normal_iteratorINSC_10device_ptrIKfEEEESI_EEEEESK_NSA_INS5_IJNSC_16discard_iteratorINSC_11use_defaultEEESN_EEEEEPS7_SQ_SQ_NSC_11hip_rocprim7__merge17predicate_wrapperIffNSC_4lessIfEEEEEE10hipError_tPvRmT0_T1_T2_T3_T4_T5_mmT6_P12ihipStream_tbEUlT_E0_NS1_11comp_targetILNS1_3genE8ELNS1_11target_archE1030ELNS1_3gpuE2ELNS1_3repE0EEENS1_30default_config_static_selectorELNS0_4arch9wavefront6targetE0EEEvS11_
    .private_segment_fixed_size: 0
    .sgpr_count:     26
    .sgpr_spill_count: 0
    .symbol:         _ZN7rocprim17ROCPRIM_400000_NS6detail17trampoline_kernelINS0_14default_configENS1_21merge_config_selectorINS0_5tupleIJffEEENS0_10empty_typeEEEZNS1_10merge_implIS3_NS0_12zip_iteratorINS5_IJN6thrust23THRUST_200600_302600_NS6detail15normal_iteratorINSC_10device_ptrIKfEEEESI_EEEEESK_NSA_INS5_IJNSC_16discard_iteratorINSC_11use_defaultEEESN_EEEEEPS7_SQ_SQ_NSC_11hip_rocprim7__merge17predicate_wrapperIffNSC_4lessIfEEEEEE10hipError_tPvRmT0_T1_T2_T3_T4_T5_mmT6_P12ihipStream_tbEUlT_E0_NS1_11comp_targetILNS1_3genE8ELNS1_11target_archE1030ELNS1_3gpuE2ELNS1_3repE0EEENS1_30default_config_static_selectorELNS0_4arch9wavefront6targetE0EEEvS11_.kd
    .uniform_work_group_size: 1
    .uses_dynamic_stack: false
    .vgpr_count:     57
    .vgpr_spill_count: 0
    .wavefront_size: 32
    .workgroup_processor_mode: 1
  - .args:
      - .offset:         0
        .size:           64
        .value_kind:     by_value
    .group_segment_fixed_size: 0
    .kernarg_segment_align: 8
    .kernarg_segment_size: 64
    .language:       OpenCL C
    .language_version:
      - 2
      - 0
    .max_flat_workgroup_size: 512
    .name:           _ZN7rocprim17ROCPRIM_400000_NS6detail17trampoline_kernelINS0_14default_configENS1_21merge_config_selectorINS0_5tupleIJyyEEENS0_10empty_typeEEEZNS1_10merge_implIS3_NS0_12zip_iteratorINS5_IJN6thrust23THRUST_200600_302600_NS6detail15normal_iteratorINSC_10device_ptrIKyEEEESI_EEEEESK_NSA_INS5_IJNSC_16discard_iteratorINSC_11use_defaultEEESN_EEEEEPS7_SQ_SQ_NSC_11hip_rocprim7__merge17predicate_wrapperIyyNSC_4lessIyEEEEEE10hipError_tPvRmT0_T1_T2_T3_T4_T5_mmT6_P12ihipStream_tbEUlT_E_NS1_11comp_targetILNS1_3genE0ELNS1_11target_archE4294967295ELNS1_3gpuE0ELNS1_3repE0EEENS1_30default_config_static_selectorELNS0_4arch9wavefront6targetE0EEEvS11_
    .private_segment_fixed_size: 0
    .sgpr_count:     0
    .sgpr_spill_count: 0
    .symbol:         _ZN7rocprim17ROCPRIM_400000_NS6detail17trampoline_kernelINS0_14default_configENS1_21merge_config_selectorINS0_5tupleIJyyEEENS0_10empty_typeEEEZNS1_10merge_implIS3_NS0_12zip_iteratorINS5_IJN6thrust23THRUST_200600_302600_NS6detail15normal_iteratorINSC_10device_ptrIKyEEEESI_EEEEESK_NSA_INS5_IJNSC_16discard_iteratorINSC_11use_defaultEEESN_EEEEEPS7_SQ_SQ_NSC_11hip_rocprim7__merge17predicate_wrapperIyyNSC_4lessIyEEEEEE10hipError_tPvRmT0_T1_T2_T3_T4_T5_mmT6_P12ihipStream_tbEUlT_E_NS1_11comp_targetILNS1_3genE0ELNS1_11target_archE4294967295ELNS1_3gpuE0ELNS1_3repE0EEENS1_30default_config_static_selectorELNS0_4arch9wavefront6targetE0EEEvS11_.kd
    .uniform_work_group_size: 1
    .uses_dynamic_stack: false
    .vgpr_count:     0
    .vgpr_spill_count: 0
    .wavefront_size: 32
    .workgroup_processor_mode: 1
  - .args:
      - .offset:         0
        .size:           64
        .value_kind:     by_value
    .group_segment_fixed_size: 0
    .kernarg_segment_align: 8
    .kernarg_segment_size: 64
    .language:       OpenCL C
    .language_version:
      - 2
      - 0
    .max_flat_workgroup_size: 256
    .name:           _ZN7rocprim17ROCPRIM_400000_NS6detail17trampoline_kernelINS0_14default_configENS1_21merge_config_selectorINS0_5tupleIJyyEEENS0_10empty_typeEEEZNS1_10merge_implIS3_NS0_12zip_iteratorINS5_IJN6thrust23THRUST_200600_302600_NS6detail15normal_iteratorINSC_10device_ptrIKyEEEESI_EEEEESK_NSA_INS5_IJNSC_16discard_iteratorINSC_11use_defaultEEESN_EEEEEPS7_SQ_SQ_NSC_11hip_rocprim7__merge17predicate_wrapperIyyNSC_4lessIyEEEEEE10hipError_tPvRmT0_T1_T2_T3_T4_T5_mmT6_P12ihipStream_tbEUlT_E_NS1_11comp_targetILNS1_3genE5ELNS1_11target_archE942ELNS1_3gpuE9ELNS1_3repE0EEENS1_30default_config_static_selectorELNS0_4arch9wavefront6targetE0EEEvS11_
    .private_segment_fixed_size: 0
    .sgpr_count:     0
    .sgpr_spill_count: 0
    .symbol:         _ZN7rocprim17ROCPRIM_400000_NS6detail17trampoline_kernelINS0_14default_configENS1_21merge_config_selectorINS0_5tupleIJyyEEENS0_10empty_typeEEEZNS1_10merge_implIS3_NS0_12zip_iteratorINS5_IJN6thrust23THRUST_200600_302600_NS6detail15normal_iteratorINSC_10device_ptrIKyEEEESI_EEEEESK_NSA_INS5_IJNSC_16discard_iteratorINSC_11use_defaultEEESN_EEEEEPS7_SQ_SQ_NSC_11hip_rocprim7__merge17predicate_wrapperIyyNSC_4lessIyEEEEEE10hipError_tPvRmT0_T1_T2_T3_T4_T5_mmT6_P12ihipStream_tbEUlT_E_NS1_11comp_targetILNS1_3genE5ELNS1_11target_archE942ELNS1_3gpuE9ELNS1_3repE0EEENS1_30default_config_static_selectorELNS0_4arch9wavefront6targetE0EEEvS11_.kd
    .uniform_work_group_size: 1
    .uses_dynamic_stack: false
    .vgpr_count:     0
    .vgpr_spill_count: 0
    .wavefront_size: 32
    .workgroup_processor_mode: 1
  - .args:
      - .offset:         0
        .size:           64
        .value_kind:     by_value
    .group_segment_fixed_size: 0
    .kernarg_segment_align: 8
    .kernarg_segment_size: 64
    .language:       OpenCL C
    .language_version:
      - 2
      - 0
    .max_flat_workgroup_size: 512
    .name:           _ZN7rocprim17ROCPRIM_400000_NS6detail17trampoline_kernelINS0_14default_configENS1_21merge_config_selectorINS0_5tupleIJyyEEENS0_10empty_typeEEEZNS1_10merge_implIS3_NS0_12zip_iteratorINS5_IJN6thrust23THRUST_200600_302600_NS6detail15normal_iteratorINSC_10device_ptrIKyEEEESI_EEEEESK_NSA_INS5_IJNSC_16discard_iteratorINSC_11use_defaultEEESN_EEEEEPS7_SQ_SQ_NSC_11hip_rocprim7__merge17predicate_wrapperIyyNSC_4lessIyEEEEEE10hipError_tPvRmT0_T1_T2_T3_T4_T5_mmT6_P12ihipStream_tbEUlT_E_NS1_11comp_targetILNS1_3genE4ELNS1_11target_archE910ELNS1_3gpuE8ELNS1_3repE0EEENS1_30default_config_static_selectorELNS0_4arch9wavefront6targetE0EEEvS11_
    .private_segment_fixed_size: 0
    .sgpr_count:     0
    .sgpr_spill_count: 0
    .symbol:         _ZN7rocprim17ROCPRIM_400000_NS6detail17trampoline_kernelINS0_14default_configENS1_21merge_config_selectorINS0_5tupleIJyyEEENS0_10empty_typeEEEZNS1_10merge_implIS3_NS0_12zip_iteratorINS5_IJN6thrust23THRUST_200600_302600_NS6detail15normal_iteratorINSC_10device_ptrIKyEEEESI_EEEEESK_NSA_INS5_IJNSC_16discard_iteratorINSC_11use_defaultEEESN_EEEEEPS7_SQ_SQ_NSC_11hip_rocprim7__merge17predicate_wrapperIyyNSC_4lessIyEEEEEE10hipError_tPvRmT0_T1_T2_T3_T4_T5_mmT6_P12ihipStream_tbEUlT_E_NS1_11comp_targetILNS1_3genE4ELNS1_11target_archE910ELNS1_3gpuE8ELNS1_3repE0EEENS1_30default_config_static_selectorELNS0_4arch9wavefront6targetE0EEEvS11_.kd
    .uniform_work_group_size: 1
    .uses_dynamic_stack: false
    .vgpr_count:     0
    .vgpr_spill_count: 0
    .wavefront_size: 32
    .workgroup_processor_mode: 1
  - .args:
      - .offset:         0
        .size:           64
        .value_kind:     by_value
    .group_segment_fixed_size: 0
    .kernarg_segment_align: 8
    .kernarg_segment_size: 64
    .language:       OpenCL C
    .language_version:
      - 2
      - 0
    .max_flat_workgroup_size: 512
    .name:           _ZN7rocprim17ROCPRIM_400000_NS6detail17trampoline_kernelINS0_14default_configENS1_21merge_config_selectorINS0_5tupleIJyyEEENS0_10empty_typeEEEZNS1_10merge_implIS3_NS0_12zip_iteratorINS5_IJN6thrust23THRUST_200600_302600_NS6detail15normal_iteratorINSC_10device_ptrIKyEEEESI_EEEEESK_NSA_INS5_IJNSC_16discard_iteratorINSC_11use_defaultEEESN_EEEEEPS7_SQ_SQ_NSC_11hip_rocprim7__merge17predicate_wrapperIyyNSC_4lessIyEEEEEE10hipError_tPvRmT0_T1_T2_T3_T4_T5_mmT6_P12ihipStream_tbEUlT_E_NS1_11comp_targetILNS1_3genE3ELNS1_11target_archE908ELNS1_3gpuE7ELNS1_3repE0EEENS1_30default_config_static_selectorELNS0_4arch9wavefront6targetE0EEEvS11_
    .private_segment_fixed_size: 0
    .sgpr_count:     0
    .sgpr_spill_count: 0
    .symbol:         _ZN7rocprim17ROCPRIM_400000_NS6detail17trampoline_kernelINS0_14default_configENS1_21merge_config_selectorINS0_5tupleIJyyEEENS0_10empty_typeEEEZNS1_10merge_implIS3_NS0_12zip_iteratorINS5_IJN6thrust23THRUST_200600_302600_NS6detail15normal_iteratorINSC_10device_ptrIKyEEEESI_EEEEESK_NSA_INS5_IJNSC_16discard_iteratorINSC_11use_defaultEEESN_EEEEEPS7_SQ_SQ_NSC_11hip_rocprim7__merge17predicate_wrapperIyyNSC_4lessIyEEEEEE10hipError_tPvRmT0_T1_T2_T3_T4_T5_mmT6_P12ihipStream_tbEUlT_E_NS1_11comp_targetILNS1_3genE3ELNS1_11target_archE908ELNS1_3gpuE7ELNS1_3repE0EEENS1_30default_config_static_selectorELNS0_4arch9wavefront6targetE0EEEvS11_.kd
    .uniform_work_group_size: 1
    .uses_dynamic_stack: false
    .vgpr_count:     0
    .vgpr_spill_count: 0
    .wavefront_size: 32
    .workgroup_processor_mode: 1
  - .args:
      - .offset:         0
        .size:           64
        .value_kind:     by_value
    .group_segment_fixed_size: 0
    .kernarg_segment_align: 8
    .kernarg_segment_size: 64
    .language:       OpenCL C
    .language_version:
      - 2
      - 0
    .max_flat_workgroup_size: 512
    .name:           _ZN7rocprim17ROCPRIM_400000_NS6detail17trampoline_kernelINS0_14default_configENS1_21merge_config_selectorINS0_5tupleIJyyEEENS0_10empty_typeEEEZNS1_10merge_implIS3_NS0_12zip_iteratorINS5_IJN6thrust23THRUST_200600_302600_NS6detail15normal_iteratorINSC_10device_ptrIKyEEEESI_EEEEESK_NSA_INS5_IJNSC_16discard_iteratorINSC_11use_defaultEEESN_EEEEEPS7_SQ_SQ_NSC_11hip_rocprim7__merge17predicate_wrapperIyyNSC_4lessIyEEEEEE10hipError_tPvRmT0_T1_T2_T3_T4_T5_mmT6_P12ihipStream_tbEUlT_E_NS1_11comp_targetILNS1_3genE2ELNS1_11target_archE906ELNS1_3gpuE6ELNS1_3repE0EEENS1_30default_config_static_selectorELNS0_4arch9wavefront6targetE0EEEvS11_
    .private_segment_fixed_size: 0
    .sgpr_count:     0
    .sgpr_spill_count: 0
    .symbol:         _ZN7rocprim17ROCPRIM_400000_NS6detail17trampoline_kernelINS0_14default_configENS1_21merge_config_selectorINS0_5tupleIJyyEEENS0_10empty_typeEEEZNS1_10merge_implIS3_NS0_12zip_iteratorINS5_IJN6thrust23THRUST_200600_302600_NS6detail15normal_iteratorINSC_10device_ptrIKyEEEESI_EEEEESK_NSA_INS5_IJNSC_16discard_iteratorINSC_11use_defaultEEESN_EEEEEPS7_SQ_SQ_NSC_11hip_rocprim7__merge17predicate_wrapperIyyNSC_4lessIyEEEEEE10hipError_tPvRmT0_T1_T2_T3_T4_T5_mmT6_P12ihipStream_tbEUlT_E_NS1_11comp_targetILNS1_3genE2ELNS1_11target_archE906ELNS1_3gpuE6ELNS1_3repE0EEENS1_30default_config_static_selectorELNS0_4arch9wavefront6targetE0EEEvS11_.kd
    .uniform_work_group_size: 1
    .uses_dynamic_stack: false
    .vgpr_count:     0
    .vgpr_spill_count: 0
    .wavefront_size: 32
    .workgroup_processor_mode: 1
  - .args:
      - .offset:         0
        .size:           64
        .value_kind:     by_value
    .group_segment_fixed_size: 0
    .kernarg_segment_align: 8
    .kernarg_segment_size: 64
    .language:       OpenCL C
    .language_version:
      - 2
      - 0
    .max_flat_workgroup_size: 512
    .name:           _ZN7rocprim17ROCPRIM_400000_NS6detail17trampoline_kernelINS0_14default_configENS1_21merge_config_selectorINS0_5tupleIJyyEEENS0_10empty_typeEEEZNS1_10merge_implIS3_NS0_12zip_iteratorINS5_IJN6thrust23THRUST_200600_302600_NS6detail15normal_iteratorINSC_10device_ptrIKyEEEESI_EEEEESK_NSA_INS5_IJNSC_16discard_iteratorINSC_11use_defaultEEESN_EEEEEPS7_SQ_SQ_NSC_11hip_rocprim7__merge17predicate_wrapperIyyNSC_4lessIyEEEEEE10hipError_tPvRmT0_T1_T2_T3_T4_T5_mmT6_P12ihipStream_tbEUlT_E_NS1_11comp_targetILNS1_3genE10ELNS1_11target_archE1201ELNS1_3gpuE5ELNS1_3repE0EEENS1_30default_config_static_selectorELNS0_4arch9wavefront6targetE0EEEvS11_
    .private_segment_fixed_size: 0
    .sgpr_count:     0
    .sgpr_spill_count: 0
    .symbol:         _ZN7rocprim17ROCPRIM_400000_NS6detail17trampoline_kernelINS0_14default_configENS1_21merge_config_selectorINS0_5tupleIJyyEEENS0_10empty_typeEEEZNS1_10merge_implIS3_NS0_12zip_iteratorINS5_IJN6thrust23THRUST_200600_302600_NS6detail15normal_iteratorINSC_10device_ptrIKyEEEESI_EEEEESK_NSA_INS5_IJNSC_16discard_iteratorINSC_11use_defaultEEESN_EEEEEPS7_SQ_SQ_NSC_11hip_rocprim7__merge17predicate_wrapperIyyNSC_4lessIyEEEEEE10hipError_tPvRmT0_T1_T2_T3_T4_T5_mmT6_P12ihipStream_tbEUlT_E_NS1_11comp_targetILNS1_3genE10ELNS1_11target_archE1201ELNS1_3gpuE5ELNS1_3repE0EEENS1_30default_config_static_selectorELNS0_4arch9wavefront6targetE0EEEvS11_.kd
    .uniform_work_group_size: 1
    .uses_dynamic_stack: false
    .vgpr_count:     0
    .vgpr_spill_count: 0
    .wavefront_size: 32
    .workgroup_processor_mode: 1
  - .args:
      - .offset:         0
        .size:           64
        .value_kind:     by_value
    .group_segment_fixed_size: 0
    .kernarg_segment_align: 8
    .kernarg_segment_size: 64
    .language:       OpenCL C
    .language_version:
      - 2
      - 0
    .max_flat_workgroup_size: 256
    .name:           _ZN7rocprim17ROCPRIM_400000_NS6detail17trampoline_kernelINS0_14default_configENS1_21merge_config_selectorINS0_5tupleIJyyEEENS0_10empty_typeEEEZNS1_10merge_implIS3_NS0_12zip_iteratorINS5_IJN6thrust23THRUST_200600_302600_NS6detail15normal_iteratorINSC_10device_ptrIKyEEEESI_EEEEESK_NSA_INS5_IJNSC_16discard_iteratorINSC_11use_defaultEEESN_EEEEEPS7_SQ_SQ_NSC_11hip_rocprim7__merge17predicate_wrapperIyyNSC_4lessIyEEEEEE10hipError_tPvRmT0_T1_T2_T3_T4_T5_mmT6_P12ihipStream_tbEUlT_E_NS1_11comp_targetILNS1_3genE10ELNS1_11target_archE1200ELNS1_3gpuE4ELNS1_3repE0EEENS1_30default_config_static_selectorELNS0_4arch9wavefront6targetE0EEEvS11_
    .private_segment_fixed_size: 0
    .sgpr_count:     0
    .sgpr_spill_count: 0
    .symbol:         _ZN7rocprim17ROCPRIM_400000_NS6detail17trampoline_kernelINS0_14default_configENS1_21merge_config_selectorINS0_5tupleIJyyEEENS0_10empty_typeEEEZNS1_10merge_implIS3_NS0_12zip_iteratorINS5_IJN6thrust23THRUST_200600_302600_NS6detail15normal_iteratorINSC_10device_ptrIKyEEEESI_EEEEESK_NSA_INS5_IJNSC_16discard_iteratorINSC_11use_defaultEEESN_EEEEEPS7_SQ_SQ_NSC_11hip_rocprim7__merge17predicate_wrapperIyyNSC_4lessIyEEEEEE10hipError_tPvRmT0_T1_T2_T3_T4_T5_mmT6_P12ihipStream_tbEUlT_E_NS1_11comp_targetILNS1_3genE10ELNS1_11target_archE1200ELNS1_3gpuE4ELNS1_3repE0EEENS1_30default_config_static_selectorELNS0_4arch9wavefront6targetE0EEEvS11_.kd
    .uniform_work_group_size: 1
    .uses_dynamic_stack: false
    .vgpr_count:     0
    .vgpr_spill_count: 0
    .wavefront_size: 32
    .workgroup_processor_mode: 1
  - .args:
      - .offset:         0
        .size:           64
        .value_kind:     by_value
    .group_segment_fixed_size: 0
    .kernarg_segment_align: 8
    .kernarg_segment_size: 64
    .language:       OpenCL C
    .language_version:
      - 2
      - 0
    .max_flat_workgroup_size: 1024
    .name:           _ZN7rocprim17ROCPRIM_400000_NS6detail17trampoline_kernelINS0_14default_configENS1_21merge_config_selectorINS0_5tupleIJyyEEENS0_10empty_typeEEEZNS1_10merge_implIS3_NS0_12zip_iteratorINS5_IJN6thrust23THRUST_200600_302600_NS6detail15normal_iteratorINSC_10device_ptrIKyEEEESI_EEEEESK_NSA_INS5_IJNSC_16discard_iteratorINSC_11use_defaultEEESN_EEEEEPS7_SQ_SQ_NSC_11hip_rocprim7__merge17predicate_wrapperIyyNSC_4lessIyEEEEEE10hipError_tPvRmT0_T1_T2_T3_T4_T5_mmT6_P12ihipStream_tbEUlT_E_NS1_11comp_targetILNS1_3genE9ELNS1_11target_archE1100ELNS1_3gpuE3ELNS1_3repE0EEENS1_30default_config_static_selectorELNS0_4arch9wavefront6targetE0EEEvS11_
    .private_segment_fixed_size: 0
    .sgpr_count:     0
    .sgpr_spill_count: 0
    .symbol:         _ZN7rocprim17ROCPRIM_400000_NS6detail17trampoline_kernelINS0_14default_configENS1_21merge_config_selectorINS0_5tupleIJyyEEENS0_10empty_typeEEEZNS1_10merge_implIS3_NS0_12zip_iteratorINS5_IJN6thrust23THRUST_200600_302600_NS6detail15normal_iteratorINSC_10device_ptrIKyEEEESI_EEEEESK_NSA_INS5_IJNSC_16discard_iteratorINSC_11use_defaultEEESN_EEEEEPS7_SQ_SQ_NSC_11hip_rocprim7__merge17predicate_wrapperIyyNSC_4lessIyEEEEEE10hipError_tPvRmT0_T1_T2_T3_T4_T5_mmT6_P12ihipStream_tbEUlT_E_NS1_11comp_targetILNS1_3genE9ELNS1_11target_archE1100ELNS1_3gpuE3ELNS1_3repE0EEENS1_30default_config_static_selectorELNS0_4arch9wavefront6targetE0EEEvS11_.kd
    .uniform_work_group_size: 1
    .uses_dynamic_stack: false
    .vgpr_count:     0
    .vgpr_spill_count: 0
    .wavefront_size: 32
    .workgroup_processor_mode: 1
  - .args:
      - .offset:         0
        .size:           64
        .value_kind:     by_value
      - .offset:         64
        .size:           4
        .value_kind:     hidden_block_count_x
      - .offset:         68
        .size:           4
        .value_kind:     hidden_block_count_y
      - .offset:         72
        .size:           4
        .value_kind:     hidden_block_count_z
      - .offset:         76
        .size:           2
        .value_kind:     hidden_group_size_x
      - .offset:         78
        .size:           2
        .value_kind:     hidden_group_size_y
      - .offset:         80
        .size:           2
        .value_kind:     hidden_group_size_z
      - .offset:         82
        .size:           2
        .value_kind:     hidden_remainder_x
      - .offset:         84
        .size:           2
        .value_kind:     hidden_remainder_y
      - .offset:         86
        .size:           2
        .value_kind:     hidden_remainder_z
      - .offset:         104
        .size:           8
        .value_kind:     hidden_global_offset_x
      - .offset:         112
        .size:           8
        .value_kind:     hidden_global_offset_y
      - .offset:         120
        .size:           8
        .value_kind:     hidden_global_offset_z
      - .offset:         128
        .size:           2
        .value_kind:     hidden_grid_dims
    .group_segment_fixed_size: 0
    .kernarg_segment_align: 8
    .kernarg_segment_size: 320
    .language:       OpenCL C
    .language_version:
      - 2
      - 0
    .max_flat_workgroup_size: 256
    .name:           _ZN7rocprim17ROCPRIM_400000_NS6detail17trampoline_kernelINS0_14default_configENS1_21merge_config_selectorINS0_5tupleIJyyEEENS0_10empty_typeEEEZNS1_10merge_implIS3_NS0_12zip_iteratorINS5_IJN6thrust23THRUST_200600_302600_NS6detail15normal_iteratorINSC_10device_ptrIKyEEEESI_EEEEESK_NSA_INS5_IJNSC_16discard_iteratorINSC_11use_defaultEEESN_EEEEEPS7_SQ_SQ_NSC_11hip_rocprim7__merge17predicate_wrapperIyyNSC_4lessIyEEEEEE10hipError_tPvRmT0_T1_T2_T3_T4_T5_mmT6_P12ihipStream_tbEUlT_E_NS1_11comp_targetILNS1_3genE8ELNS1_11target_archE1030ELNS1_3gpuE2ELNS1_3repE0EEENS1_30default_config_static_selectorELNS0_4arch9wavefront6targetE0EEEvS11_
    .private_segment_fixed_size: 0
    .sgpr_count:     18
    .sgpr_spill_count: 0
    .symbol:         _ZN7rocprim17ROCPRIM_400000_NS6detail17trampoline_kernelINS0_14default_configENS1_21merge_config_selectorINS0_5tupleIJyyEEENS0_10empty_typeEEEZNS1_10merge_implIS3_NS0_12zip_iteratorINS5_IJN6thrust23THRUST_200600_302600_NS6detail15normal_iteratorINSC_10device_ptrIKyEEEESI_EEEEESK_NSA_INS5_IJNSC_16discard_iteratorINSC_11use_defaultEEESN_EEEEEPS7_SQ_SQ_NSC_11hip_rocprim7__merge17predicate_wrapperIyyNSC_4lessIyEEEEEE10hipError_tPvRmT0_T1_T2_T3_T4_T5_mmT6_P12ihipStream_tbEUlT_E_NS1_11comp_targetILNS1_3genE8ELNS1_11target_archE1030ELNS1_3gpuE2ELNS1_3repE0EEENS1_30default_config_static_selectorELNS0_4arch9wavefront6targetE0EEEvS11_.kd
    .uniform_work_group_size: 1
    .uses_dynamic_stack: false
    .vgpr_count:     14
    .vgpr_spill_count: 0
    .wavefront_size: 32
    .workgroup_processor_mode: 1
  - .args:
      - .offset:         0
        .size:           128
        .value_kind:     by_value
    .group_segment_fixed_size: 0
    .kernarg_segment_align: 8
    .kernarg_segment_size: 128
    .language:       OpenCL C
    .language_version:
      - 2
      - 0
    .max_flat_workgroup_size: 512
    .name:           _ZN7rocprim17ROCPRIM_400000_NS6detail17trampoline_kernelINS0_14default_configENS1_21merge_config_selectorINS0_5tupleIJyyEEENS0_10empty_typeEEEZNS1_10merge_implIS3_NS0_12zip_iteratorINS5_IJN6thrust23THRUST_200600_302600_NS6detail15normal_iteratorINSC_10device_ptrIKyEEEESI_EEEEESK_NSA_INS5_IJNSC_16discard_iteratorINSC_11use_defaultEEESN_EEEEEPS7_SQ_SQ_NSC_11hip_rocprim7__merge17predicate_wrapperIyyNSC_4lessIyEEEEEE10hipError_tPvRmT0_T1_T2_T3_T4_T5_mmT6_P12ihipStream_tbEUlT_E0_NS1_11comp_targetILNS1_3genE0ELNS1_11target_archE4294967295ELNS1_3gpuE0ELNS1_3repE0EEENS1_30default_config_static_selectorELNS0_4arch9wavefront6targetE0EEEvS11_
    .private_segment_fixed_size: 0
    .sgpr_count:     0
    .sgpr_spill_count: 0
    .symbol:         _ZN7rocprim17ROCPRIM_400000_NS6detail17trampoline_kernelINS0_14default_configENS1_21merge_config_selectorINS0_5tupleIJyyEEENS0_10empty_typeEEEZNS1_10merge_implIS3_NS0_12zip_iteratorINS5_IJN6thrust23THRUST_200600_302600_NS6detail15normal_iteratorINSC_10device_ptrIKyEEEESI_EEEEESK_NSA_INS5_IJNSC_16discard_iteratorINSC_11use_defaultEEESN_EEEEEPS7_SQ_SQ_NSC_11hip_rocprim7__merge17predicate_wrapperIyyNSC_4lessIyEEEEEE10hipError_tPvRmT0_T1_T2_T3_T4_T5_mmT6_P12ihipStream_tbEUlT_E0_NS1_11comp_targetILNS1_3genE0ELNS1_11target_archE4294967295ELNS1_3gpuE0ELNS1_3repE0EEENS1_30default_config_static_selectorELNS0_4arch9wavefront6targetE0EEEvS11_.kd
    .uniform_work_group_size: 1
    .uses_dynamic_stack: false
    .vgpr_count:     0
    .vgpr_spill_count: 0
    .wavefront_size: 32
    .workgroup_processor_mode: 1
  - .args:
      - .offset:         0
        .size:           128
        .value_kind:     by_value
    .group_segment_fixed_size: 0
    .kernarg_segment_align: 8
    .kernarg_segment_size: 128
    .language:       OpenCL C
    .language_version:
      - 2
      - 0
    .max_flat_workgroup_size: 256
    .name:           _ZN7rocprim17ROCPRIM_400000_NS6detail17trampoline_kernelINS0_14default_configENS1_21merge_config_selectorINS0_5tupleIJyyEEENS0_10empty_typeEEEZNS1_10merge_implIS3_NS0_12zip_iteratorINS5_IJN6thrust23THRUST_200600_302600_NS6detail15normal_iteratorINSC_10device_ptrIKyEEEESI_EEEEESK_NSA_INS5_IJNSC_16discard_iteratorINSC_11use_defaultEEESN_EEEEEPS7_SQ_SQ_NSC_11hip_rocprim7__merge17predicate_wrapperIyyNSC_4lessIyEEEEEE10hipError_tPvRmT0_T1_T2_T3_T4_T5_mmT6_P12ihipStream_tbEUlT_E0_NS1_11comp_targetILNS1_3genE5ELNS1_11target_archE942ELNS1_3gpuE9ELNS1_3repE0EEENS1_30default_config_static_selectorELNS0_4arch9wavefront6targetE0EEEvS11_
    .private_segment_fixed_size: 0
    .sgpr_count:     0
    .sgpr_spill_count: 0
    .symbol:         _ZN7rocprim17ROCPRIM_400000_NS6detail17trampoline_kernelINS0_14default_configENS1_21merge_config_selectorINS0_5tupleIJyyEEENS0_10empty_typeEEEZNS1_10merge_implIS3_NS0_12zip_iteratorINS5_IJN6thrust23THRUST_200600_302600_NS6detail15normal_iteratorINSC_10device_ptrIKyEEEESI_EEEEESK_NSA_INS5_IJNSC_16discard_iteratorINSC_11use_defaultEEESN_EEEEEPS7_SQ_SQ_NSC_11hip_rocprim7__merge17predicate_wrapperIyyNSC_4lessIyEEEEEE10hipError_tPvRmT0_T1_T2_T3_T4_T5_mmT6_P12ihipStream_tbEUlT_E0_NS1_11comp_targetILNS1_3genE5ELNS1_11target_archE942ELNS1_3gpuE9ELNS1_3repE0EEENS1_30default_config_static_selectorELNS0_4arch9wavefront6targetE0EEEvS11_.kd
    .uniform_work_group_size: 1
    .uses_dynamic_stack: false
    .vgpr_count:     0
    .vgpr_spill_count: 0
    .wavefront_size: 32
    .workgroup_processor_mode: 1
  - .args:
      - .offset:         0
        .size:           128
        .value_kind:     by_value
    .group_segment_fixed_size: 0
    .kernarg_segment_align: 8
    .kernarg_segment_size: 128
    .language:       OpenCL C
    .language_version:
      - 2
      - 0
    .max_flat_workgroup_size: 512
    .name:           _ZN7rocprim17ROCPRIM_400000_NS6detail17trampoline_kernelINS0_14default_configENS1_21merge_config_selectorINS0_5tupleIJyyEEENS0_10empty_typeEEEZNS1_10merge_implIS3_NS0_12zip_iteratorINS5_IJN6thrust23THRUST_200600_302600_NS6detail15normal_iteratorINSC_10device_ptrIKyEEEESI_EEEEESK_NSA_INS5_IJNSC_16discard_iteratorINSC_11use_defaultEEESN_EEEEEPS7_SQ_SQ_NSC_11hip_rocprim7__merge17predicate_wrapperIyyNSC_4lessIyEEEEEE10hipError_tPvRmT0_T1_T2_T3_T4_T5_mmT6_P12ihipStream_tbEUlT_E0_NS1_11comp_targetILNS1_3genE4ELNS1_11target_archE910ELNS1_3gpuE8ELNS1_3repE0EEENS1_30default_config_static_selectorELNS0_4arch9wavefront6targetE0EEEvS11_
    .private_segment_fixed_size: 0
    .sgpr_count:     0
    .sgpr_spill_count: 0
    .symbol:         _ZN7rocprim17ROCPRIM_400000_NS6detail17trampoline_kernelINS0_14default_configENS1_21merge_config_selectorINS0_5tupleIJyyEEENS0_10empty_typeEEEZNS1_10merge_implIS3_NS0_12zip_iteratorINS5_IJN6thrust23THRUST_200600_302600_NS6detail15normal_iteratorINSC_10device_ptrIKyEEEESI_EEEEESK_NSA_INS5_IJNSC_16discard_iteratorINSC_11use_defaultEEESN_EEEEEPS7_SQ_SQ_NSC_11hip_rocprim7__merge17predicate_wrapperIyyNSC_4lessIyEEEEEE10hipError_tPvRmT0_T1_T2_T3_T4_T5_mmT6_P12ihipStream_tbEUlT_E0_NS1_11comp_targetILNS1_3genE4ELNS1_11target_archE910ELNS1_3gpuE8ELNS1_3repE0EEENS1_30default_config_static_selectorELNS0_4arch9wavefront6targetE0EEEvS11_.kd
    .uniform_work_group_size: 1
    .uses_dynamic_stack: false
    .vgpr_count:     0
    .vgpr_spill_count: 0
    .wavefront_size: 32
    .workgroup_processor_mode: 1
  - .args:
      - .offset:         0
        .size:           128
        .value_kind:     by_value
    .group_segment_fixed_size: 0
    .kernarg_segment_align: 8
    .kernarg_segment_size: 128
    .language:       OpenCL C
    .language_version:
      - 2
      - 0
    .max_flat_workgroup_size: 512
    .name:           _ZN7rocprim17ROCPRIM_400000_NS6detail17trampoline_kernelINS0_14default_configENS1_21merge_config_selectorINS0_5tupleIJyyEEENS0_10empty_typeEEEZNS1_10merge_implIS3_NS0_12zip_iteratorINS5_IJN6thrust23THRUST_200600_302600_NS6detail15normal_iteratorINSC_10device_ptrIKyEEEESI_EEEEESK_NSA_INS5_IJNSC_16discard_iteratorINSC_11use_defaultEEESN_EEEEEPS7_SQ_SQ_NSC_11hip_rocprim7__merge17predicate_wrapperIyyNSC_4lessIyEEEEEE10hipError_tPvRmT0_T1_T2_T3_T4_T5_mmT6_P12ihipStream_tbEUlT_E0_NS1_11comp_targetILNS1_3genE3ELNS1_11target_archE908ELNS1_3gpuE7ELNS1_3repE0EEENS1_30default_config_static_selectorELNS0_4arch9wavefront6targetE0EEEvS11_
    .private_segment_fixed_size: 0
    .sgpr_count:     0
    .sgpr_spill_count: 0
    .symbol:         _ZN7rocprim17ROCPRIM_400000_NS6detail17trampoline_kernelINS0_14default_configENS1_21merge_config_selectorINS0_5tupleIJyyEEENS0_10empty_typeEEEZNS1_10merge_implIS3_NS0_12zip_iteratorINS5_IJN6thrust23THRUST_200600_302600_NS6detail15normal_iteratorINSC_10device_ptrIKyEEEESI_EEEEESK_NSA_INS5_IJNSC_16discard_iteratorINSC_11use_defaultEEESN_EEEEEPS7_SQ_SQ_NSC_11hip_rocprim7__merge17predicate_wrapperIyyNSC_4lessIyEEEEEE10hipError_tPvRmT0_T1_T2_T3_T4_T5_mmT6_P12ihipStream_tbEUlT_E0_NS1_11comp_targetILNS1_3genE3ELNS1_11target_archE908ELNS1_3gpuE7ELNS1_3repE0EEENS1_30default_config_static_selectorELNS0_4arch9wavefront6targetE0EEEvS11_.kd
    .uniform_work_group_size: 1
    .uses_dynamic_stack: false
    .vgpr_count:     0
    .vgpr_spill_count: 0
    .wavefront_size: 32
    .workgroup_processor_mode: 1
  - .args:
      - .offset:         0
        .size:           128
        .value_kind:     by_value
    .group_segment_fixed_size: 0
    .kernarg_segment_align: 8
    .kernarg_segment_size: 128
    .language:       OpenCL C
    .language_version:
      - 2
      - 0
    .max_flat_workgroup_size: 512
    .name:           _ZN7rocprim17ROCPRIM_400000_NS6detail17trampoline_kernelINS0_14default_configENS1_21merge_config_selectorINS0_5tupleIJyyEEENS0_10empty_typeEEEZNS1_10merge_implIS3_NS0_12zip_iteratorINS5_IJN6thrust23THRUST_200600_302600_NS6detail15normal_iteratorINSC_10device_ptrIKyEEEESI_EEEEESK_NSA_INS5_IJNSC_16discard_iteratorINSC_11use_defaultEEESN_EEEEEPS7_SQ_SQ_NSC_11hip_rocprim7__merge17predicate_wrapperIyyNSC_4lessIyEEEEEE10hipError_tPvRmT0_T1_T2_T3_T4_T5_mmT6_P12ihipStream_tbEUlT_E0_NS1_11comp_targetILNS1_3genE2ELNS1_11target_archE906ELNS1_3gpuE6ELNS1_3repE0EEENS1_30default_config_static_selectorELNS0_4arch9wavefront6targetE0EEEvS11_
    .private_segment_fixed_size: 0
    .sgpr_count:     0
    .sgpr_spill_count: 0
    .symbol:         _ZN7rocprim17ROCPRIM_400000_NS6detail17trampoline_kernelINS0_14default_configENS1_21merge_config_selectorINS0_5tupleIJyyEEENS0_10empty_typeEEEZNS1_10merge_implIS3_NS0_12zip_iteratorINS5_IJN6thrust23THRUST_200600_302600_NS6detail15normal_iteratorINSC_10device_ptrIKyEEEESI_EEEEESK_NSA_INS5_IJNSC_16discard_iteratorINSC_11use_defaultEEESN_EEEEEPS7_SQ_SQ_NSC_11hip_rocprim7__merge17predicate_wrapperIyyNSC_4lessIyEEEEEE10hipError_tPvRmT0_T1_T2_T3_T4_T5_mmT6_P12ihipStream_tbEUlT_E0_NS1_11comp_targetILNS1_3genE2ELNS1_11target_archE906ELNS1_3gpuE6ELNS1_3repE0EEENS1_30default_config_static_selectorELNS0_4arch9wavefront6targetE0EEEvS11_.kd
    .uniform_work_group_size: 1
    .uses_dynamic_stack: false
    .vgpr_count:     0
    .vgpr_spill_count: 0
    .wavefront_size: 32
    .workgroup_processor_mode: 1
  - .args:
      - .offset:         0
        .size:           128
        .value_kind:     by_value
    .group_segment_fixed_size: 0
    .kernarg_segment_align: 8
    .kernarg_segment_size: 128
    .language:       OpenCL C
    .language_version:
      - 2
      - 0
    .max_flat_workgroup_size: 512
    .name:           _ZN7rocprim17ROCPRIM_400000_NS6detail17trampoline_kernelINS0_14default_configENS1_21merge_config_selectorINS0_5tupleIJyyEEENS0_10empty_typeEEEZNS1_10merge_implIS3_NS0_12zip_iteratorINS5_IJN6thrust23THRUST_200600_302600_NS6detail15normal_iteratorINSC_10device_ptrIKyEEEESI_EEEEESK_NSA_INS5_IJNSC_16discard_iteratorINSC_11use_defaultEEESN_EEEEEPS7_SQ_SQ_NSC_11hip_rocprim7__merge17predicate_wrapperIyyNSC_4lessIyEEEEEE10hipError_tPvRmT0_T1_T2_T3_T4_T5_mmT6_P12ihipStream_tbEUlT_E0_NS1_11comp_targetILNS1_3genE10ELNS1_11target_archE1201ELNS1_3gpuE5ELNS1_3repE0EEENS1_30default_config_static_selectorELNS0_4arch9wavefront6targetE0EEEvS11_
    .private_segment_fixed_size: 0
    .sgpr_count:     0
    .sgpr_spill_count: 0
    .symbol:         _ZN7rocprim17ROCPRIM_400000_NS6detail17trampoline_kernelINS0_14default_configENS1_21merge_config_selectorINS0_5tupleIJyyEEENS0_10empty_typeEEEZNS1_10merge_implIS3_NS0_12zip_iteratorINS5_IJN6thrust23THRUST_200600_302600_NS6detail15normal_iteratorINSC_10device_ptrIKyEEEESI_EEEEESK_NSA_INS5_IJNSC_16discard_iteratorINSC_11use_defaultEEESN_EEEEEPS7_SQ_SQ_NSC_11hip_rocprim7__merge17predicate_wrapperIyyNSC_4lessIyEEEEEE10hipError_tPvRmT0_T1_T2_T3_T4_T5_mmT6_P12ihipStream_tbEUlT_E0_NS1_11comp_targetILNS1_3genE10ELNS1_11target_archE1201ELNS1_3gpuE5ELNS1_3repE0EEENS1_30default_config_static_selectorELNS0_4arch9wavefront6targetE0EEEvS11_.kd
    .uniform_work_group_size: 1
    .uses_dynamic_stack: false
    .vgpr_count:     0
    .vgpr_spill_count: 0
    .wavefront_size: 32
    .workgroup_processor_mode: 1
  - .args:
      - .offset:         0
        .size:           128
        .value_kind:     by_value
    .group_segment_fixed_size: 0
    .kernarg_segment_align: 8
    .kernarg_segment_size: 128
    .language:       OpenCL C
    .language_version:
      - 2
      - 0
    .max_flat_workgroup_size: 256
    .name:           _ZN7rocprim17ROCPRIM_400000_NS6detail17trampoline_kernelINS0_14default_configENS1_21merge_config_selectorINS0_5tupleIJyyEEENS0_10empty_typeEEEZNS1_10merge_implIS3_NS0_12zip_iteratorINS5_IJN6thrust23THRUST_200600_302600_NS6detail15normal_iteratorINSC_10device_ptrIKyEEEESI_EEEEESK_NSA_INS5_IJNSC_16discard_iteratorINSC_11use_defaultEEESN_EEEEEPS7_SQ_SQ_NSC_11hip_rocprim7__merge17predicate_wrapperIyyNSC_4lessIyEEEEEE10hipError_tPvRmT0_T1_T2_T3_T4_T5_mmT6_P12ihipStream_tbEUlT_E0_NS1_11comp_targetILNS1_3genE10ELNS1_11target_archE1200ELNS1_3gpuE4ELNS1_3repE0EEENS1_30default_config_static_selectorELNS0_4arch9wavefront6targetE0EEEvS11_
    .private_segment_fixed_size: 0
    .sgpr_count:     0
    .sgpr_spill_count: 0
    .symbol:         _ZN7rocprim17ROCPRIM_400000_NS6detail17trampoline_kernelINS0_14default_configENS1_21merge_config_selectorINS0_5tupleIJyyEEENS0_10empty_typeEEEZNS1_10merge_implIS3_NS0_12zip_iteratorINS5_IJN6thrust23THRUST_200600_302600_NS6detail15normal_iteratorINSC_10device_ptrIKyEEEESI_EEEEESK_NSA_INS5_IJNSC_16discard_iteratorINSC_11use_defaultEEESN_EEEEEPS7_SQ_SQ_NSC_11hip_rocprim7__merge17predicate_wrapperIyyNSC_4lessIyEEEEEE10hipError_tPvRmT0_T1_T2_T3_T4_T5_mmT6_P12ihipStream_tbEUlT_E0_NS1_11comp_targetILNS1_3genE10ELNS1_11target_archE1200ELNS1_3gpuE4ELNS1_3repE0EEENS1_30default_config_static_selectorELNS0_4arch9wavefront6targetE0EEEvS11_.kd
    .uniform_work_group_size: 1
    .uses_dynamic_stack: false
    .vgpr_count:     0
    .vgpr_spill_count: 0
    .wavefront_size: 32
    .workgroup_processor_mode: 1
  - .args:
      - .offset:         0
        .size:           128
        .value_kind:     by_value
    .group_segment_fixed_size: 0
    .kernarg_segment_align: 8
    .kernarg_segment_size: 128
    .language:       OpenCL C
    .language_version:
      - 2
      - 0
    .max_flat_workgroup_size: 1024
    .name:           _ZN7rocprim17ROCPRIM_400000_NS6detail17trampoline_kernelINS0_14default_configENS1_21merge_config_selectorINS0_5tupleIJyyEEENS0_10empty_typeEEEZNS1_10merge_implIS3_NS0_12zip_iteratorINS5_IJN6thrust23THRUST_200600_302600_NS6detail15normal_iteratorINSC_10device_ptrIKyEEEESI_EEEEESK_NSA_INS5_IJNSC_16discard_iteratorINSC_11use_defaultEEESN_EEEEEPS7_SQ_SQ_NSC_11hip_rocprim7__merge17predicate_wrapperIyyNSC_4lessIyEEEEEE10hipError_tPvRmT0_T1_T2_T3_T4_T5_mmT6_P12ihipStream_tbEUlT_E0_NS1_11comp_targetILNS1_3genE9ELNS1_11target_archE1100ELNS1_3gpuE3ELNS1_3repE0EEENS1_30default_config_static_selectorELNS0_4arch9wavefront6targetE0EEEvS11_
    .private_segment_fixed_size: 0
    .sgpr_count:     0
    .sgpr_spill_count: 0
    .symbol:         _ZN7rocprim17ROCPRIM_400000_NS6detail17trampoline_kernelINS0_14default_configENS1_21merge_config_selectorINS0_5tupleIJyyEEENS0_10empty_typeEEEZNS1_10merge_implIS3_NS0_12zip_iteratorINS5_IJN6thrust23THRUST_200600_302600_NS6detail15normal_iteratorINSC_10device_ptrIKyEEEESI_EEEEESK_NSA_INS5_IJNSC_16discard_iteratorINSC_11use_defaultEEESN_EEEEEPS7_SQ_SQ_NSC_11hip_rocprim7__merge17predicate_wrapperIyyNSC_4lessIyEEEEEE10hipError_tPvRmT0_T1_T2_T3_T4_T5_mmT6_P12ihipStream_tbEUlT_E0_NS1_11comp_targetILNS1_3genE9ELNS1_11target_archE1100ELNS1_3gpuE3ELNS1_3repE0EEENS1_30default_config_static_selectorELNS0_4arch9wavefront6targetE0EEEvS11_.kd
    .uniform_work_group_size: 1
    .uses_dynamic_stack: false
    .vgpr_count:     0
    .vgpr_spill_count: 0
    .wavefront_size: 32
    .workgroup_processor_mode: 1
  - .args:
      - .offset:         0
        .size:           128
        .value_kind:     by_value
    .group_segment_fixed_size: 33792
    .kernarg_segment_align: 8
    .kernarg_segment_size: 128
    .language:       OpenCL C
    .language_version:
      - 2
      - 0
    .max_flat_workgroup_size: 256
    .name:           _ZN7rocprim17ROCPRIM_400000_NS6detail17trampoline_kernelINS0_14default_configENS1_21merge_config_selectorINS0_5tupleIJyyEEENS0_10empty_typeEEEZNS1_10merge_implIS3_NS0_12zip_iteratorINS5_IJN6thrust23THRUST_200600_302600_NS6detail15normal_iteratorINSC_10device_ptrIKyEEEESI_EEEEESK_NSA_INS5_IJNSC_16discard_iteratorINSC_11use_defaultEEESN_EEEEEPS7_SQ_SQ_NSC_11hip_rocprim7__merge17predicate_wrapperIyyNSC_4lessIyEEEEEE10hipError_tPvRmT0_T1_T2_T3_T4_T5_mmT6_P12ihipStream_tbEUlT_E0_NS1_11comp_targetILNS1_3genE8ELNS1_11target_archE1030ELNS1_3gpuE2ELNS1_3repE0EEENS1_30default_config_static_selectorELNS0_4arch9wavefront6targetE0EEEvS11_
    .private_segment_fixed_size: 0
    .sgpr_count:     26
    .sgpr_spill_count: 0
    .symbol:         _ZN7rocprim17ROCPRIM_400000_NS6detail17trampoline_kernelINS0_14default_configENS1_21merge_config_selectorINS0_5tupleIJyyEEENS0_10empty_typeEEEZNS1_10merge_implIS3_NS0_12zip_iteratorINS5_IJN6thrust23THRUST_200600_302600_NS6detail15normal_iteratorINSC_10device_ptrIKyEEEESI_EEEEESK_NSA_INS5_IJNSC_16discard_iteratorINSC_11use_defaultEEESN_EEEEEPS7_SQ_SQ_NSC_11hip_rocprim7__merge17predicate_wrapperIyyNSC_4lessIyEEEEEE10hipError_tPvRmT0_T1_T2_T3_T4_T5_mmT6_P12ihipStream_tbEUlT_E0_NS1_11comp_targetILNS1_3genE8ELNS1_11target_archE1030ELNS1_3gpuE2ELNS1_3repE0EEENS1_30default_config_static_selectorELNS0_4arch9wavefront6targetE0EEEvS11_.kd
    .uniform_work_group_size: 1
    .uses_dynamic_stack: false
    .vgpr_count:     52
    .vgpr_spill_count: 0
    .wavefront_size: 32
    .workgroup_processor_mode: 1
  - .args:
      - .offset:         0
        .size:           64
        .value_kind:     by_value
    .group_segment_fixed_size: 0
    .kernarg_segment_align: 8
    .kernarg_segment_size: 64
    .language:       OpenCL C
    .language_version:
      - 2
      - 0
    .max_flat_workgroup_size: 256
    .name:           _ZN7rocprim17ROCPRIM_400000_NS6detail17trampoline_kernelINS0_14default_configENS1_21merge_config_selectorINS0_5tupleIJjjEEENS0_10empty_typeEEEZNS1_10merge_implIS3_NS0_12zip_iteratorINS5_IJN6thrust23THRUST_200600_302600_NS6detail15normal_iteratorINSC_10device_ptrIKjEEEESI_EEEEESK_NSA_INS5_IJNSC_16discard_iteratorINSC_11use_defaultEEESN_EEEEEPS7_SQ_SQ_NSC_11hip_rocprim7__merge17predicate_wrapperIjjNSC_4lessIjEEEEEE10hipError_tPvRmT0_T1_T2_T3_T4_T5_mmT6_P12ihipStream_tbEUlT_E_NS1_11comp_targetILNS1_3genE0ELNS1_11target_archE4294967295ELNS1_3gpuE0ELNS1_3repE0EEENS1_30default_config_static_selectorELNS0_4arch9wavefront6targetE0EEEvS11_
    .private_segment_fixed_size: 0
    .sgpr_count:     0
    .sgpr_spill_count: 0
    .symbol:         _ZN7rocprim17ROCPRIM_400000_NS6detail17trampoline_kernelINS0_14default_configENS1_21merge_config_selectorINS0_5tupleIJjjEEENS0_10empty_typeEEEZNS1_10merge_implIS3_NS0_12zip_iteratorINS5_IJN6thrust23THRUST_200600_302600_NS6detail15normal_iteratorINSC_10device_ptrIKjEEEESI_EEEEESK_NSA_INS5_IJNSC_16discard_iteratorINSC_11use_defaultEEESN_EEEEEPS7_SQ_SQ_NSC_11hip_rocprim7__merge17predicate_wrapperIjjNSC_4lessIjEEEEEE10hipError_tPvRmT0_T1_T2_T3_T4_T5_mmT6_P12ihipStream_tbEUlT_E_NS1_11comp_targetILNS1_3genE0ELNS1_11target_archE4294967295ELNS1_3gpuE0ELNS1_3repE0EEENS1_30default_config_static_selectorELNS0_4arch9wavefront6targetE0EEEvS11_.kd
    .uniform_work_group_size: 1
    .uses_dynamic_stack: false
    .vgpr_count:     0
    .vgpr_spill_count: 0
    .wavefront_size: 32
    .workgroup_processor_mode: 1
  - .args:
      - .offset:         0
        .size:           64
        .value_kind:     by_value
    .group_segment_fixed_size: 0
    .kernarg_segment_align: 8
    .kernarg_segment_size: 64
    .language:       OpenCL C
    .language_version:
      - 2
      - 0
    .max_flat_workgroup_size: 256
    .name:           _ZN7rocprim17ROCPRIM_400000_NS6detail17trampoline_kernelINS0_14default_configENS1_21merge_config_selectorINS0_5tupleIJjjEEENS0_10empty_typeEEEZNS1_10merge_implIS3_NS0_12zip_iteratorINS5_IJN6thrust23THRUST_200600_302600_NS6detail15normal_iteratorINSC_10device_ptrIKjEEEESI_EEEEESK_NSA_INS5_IJNSC_16discard_iteratorINSC_11use_defaultEEESN_EEEEEPS7_SQ_SQ_NSC_11hip_rocprim7__merge17predicate_wrapperIjjNSC_4lessIjEEEEEE10hipError_tPvRmT0_T1_T2_T3_T4_T5_mmT6_P12ihipStream_tbEUlT_E_NS1_11comp_targetILNS1_3genE5ELNS1_11target_archE942ELNS1_3gpuE9ELNS1_3repE0EEENS1_30default_config_static_selectorELNS0_4arch9wavefront6targetE0EEEvS11_
    .private_segment_fixed_size: 0
    .sgpr_count:     0
    .sgpr_spill_count: 0
    .symbol:         _ZN7rocprim17ROCPRIM_400000_NS6detail17trampoline_kernelINS0_14default_configENS1_21merge_config_selectorINS0_5tupleIJjjEEENS0_10empty_typeEEEZNS1_10merge_implIS3_NS0_12zip_iteratorINS5_IJN6thrust23THRUST_200600_302600_NS6detail15normal_iteratorINSC_10device_ptrIKjEEEESI_EEEEESK_NSA_INS5_IJNSC_16discard_iteratorINSC_11use_defaultEEESN_EEEEEPS7_SQ_SQ_NSC_11hip_rocprim7__merge17predicate_wrapperIjjNSC_4lessIjEEEEEE10hipError_tPvRmT0_T1_T2_T3_T4_T5_mmT6_P12ihipStream_tbEUlT_E_NS1_11comp_targetILNS1_3genE5ELNS1_11target_archE942ELNS1_3gpuE9ELNS1_3repE0EEENS1_30default_config_static_selectorELNS0_4arch9wavefront6targetE0EEEvS11_.kd
    .uniform_work_group_size: 1
    .uses_dynamic_stack: false
    .vgpr_count:     0
    .vgpr_spill_count: 0
    .wavefront_size: 32
    .workgroup_processor_mode: 1
  - .args:
      - .offset:         0
        .size:           64
        .value_kind:     by_value
    .group_segment_fixed_size: 0
    .kernarg_segment_align: 8
    .kernarg_segment_size: 64
    .language:       OpenCL C
    .language_version:
      - 2
      - 0
    .max_flat_workgroup_size: 256
    .name:           _ZN7rocprim17ROCPRIM_400000_NS6detail17trampoline_kernelINS0_14default_configENS1_21merge_config_selectorINS0_5tupleIJjjEEENS0_10empty_typeEEEZNS1_10merge_implIS3_NS0_12zip_iteratorINS5_IJN6thrust23THRUST_200600_302600_NS6detail15normal_iteratorINSC_10device_ptrIKjEEEESI_EEEEESK_NSA_INS5_IJNSC_16discard_iteratorINSC_11use_defaultEEESN_EEEEEPS7_SQ_SQ_NSC_11hip_rocprim7__merge17predicate_wrapperIjjNSC_4lessIjEEEEEE10hipError_tPvRmT0_T1_T2_T3_T4_T5_mmT6_P12ihipStream_tbEUlT_E_NS1_11comp_targetILNS1_3genE4ELNS1_11target_archE910ELNS1_3gpuE8ELNS1_3repE0EEENS1_30default_config_static_selectorELNS0_4arch9wavefront6targetE0EEEvS11_
    .private_segment_fixed_size: 0
    .sgpr_count:     0
    .sgpr_spill_count: 0
    .symbol:         _ZN7rocprim17ROCPRIM_400000_NS6detail17trampoline_kernelINS0_14default_configENS1_21merge_config_selectorINS0_5tupleIJjjEEENS0_10empty_typeEEEZNS1_10merge_implIS3_NS0_12zip_iteratorINS5_IJN6thrust23THRUST_200600_302600_NS6detail15normal_iteratorINSC_10device_ptrIKjEEEESI_EEEEESK_NSA_INS5_IJNSC_16discard_iteratorINSC_11use_defaultEEESN_EEEEEPS7_SQ_SQ_NSC_11hip_rocprim7__merge17predicate_wrapperIjjNSC_4lessIjEEEEEE10hipError_tPvRmT0_T1_T2_T3_T4_T5_mmT6_P12ihipStream_tbEUlT_E_NS1_11comp_targetILNS1_3genE4ELNS1_11target_archE910ELNS1_3gpuE8ELNS1_3repE0EEENS1_30default_config_static_selectorELNS0_4arch9wavefront6targetE0EEEvS11_.kd
    .uniform_work_group_size: 1
    .uses_dynamic_stack: false
    .vgpr_count:     0
    .vgpr_spill_count: 0
    .wavefront_size: 32
    .workgroup_processor_mode: 1
  - .args:
      - .offset:         0
        .size:           64
        .value_kind:     by_value
    .group_segment_fixed_size: 0
    .kernarg_segment_align: 8
    .kernarg_segment_size: 64
    .language:       OpenCL C
    .language_version:
      - 2
      - 0
    .max_flat_workgroup_size: 256
    .name:           _ZN7rocprim17ROCPRIM_400000_NS6detail17trampoline_kernelINS0_14default_configENS1_21merge_config_selectorINS0_5tupleIJjjEEENS0_10empty_typeEEEZNS1_10merge_implIS3_NS0_12zip_iteratorINS5_IJN6thrust23THRUST_200600_302600_NS6detail15normal_iteratorINSC_10device_ptrIKjEEEESI_EEEEESK_NSA_INS5_IJNSC_16discard_iteratorINSC_11use_defaultEEESN_EEEEEPS7_SQ_SQ_NSC_11hip_rocprim7__merge17predicate_wrapperIjjNSC_4lessIjEEEEEE10hipError_tPvRmT0_T1_T2_T3_T4_T5_mmT6_P12ihipStream_tbEUlT_E_NS1_11comp_targetILNS1_3genE3ELNS1_11target_archE908ELNS1_3gpuE7ELNS1_3repE0EEENS1_30default_config_static_selectorELNS0_4arch9wavefront6targetE0EEEvS11_
    .private_segment_fixed_size: 0
    .sgpr_count:     0
    .sgpr_spill_count: 0
    .symbol:         _ZN7rocprim17ROCPRIM_400000_NS6detail17trampoline_kernelINS0_14default_configENS1_21merge_config_selectorINS0_5tupleIJjjEEENS0_10empty_typeEEEZNS1_10merge_implIS3_NS0_12zip_iteratorINS5_IJN6thrust23THRUST_200600_302600_NS6detail15normal_iteratorINSC_10device_ptrIKjEEEESI_EEEEESK_NSA_INS5_IJNSC_16discard_iteratorINSC_11use_defaultEEESN_EEEEEPS7_SQ_SQ_NSC_11hip_rocprim7__merge17predicate_wrapperIjjNSC_4lessIjEEEEEE10hipError_tPvRmT0_T1_T2_T3_T4_T5_mmT6_P12ihipStream_tbEUlT_E_NS1_11comp_targetILNS1_3genE3ELNS1_11target_archE908ELNS1_3gpuE7ELNS1_3repE0EEENS1_30default_config_static_selectorELNS0_4arch9wavefront6targetE0EEEvS11_.kd
    .uniform_work_group_size: 1
    .uses_dynamic_stack: false
    .vgpr_count:     0
    .vgpr_spill_count: 0
    .wavefront_size: 32
    .workgroup_processor_mode: 1
  - .args:
      - .offset:         0
        .size:           64
        .value_kind:     by_value
    .group_segment_fixed_size: 0
    .kernarg_segment_align: 8
    .kernarg_segment_size: 64
    .language:       OpenCL C
    .language_version:
      - 2
      - 0
    .max_flat_workgroup_size: 256
    .name:           _ZN7rocprim17ROCPRIM_400000_NS6detail17trampoline_kernelINS0_14default_configENS1_21merge_config_selectorINS0_5tupleIJjjEEENS0_10empty_typeEEEZNS1_10merge_implIS3_NS0_12zip_iteratorINS5_IJN6thrust23THRUST_200600_302600_NS6detail15normal_iteratorINSC_10device_ptrIKjEEEESI_EEEEESK_NSA_INS5_IJNSC_16discard_iteratorINSC_11use_defaultEEESN_EEEEEPS7_SQ_SQ_NSC_11hip_rocprim7__merge17predicate_wrapperIjjNSC_4lessIjEEEEEE10hipError_tPvRmT0_T1_T2_T3_T4_T5_mmT6_P12ihipStream_tbEUlT_E_NS1_11comp_targetILNS1_3genE2ELNS1_11target_archE906ELNS1_3gpuE6ELNS1_3repE0EEENS1_30default_config_static_selectorELNS0_4arch9wavefront6targetE0EEEvS11_
    .private_segment_fixed_size: 0
    .sgpr_count:     0
    .sgpr_spill_count: 0
    .symbol:         _ZN7rocprim17ROCPRIM_400000_NS6detail17trampoline_kernelINS0_14default_configENS1_21merge_config_selectorINS0_5tupleIJjjEEENS0_10empty_typeEEEZNS1_10merge_implIS3_NS0_12zip_iteratorINS5_IJN6thrust23THRUST_200600_302600_NS6detail15normal_iteratorINSC_10device_ptrIKjEEEESI_EEEEESK_NSA_INS5_IJNSC_16discard_iteratorINSC_11use_defaultEEESN_EEEEEPS7_SQ_SQ_NSC_11hip_rocprim7__merge17predicate_wrapperIjjNSC_4lessIjEEEEEE10hipError_tPvRmT0_T1_T2_T3_T4_T5_mmT6_P12ihipStream_tbEUlT_E_NS1_11comp_targetILNS1_3genE2ELNS1_11target_archE906ELNS1_3gpuE6ELNS1_3repE0EEENS1_30default_config_static_selectorELNS0_4arch9wavefront6targetE0EEEvS11_.kd
    .uniform_work_group_size: 1
    .uses_dynamic_stack: false
    .vgpr_count:     0
    .vgpr_spill_count: 0
    .wavefront_size: 32
    .workgroup_processor_mode: 1
  - .args:
      - .offset:         0
        .size:           64
        .value_kind:     by_value
    .group_segment_fixed_size: 0
    .kernarg_segment_align: 8
    .kernarg_segment_size: 64
    .language:       OpenCL C
    .language_version:
      - 2
      - 0
    .max_flat_workgroup_size: 512
    .name:           _ZN7rocprim17ROCPRIM_400000_NS6detail17trampoline_kernelINS0_14default_configENS1_21merge_config_selectorINS0_5tupleIJjjEEENS0_10empty_typeEEEZNS1_10merge_implIS3_NS0_12zip_iteratorINS5_IJN6thrust23THRUST_200600_302600_NS6detail15normal_iteratorINSC_10device_ptrIKjEEEESI_EEEEESK_NSA_INS5_IJNSC_16discard_iteratorINSC_11use_defaultEEESN_EEEEEPS7_SQ_SQ_NSC_11hip_rocprim7__merge17predicate_wrapperIjjNSC_4lessIjEEEEEE10hipError_tPvRmT0_T1_T2_T3_T4_T5_mmT6_P12ihipStream_tbEUlT_E_NS1_11comp_targetILNS1_3genE10ELNS1_11target_archE1201ELNS1_3gpuE5ELNS1_3repE0EEENS1_30default_config_static_selectorELNS0_4arch9wavefront6targetE0EEEvS11_
    .private_segment_fixed_size: 0
    .sgpr_count:     0
    .sgpr_spill_count: 0
    .symbol:         _ZN7rocprim17ROCPRIM_400000_NS6detail17trampoline_kernelINS0_14default_configENS1_21merge_config_selectorINS0_5tupleIJjjEEENS0_10empty_typeEEEZNS1_10merge_implIS3_NS0_12zip_iteratorINS5_IJN6thrust23THRUST_200600_302600_NS6detail15normal_iteratorINSC_10device_ptrIKjEEEESI_EEEEESK_NSA_INS5_IJNSC_16discard_iteratorINSC_11use_defaultEEESN_EEEEEPS7_SQ_SQ_NSC_11hip_rocprim7__merge17predicate_wrapperIjjNSC_4lessIjEEEEEE10hipError_tPvRmT0_T1_T2_T3_T4_T5_mmT6_P12ihipStream_tbEUlT_E_NS1_11comp_targetILNS1_3genE10ELNS1_11target_archE1201ELNS1_3gpuE5ELNS1_3repE0EEENS1_30default_config_static_selectorELNS0_4arch9wavefront6targetE0EEEvS11_.kd
    .uniform_work_group_size: 1
    .uses_dynamic_stack: false
    .vgpr_count:     0
    .vgpr_spill_count: 0
    .wavefront_size: 32
    .workgroup_processor_mode: 1
  - .args:
      - .offset:         0
        .size:           64
        .value_kind:     by_value
    .group_segment_fixed_size: 0
    .kernarg_segment_align: 8
    .kernarg_segment_size: 64
    .language:       OpenCL C
    .language_version:
      - 2
      - 0
    .max_flat_workgroup_size: 1024
    .name:           _ZN7rocprim17ROCPRIM_400000_NS6detail17trampoline_kernelINS0_14default_configENS1_21merge_config_selectorINS0_5tupleIJjjEEENS0_10empty_typeEEEZNS1_10merge_implIS3_NS0_12zip_iteratorINS5_IJN6thrust23THRUST_200600_302600_NS6detail15normal_iteratorINSC_10device_ptrIKjEEEESI_EEEEESK_NSA_INS5_IJNSC_16discard_iteratorINSC_11use_defaultEEESN_EEEEEPS7_SQ_SQ_NSC_11hip_rocprim7__merge17predicate_wrapperIjjNSC_4lessIjEEEEEE10hipError_tPvRmT0_T1_T2_T3_T4_T5_mmT6_P12ihipStream_tbEUlT_E_NS1_11comp_targetILNS1_3genE10ELNS1_11target_archE1200ELNS1_3gpuE4ELNS1_3repE0EEENS1_30default_config_static_selectorELNS0_4arch9wavefront6targetE0EEEvS11_
    .private_segment_fixed_size: 0
    .sgpr_count:     0
    .sgpr_spill_count: 0
    .symbol:         _ZN7rocprim17ROCPRIM_400000_NS6detail17trampoline_kernelINS0_14default_configENS1_21merge_config_selectorINS0_5tupleIJjjEEENS0_10empty_typeEEEZNS1_10merge_implIS3_NS0_12zip_iteratorINS5_IJN6thrust23THRUST_200600_302600_NS6detail15normal_iteratorINSC_10device_ptrIKjEEEESI_EEEEESK_NSA_INS5_IJNSC_16discard_iteratorINSC_11use_defaultEEESN_EEEEEPS7_SQ_SQ_NSC_11hip_rocprim7__merge17predicate_wrapperIjjNSC_4lessIjEEEEEE10hipError_tPvRmT0_T1_T2_T3_T4_T5_mmT6_P12ihipStream_tbEUlT_E_NS1_11comp_targetILNS1_3genE10ELNS1_11target_archE1200ELNS1_3gpuE4ELNS1_3repE0EEENS1_30default_config_static_selectorELNS0_4arch9wavefront6targetE0EEEvS11_.kd
    .uniform_work_group_size: 1
    .uses_dynamic_stack: false
    .vgpr_count:     0
    .vgpr_spill_count: 0
    .wavefront_size: 32
    .workgroup_processor_mode: 1
  - .args:
      - .offset:         0
        .size:           64
        .value_kind:     by_value
    .group_segment_fixed_size: 0
    .kernarg_segment_align: 8
    .kernarg_segment_size: 64
    .language:       OpenCL C
    .language_version:
      - 2
      - 0
    .max_flat_workgroup_size: 1024
    .name:           _ZN7rocprim17ROCPRIM_400000_NS6detail17trampoline_kernelINS0_14default_configENS1_21merge_config_selectorINS0_5tupleIJjjEEENS0_10empty_typeEEEZNS1_10merge_implIS3_NS0_12zip_iteratorINS5_IJN6thrust23THRUST_200600_302600_NS6detail15normal_iteratorINSC_10device_ptrIKjEEEESI_EEEEESK_NSA_INS5_IJNSC_16discard_iteratorINSC_11use_defaultEEESN_EEEEEPS7_SQ_SQ_NSC_11hip_rocprim7__merge17predicate_wrapperIjjNSC_4lessIjEEEEEE10hipError_tPvRmT0_T1_T2_T3_T4_T5_mmT6_P12ihipStream_tbEUlT_E_NS1_11comp_targetILNS1_3genE9ELNS1_11target_archE1100ELNS1_3gpuE3ELNS1_3repE0EEENS1_30default_config_static_selectorELNS0_4arch9wavefront6targetE0EEEvS11_
    .private_segment_fixed_size: 0
    .sgpr_count:     0
    .sgpr_spill_count: 0
    .symbol:         _ZN7rocprim17ROCPRIM_400000_NS6detail17trampoline_kernelINS0_14default_configENS1_21merge_config_selectorINS0_5tupleIJjjEEENS0_10empty_typeEEEZNS1_10merge_implIS3_NS0_12zip_iteratorINS5_IJN6thrust23THRUST_200600_302600_NS6detail15normal_iteratorINSC_10device_ptrIKjEEEESI_EEEEESK_NSA_INS5_IJNSC_16discard_iteratorINSC_11use_defaultEEESN_EEEEEPS7_SQ_SQ_NSC_11hip_rocprim7__merge17predicate_wrapperIjjNSC_4lessIjEEEEEE10hipError_tPvRmT0_T1_T2_T3_T4_T5_mmT6_P12ihipStream_tbEUlT_E_NS1_11comp_targetILNS1_3genE9ELNS1_11target_archE1100ELNS1_3gpuE3ELNS1_3repE0EEENS1_30default_config_static_selectorELNS0_4arch9wavefront6targetE0EEEvS11_.kd
    .uniform_work_group_size: 1
    .uses_dynamic_stack: false
    .vgpr_count:     0
    .vgpr_spill_count: 0
    .wavefront_size: 32
    .workgroup_processor_mode: 1
  - .args:
      - .offset:         0
        .size:           64
        .value_kind:     by_value
      - .offset:         64
        .size:           4
        .value_kind:     hidden_block_count_x
      - .offset:         68
        .size:           4
        .value_kind:     hidden_block_count_y
      - .offset:         72
        .size:           4
        .value_kind:     hidden_block_count_z
      - .offset:         76
        .size:           2
        .value_kind:     hidden_group_size_x
      - .offset:         78
        .size:           2
        .value_kind:     hidden_group_size_y
      - .offset:         80
        .size:           2
        .value_kind:     hidden_group_size_z
      - .offset:         82
        .size:           2
        .value_kind:     hidden_remainder_x
      - .offset:         84
        .size:           2
        .value_kind:     hidden_remainder_y
      - .offset:         86
        .size:           2
        .value_kind:     hidden_remainder_z
      - .offset:         104
        .size:           8
        .value_kind:     hidden_global_offset_x
      - .offset:         112
        .size:           8
        .value_kind:     hidden_global_offset_y
      - .offset:         120
        .size:           8
        .value_kind:     hidden_global_offset_z
      - .offset:         128
        .size:           2
        .value_kind:     hidden_grid_dims
    .group_segment_fixed_size: 0
    .kernarg_segment_align: 8
    .kernarg_segment_size: 320
    .language:       OpenCL C
    .language_version:
      - 2
      - 0
    .max_flat_workgroup_size: 256
    .name:           _ZN7rocprim17ROCPRIM_400000_NS6detail17trampoline_kernelINS0_14default_configENS1_21merge_config_selectorINS0_5tupleIJjjEEENS0_10empty_typeEEEZNS1_10merge_implIS3_NS0_12zip_iteratorINS5_IJN6thrust23THRUST_200600_302600_NS6detail15normal_iteratorINSC_10device_ptrIKjEEEESI_EEEEESK_NSA_INS5_IJNSC_16discard_iteratorINSC_11use_defaultEEESN_EEEEEPS7_SQ_SQ_NSC_11hip_rocprim7__merge17predicate_wrapperIjjNSC_4lessIjEEEEEE10hipError_tPvRmT0_T1_T2_T3_T4_T5_mmT6_P12ihipStream_tbEUlT_E_NS1_11comp_targetILNS1_3genE8ELNS1_11target_archE1030ELNS1_3gpuE2ELNS1_3repE0EEENS1_30default_config_static_selectorELNS0_4arch9wavefront6targetE0EEEvS11_
    .private_segment_fixed_size: 0
    .sgpr_count:     18
    .sgpr_spill_count: 0
    .symbol:         _ZN7rocprim17ROCPRIM_400000_NS6detail17trampoline_kernelINS0_14default_configENS1_21merge_config_selectorINS0_5tupleIJjjEEENS0_10empty_typeEEEZNS1_10merge_implIS3_NS0_12zip_iteratorINS5_IJN6thrust23THRUST_200600_302600_NS6detail15normal_iteratorINSC_10device_ptrIKjEEEESI_EEEEESK_NSA_INS5_IJNSC_16discard_iteratorINSC_11use_defaultEEESN_EEEEEPS7_SQ_SQ_NSC_11hip_rocprim7__merge17predicate_wrapperIjjNSC_4lessIjEEEEEE10hipError_tPvRmT0_T1_T2_T3_T4_T5_mmT6_P12ihipStream_tbEUlT_E_NS1_11comp_targetILNS1_3genE8ELNS1_11target_archE1030ELNS1_3gpuE2ELNS1_3repE0EEENS1_30default_config_static_selectorELNS0_4arch9wavefront6targetE0EEEvS11_.kd
    .uniform_work_group_size: 1
    .uses_dynamic_stack: false
    .vgpr_count:     13
    .vgpr_spill_count: 0
    .wavefront_size: 32
    .workgroup_processor_mode: 1
  - .args:
      - .offset:         0
        .size:           128
        .value_kind:     by_value
    .group_segment_fixed_size: 0
    .kernarg_segment_align: 8
    .kernarg_segment_size: 128
    .language:       OpenCL C
    .language_version:
      - 2
      - 0
    .max_flat_workgroup_size: 256
    .name:           _ZN7rocprim17ROCPRIM_400000_NS6detail17trampoline_kernelINS0_14default_configENS1_21merge_config_selectorINS0_5tupleIJjjEEENS0_10empty_typeEEEZNS1_10merge_implIS3_NS0_12zip_iteratorINS5_IJN6thrust23THRUST_200600_302600_NS6detail15normal_iteratorINSC_10device_ptrIKjEEEESI_EEEEESK_NSA_INS5_IJNSC_16discard_iteratorINSC_11use_defaultEEESN_EEEEEPS7_SQ_SQ_NSC_11hip_rocprim7__merge17predicate_wrapperIjjNSC_4lessIjEEEEEE10hipError_tPvRmT0_T1_T2_T3_T4_T5_mmT6_P12ihipStream_tbEUlT_E0_NS1_11comp_targetILNS1_3genE0ELNS1_11target_archE4294967295ELNS1_3gpuE0ELNS1_3repE0EEENS1_30default_config_static_selectorELNS0_4arch9wavefront6targetE0EEEvS11_
    .private_segment_fixed_size: 0
    .sgpr_count:     0
    .sgpr_spill_count: 0
    .symbol:         _ZN7rocprim17ROCPRIM_400000_NS6detail17trampoline_kernelINS0_14default_configENS1_21merge_config_selectorINS0_5tupleIJjjEEENS0_10empty_typeEEEZNS1_10merge_implIS3_NS0_12zip_iteratorINS5_IJN6thrust23THRUST_200600_302600_NS6detail15normal_iteratorINSC_10device_ptrIKjEEEESI_EEEEESK_NSA_INS5_IJNSC_16discard_iteratorINSC_11use_defaultEEESN_EEEEEPS7_SQ_SQ_NSC_11hip_rocprim7__merge17predicate_wrapperIjjNSC_4lessIjEEEEEE10hipError_tPvRmT0_T1_T2_T3_T4_T5_mmT6_P12ihipStream_tbEUlT_E0_NS1_11comp_targetILNS1_3genE0ELNS1_11target_archE4294967295ELNS1_3gpuE0ELNS1_3repE0EEENS1_30default_config_static_selectorELNS0_4arch9wavefront6targetE0EEEvS11_.kd
    .uniform_work_group_size: 1
    .uses_dynamic_stack: false
    .vgpr_count:     0
    .vgpr_spill_count: 0
    .wavefront_size: 32
    .workgroup_processor_mode: 1
  - .args:
      - .offset:         0
        .size:           128
        .value_kind:     by_value
    .group_segment_fixed_size: 0
    .kernarg_segment_align: 8
    .kernarg_segment_size: 128
    .language:       OpenCL C
    .language_version:
      - 2
      - 0
    .max_flat_workgroup_size: 256
    .name:           _ZN7rocprim17ROCPRIM_400000_NS6detail17trampoline_kernelINS0_14default_configENS1_21merge_config_selectorINS0_5tupleIJjjEEENS0_10empty_typeEEEZNS1_10merge_implIS3_NS0_12zip_iteratorINS5_IJN6thrust23THRUST_200600_302600_NS6detail15normal_iteratorINSC_10device_ptrIKjEEEESI_EEEEESK_NSA_INS5_IJNSC_16discard_iteratorINSC_11use_defaultEEESN_EEEEEPS7_SQ_SQ_NSC_11hip_rocprim7__merge17predicate_wrapperIjjNSC_4lessIjEEEEEE10hipError_tPvRmT0_T1_T2_T3_T4_T5_mmT6_P12ihipStream_tbEUlT_E0_NS1_11comp_targetILNS1_3genE5ELNS1_11target_archE942ELNS1_3gpuE9ELNS1_3repE0EEENS1_30default_config_static_selectorELNS0_4arch9wavefront6targetE0EEEvS11_
    .private_segment_fixed_size: 0
    .sgpr_count:     0
    .sgpr_spill_count: 0
    .symbol:         _ZN7rocprim17ROCPRIM_400000_NS6detail17trampoline_kernelINS0_14default_configENS1_21merge_config_selectorINS0_5tupleIJjjEEENS0_10empty_typeEEEZNS1_10merge_implIS3_NS0_12zip_iteratorINS5_IJN6thrust23THRUST_200600_302600_NS6detail15normal_iteratorINSC_10device_ptrIKjEEEESI_EEEEESK_NSA_INS5_IJNSC_16discard_iteratorINSC_11use_defaultEEESN_EEEEEPS7_SQ_SQ_NSC_11hip_rocprim7__merge17predicate_wrapperIjjNSC_4lessIjEEEEEE10hipError_tPvRmT0_T1_T2_T3_T4_T5_mmT6_P12ihipStream_tbEUlT_E0_NS1_11comp_targetILNS1_3genE5ELNS1_11target_archE942ELNS1_3gpuE9ELNS1_3repE0EEENS1_30default_config_static_selectorELNS0_4arch9wavefront6targetE0EEEvS11_.kd
    .uniform_work_group_size: 1
    .uses_dynamic_stack: false
    .vgpr_count:     0
    .vgpr_spill_count: 0
    .wavefront_size: 32
    .workgroup_processor_mode: 1
  - .args:
      - .offset:         0
        .size:           128
        .value_kind:     by_value
    .group_segment_fixed_size: 0
    .kernarg_segment_align: 8
    .kernarg_segment_size: 128
    .language:       OpenCL C
    .language_version:
      - 2
      - 0
    .max_flat_workgroup_size: 256
    .name:           _ZN7rocprim17ROCPRIM_400000_NS6detail17trampoline_kernelINS0_14default_configENS1_21merge_config_selectorINS0_5tupleIJjjEEENS0_10empty_typeEEEZNS1_10merge_implIS3_NS0_12zip_iteratorINS5_IJN6thrust23THRUST_200600_302600_NS6detail15normal_iteratorINSC_10device_ptrIKjEEEESI_EEEEESK_NSA_INS5_IJNSC_16discard_iteratorINSC_11use_defaultEEESN_EEEEEPS7_SQ_SQ_NSC_11hip_rocprim7__merge17predicate_wrapperIjjNSC_4lessIjEEEEEE10hipError_tPvRmT0_T1_T2_T3_T4_T5_mmT6_P12ihipStream_tbEUlT_E0_NS1_11comp_targetILNS1_3genE4ELNS1_11target_archE910ELNS1_3gpuE8ELNS1_3repE0EEENS1_30default_config_static_selectorELNS0_4arch9wavefront6targetE0EEEvS11_
    .private_segment_fixed_size: 0
    .sgpr_count:     0
    .sgpr_spill_count: 0
    .symbol:         _ZN7rocprim17ROCPRIM_400000_NS6detail17trampoline_kernelINS0_14default_configENS1_21merge_config_selectorINS0_5tupleIJjjEEENS0_10empty_typeEEEZNS1_10merge_implIS3_NS0_12zip_iteratorINS5_IJN6thrust23THRUST_200600_302600_NS6detail15normal_iteratorINSC_10device_ptrIKjEEEESI_EEEEESK_NSA_INS5_IJNSC_16discard_iteratorINSC_11use_defaultEEESN_EEEEEPS7_SQ_SQ_NSC_11hip_rocprim7__merge17predicate_wrapperIjjNSC_4lessIjEEEEEE10hipError_tPvRmT0_T1_T2_T3_T4_T5_mmT6_P12ihipStream_tbEUlT_E0_NS1_11comp_targetILNS1_3genE4ELNS1_11target_archE910ELNS1_3gpuE8ELNS1_3repE0EEENS1_30default_config_static_selectorELNS0_4arch9wavefront6targetE0EEEvS11_.kd
    .uniform_work_group_size: 1
    .uses_dynamic_stack: false
    .vgpr_count:     0
    .vgpr_spill_count: 0
    .wavefront_size: 32
    .workgroup_processor_mode: 1
  - .args:
      - .offset:         0
        .size:           128
        .value_kind:     by_value
    .group_segment_fixed_size: 0
    .kernarg_segment_align: 8
    .kernarg_segment_size: 128
    .language:       OpenCL C
    .language_version:
      - 2
      - 0
    .max_flat_workgroup_size: 256
    .name:           _ZN7rocprim17ROCPRIM_400000_NS6detail17trampoline_kernelINS0_14default_configENS1_21merge_config_selectorINS0_5tupleIJjjEEENS0_10empty_typeEEEZNS1_10merge_implIS3_NS0_12zip_iteratorINS5_IJN6thrust23THRUST_200600_302600_NS6detail15normal_iteratorINSC_10device_ptrIKjEEEESI_EEEEESK_NSA_INS5_IJNSC_16discard_iteratorINSC_11use_defaultEEESN_EEEEEPS7_SQ_SQ_NSC_11hip_rocprim7__merge17predicate_wrapperIjjNSC_4lessIjEEEEEE10hipError_tPvRmT0_T1_T2_T3_T4_T5_mmT6_P12ihipStream_tbEUlT_E0_NS1_11comp_targetILNS1_3genE3ELNS1_11target_archE908ELNS1_3gpuE7ELNS1_3repE0EEENS1_30default_config_static_selectorELNS0_4arch9wavefront6targetE0EEEvS11_
    .private_segment_fixed_size: 0
    .sgpr_count:     0
    .sgpr_spill_count: 0
    .symbol:         _ZN7rocprim17ROCPRIM_400000_NS6detail17trampoline_kernelINS0_14default_configENS1_21merge_config_selectorINS0_5tupleIJjjEEENS0_10empty_typeEEEZNS1_10merge_implIS3_NS0_12zip_iteratorINS5_IJN6thrust23THRUST_200600_302600_NS6detail15normal_iteratorINSC_10device_ptrIKjEEEESI_EEEEESK_NSA_INS5_IJNSC_16discard_iteratorINSC_11use_defaultEEESN_EEEEEPS7_SQ_SQ_NSC_11hip_rocprim7__merge17predicate_wrapperIjjNSC_4lessIjEEEEEE10hipError_tPvRmT0_T1_T2_T3_T4_T5_mmT6_P12ihipStream_tbEUlT_E0_NS1_11comp_targetILNS1_3genE3ELNS1_11target_archE908ELNS1_3gpuE7ELNS1_3repE0EEENS1_30default_config_static_selectorELNS0_4arch9wavefront6targetE0EEEvS11_.kd
    .uniform_work_group_size: 1
    .uses_dynamic_stack: false
    .vgpr_count:     0
    .vgpr_spill_count: 0
    .wavefront_size: 32
    .workgroup_processor_mode: 1
  - .args:
      - .offset:         0
        .size:           128
        .value_kind:     by_value
    .group_segment_fixed_size: 0
    .kernarg_segment_align: 8
    .kernarg_segment_size: 128
    .language:       OpenCL C
    .language_version:
      - 2
      - 0
    .max_flat_workgroup_size: 256
    .name:           _ZN7rocprim17ROCPRIM_400000_NS6detail17trampoline_kernelINS0_14default_configENS1_21merge_config_selectorINS0_5tupleIJjjEEENS0_10empty_typeEEEZNS1_10merge_implIS3_NS0_12zip_iteratorINS5_IJN6thrust23THRUST_200600_302600_NS6detail15normal_iteratorINSC_10device_ptrIKjEEEESI_EEEEESK_NSA_INS5_IJNSC_16discard_iteratorINSC_11use_defaultEEESN_EEEEEPS7_SQ_SQ_NSC_11hip_rocprim7__merge17predicate_wrapperIjjNSC_4lessIjEEEEEE10hipError_tPvRmT0_T1_T2_T3_T4_T5_mmT6_P12ihipStream_tbEUlT_E0_NS1_11comp_targetILNS1_3genE2ELNS1_11target_archE906ELNS1_3gpuE6ELNS1_3repE0EEENS1_30default_config_static_selectorELNS0_4arch9wavefront6targetE0EEEvS11_
    .private_segment_fixed_size: 0
    .sgpr_count:     0
    .sgpr_spill_count: 0
    .symbol:         _ZN7rocprim17ROCPRIM_400000_NS6detail17trampoline_kernelINS0_14default_configENS1_21merge_config_selectorINS0_5tupleIJjjEEENS0_10empty_typeEEEZNS1_10merge_implIS3_NS0_12zip_iteratorINS5_IJN6thrust23THRUST_200600_302600_NS6detail15normal_iteratorINSC_10device_ptrIKjEEEESI_EEEEESK_NSA_INS5_IJNSC_16discard_iteratorINSC_11use_defaultEEESN_EEEEEPS7_SQ_SQ_NSC_11hip_rocprim7__merge17predicate_wrapperIjjNSC_4lessIjEEEEEE10hipError_tPvRmT0_T1_T2_T3_T4_T5_mmT6_P12ihipStream_tbEUlT_E0_NS1_11comp_targetILNS1_3genE2ELNS1_11target_archE906ELNS1_3gpuE6ELNS1_3repE0EEENS1_30default_config_static_selectorELNS0_4arch9wavefront6targetE0EEEvS11_.kd
    .uniform_work_group_size: 1
    .uses_dynamic_stack: false
    .vgpr_count:     0
    .vgpr_spill_count: 0
    .wavefront_size: 32
    .workgroup_processor_mode: 1
  - .args:
      - .offset:         0
        .size:           128
        .value_kind:     by_value
    .group_segment_fixed_size: 0
    .kernarg_segment_align: 8
    .kernarg_segment_size: 128
    .language:       OpenCL C
    .language_version:
      - 2
      - 0
    .max_flat_workgroup_size: 512
    .name:           _ZN7rocprim17ROCPRIM_400000_NS6detail17trampoline_kernelINS0_14default_configENS1_21merge_config_selectorINS0_5tupleIJjjEEENS0_10empty_typeEEEZNS1_10merge_implIS3_NS0_12zip_iteratorINS5_IJN6thrust23THRUST_200600_302600_NS6detail15normal_iteratorINSC_10device_ptrIKjEEEESI_EEEEESK_NSA_INS5_IJNSC_16discard_iteratorINSC_11use_defaultEEESN_EEEEEPS7_SQ_SQ_NSC_11hip_rocprim7__merge17predicate_wrapperIjjNSC_4lessIjEEEEEE10hipError_tPvRmT0_T1_T2_T3_T4_T5_mmT6_P12ihipStream_tbEUlT_E0_NS1_11comp_targetILNS1_3genE10ELNS1_11target_archE1201ELNS1_3gpuE5ELNS1_3repE0EEENS1_30default_config_static_selectorELNS0_4arch9wavefront6targetE0EEEvS11_
    .private_segment_fixed_size: 0
    .sgpr_count:     0
    .sgpr_spill_count: 0
    .symbol:         _ZN7rocprim17ROCPRIM_400000_NS6detail17trampoline_kernelINS0_14default_configENS1_21merge_config_selectorINS0_5tupleIJjjEEENS0_10empty_typeEEEZNS1_10merge_implIS3_NS0_12zip_iteratorINS5_IJN6thrust23THRUST_200600_302600_NS6detail15normal_iteratorINSC_10device_ptrIKjEEEESI_EEEEESK_NSA_INS5_IJNSC_16discard_iteratorINSC_11use_defaultEEESN_EEEEEPS7_SQ_SQ_NSC_11hip_rocprim7__merge17predicate_wrapperIjjNSC_4lessIjEEEEEE10hipError_tPvRmT0_T1_T2_T3_T4_T5_mmT6_P12ihipStream_tbEUlT_E0_NS1_11comp_targetILNS1_3genE10ELNS1_11target_archE1201ELNS1_3gpuE5ELNS1_3repE0EEENS1_30default_config_static_selectorELNS0_4arch9wavefront6targetE0EEEvS11_.kd
    .uniform_work_group_size: 1
    .uses_dynamic_stack: false
    .vgpr_count:     0
    .vgpr_spill_count: 0
    .wavefront_size: 32
    .workgroup_processor_mode: 1
  - .args:
      - .offset:         0
        .size:           128
        .value_kind:     by_value
    .group_segment_fixed_size: 0
    .kernarg_segment_align: 8
    .kernarg_segment_size: 128
    .language:       OpenCL C
    .language_version:
      - 2
      - 0
    .max_flat_workgroup_size: 1024
    .name:           _ZN7rocprim17ROCPRIM_400000_NS6detail17trampoline_kernelINS0_14default_configENS1_21merge_config_selectorINS0_5tupleIJjjEEENS0_10empty_typeEEEZNS1_10merge_implIS3_NS0_12zip_iteratorINS5_IJN6thrust23THRUST_200600_302600_NS6detail15normal_iteratorINSC_10device_ptrIKjEEEESI_EEEEESK_NSA_INS5_IJNSC_16discard_iteratorINSC_11use_defaultEEESN_EEEEEPS7_SQ_SQ_NSC_11hip_rocprim7__merge17predicate_wrapperIjjNSC_4lessIjEEEEEE10hipError_tPvRmT0_T1_T2_T3_T4_T5_mmT6_P12ihipStream_tbEUlT_E0_NS1_11comp_targetILNS1_3genE10ELNS1_11target_archE1200ELNS1_3gpuE4ELNS1_3repE0EEENS1_30default_config_static_selectorELNS0_4arch9wavefront6targetE0EEEvS11_
    .private_segment_fixed_size: 0
    .sgpr_count:     0
    .sgpr_spill_count: 0
    .symbol:         _ZN7rocprim17ROCPRIM_400000_NS6detail17trampoline_kernelINS0_14default_configENS1_21merge_config_selectorINS0_5tupleIJjjEEENS0_10empty_typeEEEZNS1_10merge_implIS3_NS0_12zip_iteratorINS5_IJN6thrust23THRUST_200600_302600_NS6detail15normal_iteratorINSC_10device_ptrIKjEEEESI_EEEEESK_NSA_INS5_IJNSC_16discard_iteratorINSC_11use_defaultEEESN_EEEEEPS7_SQ_SQ_NSC_11hip_rocprim7__merge17predicate_wrapperIjjNSC_4lessIjEEEEEE10hipError_tPvRmT0_T1_T2_T3_T4_T5_mmT6_P12ihipStream_tbEUlT_E0_NS1_11comp_targetILNS1_3genE10ELNS1_11target_archE1200ELNS1_3gpuE4ELNS1_3repE0EEENS1_30default_config_static_selectorELNS0_4arch9wavefront6targetE0EEEvS11_.kd
    .uniform_work_group_size: 1
    .uses_dynamic_stack: false
    .vgpr_count:     0
    .vgpr_spill_count: 0
    .wavefront_size: 32
    .workgroup_processor_mode: 1
  - .args:
      - .offset:         0
        .size:           128
        .value_kind:     by_value
    .group_segment_fixed_size: 0
    .kernarg_segment_align: 8
    .kernarg_segment_size: 128
    .language:       OpenCL C
    .language_version:
      - 2
      - 0
    .max_flat_workgroup_size: 1024
    .name:           _ZN7rocprim17ROCPRIM_400000_NS6detail17trampoline_kernelINS0_14default_configENS1_21merge_config_selectorINS0_5tupleIJjjEEENS0_10empty_typeEEEZNS1_10merge_implIS3_NS0_12zip_iteratorINS5_IJN6thrust23THRUST_200600_302600_NS6detail15normal_iteratorINSC_10device_ptrIKjEEEESI_EEEEESK_NSA_INS5_IJNSC_16discard_iteratorINSC_11use_defaultEEESN_EEEEEPS7_SQ_SQ_NSC_11hip_rocprim7__merge17predicate_wrapperIjjNSC_4lessIjEEEEEE10hipError_tPvRmT0_T1_T2_T3_T4_T5_mmT6_P12ihipStream_tbEUlT_E0_NS1_11comp_targetILNS1_3genE9ELNS1_11target_archE1100ELNS1_3gpuE3ELNS1_3repE0EEENS1_30default_config_static_selectorELNS0_4arch9wavefront6targetE0EEEvS11_
    .private_segment_fixed_size: 0
    .sgpr_count:     0
    .sgpr_spill_count: 0
    .symbol:         _ZN7rocprim17ROCPRIM_400000_NS6detail17trampoline_kernelINS0_14default_configENS1_21merge_config_selectorINS0_5tupleIJjjEEENS0_10empty_typeEEEZNS1_10merge_implIS3_NS0_12zip_iteratorINS5_IJN6thrust23THRUST_200600_302600_NS6detail15normal_iteratorINSC_10device_ptrIKjEEEESI_EEEEESK_NSA_INS5_IJNSC_16discard_iteratorINSC_11use_defaultEEESN_EEEEEPS7_SQ_SQ_NSC_11hip_rocprim7__merge17predicate_wrapperIjjNSC_4lessIjEEEEEE10hipError_tPvRmT0_T1_T2_T3_T4_T5_mmT6_P12ihipStream_tbEUlT_E0_NS1_11comp_targetILNS1_3genE9ELNS1_11target_archE1100ELNS1_3gpuE3ELNS1_3repE0EEENS1_30default_config_static_selectorELNS0_4arch9wavefront6targetE0EEEvS11_.kd
    .uniform_work_group_size: 1
    .uses_dynamic_stack: false
    .vgpr_count:     0
    .vgpr_spill_count: 0
    .wavefront_size: 32
    .workgroup_processor_mode: 1
  - .args:
      - .offset:         0
        .size:           128
        .value_kind:     by_value
    .group_segment_fixed_size: 33792
    .kernarg_segment_align: 8
    .kernarg_segment_size: 128
    .language:       OpenCL C
    .language_version:
      - 2
      - 0
    .max_flat_workgroup_size: 256
    .name:           _ZN7rocprim17ROCPRIM_400000_NS6detail17trampoline_kernelINS0_14default_configENS1_21merge_config_selectorINS0_5tupleIJjjEEENS0_10empty_typeEEEZNS1_10merge_implIS3_NS0_12zip_iteratorINS5_IJN6thrust23THRUST_200600_302600_NS6detail15normal_iteratorINSC_10device_ptrIKjEEEESI_EEEEESK_NSA_INS5_IJNSC_16discard_iteratorINSC_11use_defaultEEESN_EEEEEPS7_SQ_SQ_NSC_11hip_rocprim7__merge17predicate_wrapperIjjNSC_4lessIjEEEEEE10hipError_tPvRmT0_T1_T2_T3_T4_T5_mmT6_P12ihipStream_tbEUlT_E0_NS1_11comp_targetILNS1_3genE8ELNS1_11target_archE1030ELNS1_3gpuE2ELNS1_3repE0EEENS1_30default_config_static_selectorELNS0_4arch9wavefront6targetE0EEEvS11_
    .private_segment_fixed_size: 0
    .sgpr_count:     26
    .sgpr_spill_count: 0
    .symbol:         _ZN7rocprim17ROCPRIM_400000_NS6detail17trampoline_kernelINS0_14default_configENS1_21merge_config_selectorINS0_5tupleIJjjEEENS0_10empty_typeEEEZNS1_10merge_implIS3_NS0_12zip_iteratorINS5_IJN6thrust23THRUST_200600_302600_NS6detail15normal_iteratorINSC_10device_ptrIKjEEEESI_EEEEESK_NSA_INS5_IJNSC_16discard_iteratorINSC_11use_defaultEEESN_EEEEEPS7_SQ_SQ_NSC_11hip_rocprim7__merge17predicate_wrapperIjjNSC_4lessIjEEEEEE10hipError_tPvRmT0_T1_T2_T3_T4_T5_mmT6_P12ihipStream_tbEUlT_E0_NS1_11comp_targetILNS1_3genE8ELNS1_11target_archE1030ELNS1_3gpuE2ELNS1_3repE0EEENS1_30default_config_static_selectorELNS0_4arch9wavefront6targetE0EEEvS11_.kd
    .uniform_work_group_size: 1
    .uses_dynamic_stack: false
    .vgpr_count:     54
    .vgpr_spill_count: 0
    .wavefront_size: 32
    .workgroup_processor_mode: 1
  - .args:
      - .offset:         0
        .size:           64
        .value_kind:     by_value
    .group_segment_fixed_size: 0
    .kernarg_segment_align: 8
    .kernarg_segment_size: 64
    .language:       OpenCL C
    .language_version:
      - 2
      - 0
    .max_flat_workgroup_size: 256
    .name:           _ZN7rocprim17ROCPRIM_400000_NS6detail17trampoline_kernelINS0_14default_configENS1_21merge_config_selectorINS0_5tupleIJttEEENS0_10empty_typeEEEZNS1_10merge_implIS3_NS0_12zip_iteratorINS5_IJN6thrust23THRUST_200600_302600_NS6detail15normal_iteratorINSC_10device_ptrIKtEEEESI_EEEEESK_NSA_INS5_IJNSC_16discard_iteratorINSC_11use_defaultEEESN_EEEEEPS7_SQ_SQ_NSC_11hip_rocprim7__merge17predicate_wrapperIttNSC_4lessItEEEEEE10hipError_tPvRmT0_T1_T2_T3_T4_T5_mmT6_P12ihipStream_tbEUlT_E_NS1_11comp_targetILNS1_3genE0ELNS1_11target_archE4294967295ELNS1_3gpuE0ELNS1_3repE0EEENS1_30default_config_static_selectorELNS0_4arch9wavefront6targetE0EEEvS11_
    .private_segment_fixed_size: 0
    .sgpr_count:     0
    .sgpr_spill_count: 0
    .symbol:         _ZN7rocprim17ROCPRIM_400000_NS6detail17trampoline_kernelINS0_14default_configENS1_21merge_config_selectorINS0_5tupleIJttEEENS0_10empty_typeEEEZNS1_10merge_implIS3_NS0_12zip_iteratorINS5_IJN6thrust23THRUST_200600_302600_NS6detail15normal_iteratorINSC_10device_ptrIKtEEEESI_EEEEESK_NSA_INS5_IJNSC_16discard_iteratorINSC_11use_defaultEEESN_EEEEEPS7_SQ_SQ_NSC_11hip_rocprim7__merge17predicate_wrapperIttNSC_4lessItEEEEEE10hipError_tPvRmT0_T1_T2_T3_T4_T5_mmT6_P12ihipStream_tbEUlT_E_NS1_11comp_targetILNS1_3genE0ELNS1_11target_archE4294967295ELNS1_3gpuE0ELNS1_3repE0EEENS1_30default_config_static_selectorELNS0_4arch9wavefront6targetE0EEEvS11_.kd
    .uniform_work_group_size: 1
    .uses_dynamic_stack: false
    .vgpr_count:     0
    .vgpr_spill_count: 0
    .wavefront_size: 32
    .workgroup_processor_mode: 1
  - .args:
      - .offset:         0
        .size:           64
        .value_kind:     by_value
    .group_segment_fixed_size: 0
    .kernarg_segment_align: 8
    .kernarg_segment_size: 64
    .language:       OpenCL C
    .language_version:
      - 2
      - 0
    .max_flat_workgroup_size: 256
    .name:           _ZN7rocprim17ROCPRIM_400000_NS6detail17trampoline_kernelINS0_14default_configENS1_21merge_config_selectorINS0_5tupleIJttEEENS0_10empty_typeEEEZNS1_10merge_implIS3_NS0_12zip_iteratorINS5_IJN6thrust23THRUST_200600_302600_NS6detail15normal_iteratorINSC_10device_ptrIKtEEEESI_EEEEESK_NSA_INS5_IJNSC_16discard_iteratorINSC_11use_defaultEEESN_EEEEEPS7_SQ_SQ_NSC_11hip_rocprim7__merge17predicate_wrapperIttNSC_4lessItEEEEEE10hipError_tPvRmT0_T1_T2_T3_T4_T5_mmT6_P12ihipStream_tbEUlT_E_NS1_11comp_targetILNS1_3genE5ELNS1_11target_archE942ELNS1_3gpuE9ELNS1_3repE0EEENS1_30default_config_static_selectorELNS0_4arch9wavefront6targetE0EEEvS11_
    .private_segment_fixed_size: 0
    .sgpr_count:     0
    .sgpr_spill_count: 0
    .symbol:         _ZN7rocprim17ROCPRIM_400000_NS6detail17trampoline_kernelINS0_14default_configENS1_21merge_config_selectorINS0_5tupleIJttEEENS0_10empty_typeEEEZNS1_10merge_implIS3_NS0_12zip_iteratorINS5_IJN6thrust23THRUST_200600_302600_NS6detail15normal_iteratorINSC_10device_ptrIKtEEEESI_EEEEESK_NSA_INS5_IJNSC_16discard_iteratorINSC_11use_defaultEEESN_EEEEEPS7_SQ_SQ_NSC_11hip_rocprim7__merge17predicate_wrapperIttNSC_4lessItEEEEEE10hipError_tPvRmT0_T1_T2_T3_T4_T5_mmT6_P12ihipStream_tbEUlT_E_NS1_11comp_targetILNS1_3genE5ELNS1_11target_archE942ELNS1_3gpuE9ELNS1_3repE0EEENS1_30default_config_static_selectorELNS0_4arch9wavefront6targetE0EEEvS11_.kd
    .uniform_work_group_size: 1
    .uses_dynamic_stack: false
    .vgpr_count:     0
    .vgpr_spill_count: 0
    .wavefront_size: 32
    .workgroup_processor_mode: 1
  - .args:
      - .offset:         0
        .size:           64
        .value_kind:     by_value
    .group_segment_fixed_size: 0
    .kernarg_segment_align: 8
    .kernarg_segment_size: 64
    .language:       OpenCL C
    .language_version:
      - 2
      - 0
    .max_flat_workgroup_size: 256
    .name:           _ZN7rocprim17ROCPRIM_400000_NS6detail17trampoline_kernelINS0_14default_configENS1_21merge_config_selectorINS0_5tupleIJttEEENS0_10empty_typeEEEZNS1_10merge_implIS3_NS0_12zip_iteratorINS5_IJN6thrust23THRUST_200600_302600_NS6detail15normal_iteratorINSC_10device_ptrIKtEEEESI_EEEEESK_NSA_INS5_IJNSC_16discard_iteratorINSC_11use_defaultEEESN_EEEEEPS7_SQ_SQ_NSC_11hip_rocprim7__merge17predicate_wrapperIttNSC_4lessItEEEEEE10hipError_tPvRmT0_T1_T2_T3_T4_T5_mmT6_P12ihipStream_tbEUlT_E_NS1_11comp_targetILNS1_3genE4ELNS1_11target_archE910ELNS1_3gpuE8ELNS1_3repE0EEENS1_30default_config_static_selectorELNS0_4arch9wavefront6targetE0EEEvS11_
    .private_segment_fixed_size: 0
    .sgpr_count:     0
    .sgpr_spill_count: 0
    .symbol:         _ZN7rocprim17ROCPRIM_400000_NS6detail17trampoline_kernelINS0_14default_configENS1_21merge_config_selectorINS0_5tupleIJttEEENS0_10empty_typeEEEZNS1_10merge_implIS3_NS0_12zip_iteratorINS5_IJN6thrust23THRUST_200600_302600_NS6detail15normal_iteratorINSC_10device_ptrIKtEEEESI_EEEEESK_NSA_INS5_IJNSC_16discard_iteratorINSC_11use_defaultEEESN_EEEEEPS7_SQ_SQ_NSC_11hip_rocprim7__merge17predicate_wrapperIttNSC_4lessItEEEEEE10hipError_tPvRmT0_T1_T2_T3_T4_T5_mmT6_P12ihipStream_tbEUlT_E_NS1_11comp_targetILNS1_3genE4ELNS1_11target_archE910ELNS1_3gpuE8ELNS1_3repE0EEENS1_30default_config_static_selectorELNS0_4arch9wavefront6targetE0EEEvS11_.kd
    .uniform_work_group_size: 1
    .uses_dynamic_stack: false
    .vgpr_count:     0
    .vgpr_spill_count: 0
    .wavefront_size: 32
    .workgroup_processor_mode: 1
  - .args:
      - .offset:         0
        .size:           64
        .value_kind:     by_value
    .group_segment_fixed_size: 0
    .kernarg_segment_align: 8
    .kernarg_segment_size: 64
    .language:       OpenCL C
    .language_version:
      - 2
      - 0
    .max_flat_workgroup_size: 256
    .name:           _ZN7rocprim17ROCPRIM_400000_NS6detail17trampoline_kernelINS0_14default_configENS1_21merge_config_selectorINS0_5tupleIJttEEENS0_10empty_typeEEEZNS1_10merge_implIS3_NS0_12zip_iteratorINS5_IJN6thrust23THRUST_200600_302600_NS6detail15normal_iteratorINSC_10device_ptrIKtEEEESI_EEEEESK_NSA_INS5_IJNSC_16discard_iteratorINSC_11use_defaultEEESN_EEEEEPS7_SQ_SQ_NSC_11hip_rocprim7__merge17predicate_wrapperIttNSC_4lessItEEEEEE10hipError_tPvRmT0_T1_T2_T3_T4_T5_mmT6_P12ihipStream_tbEUlT_E_NS1_11comp_targetILNS1_3genE3ELNS1_11target_archE908ELNS1_3gpuE7ELNS1_3repE0EEENS1_30default_config_static_selectorELNS0_4arch9wavefront6targetE0EEEvS11_
    .private_segment_fixed_size: 0
    .sgpr_count:     0
    .sgpr_spill_count: 0
    .symbol:         _ZN7rocprim17ROCPRIM_400000_NS6detail17trampoline_kernelINS0_14default_configENS1_21merge_config_selectorINS0_5tupleIJttEEENS0_10empty_typeEEEZNS1_10merge_implIS3_NS0_12zip_iteratorINS5_IJN6thrust23THRUST_200600_302600_NS6detail15normal_iteratorINSC_10device_ptrIKtEEEESI_EEEEESK_NSA_INS5_IJNSC_16discard_iteratorINSC_11use_defaultEEESN_EEEEEPS7_SQ_SQ_NSC_11hip_rocprim7__merge17predicate_wrapperIttNSC_4lessItEEEEEE10hipError_tPvRmT0_T1_T2_T3_T4_T5_mmT6_P12ihipStream_tbEUlT_E_NS1_11comp_targetILNS1_3genE3ELNS1_11target_archE908ELNS1_3gpuE7ELNS1_3repE0EEENS1_30default_config_static_selectorELNS0_4arch9wavefront6targetE0EEEvS11_.kd
    .uniform_work_group_size: 1
    .uses_dynamic_stack: false
    .vgpr_count:     0
    .vgpr_spill_count: 0
    .wavefront_size: 32
    .workgroup_processor_mode: 1
  - .args:
      - .offset:         0
        .size:           64
        .value_kind:     by_value
    .group_segment_fixed_size: 0
    .kernarg_segment_align: 8
    .kernarg_segment_size: 64
    .language:       OpenCL C
    .language_version:
      - 2
      - 0
    .max_flat_workgroup_size: 256
    .name:           _ZN7rocprim17ROCPRIM_400000_NS6detail17trampoline_kernelINS0_14default_configENS1_21merge_config_selectorINS0_5tupleIJttEEENS0_10empty_typeEEEZNS1_10merge_implIS3_NS0_12zip_iteratorINS5_IJN6thrust23THRUST_200600_302600_NS6detail15normal_iteratorINSC_10device_ptrIKtEEEESI_EEEEESK_NSA_INS5_IJNSC_16discard_iteratorINSC_11use_defaultEEESN_EEEEEPS7_SQ_SQ_NSC_11hip_rocprim7__merge17predicate_wrapperIttNSC_4lessItEEEEEE10hipError_tPvRmT0_T1_T2_T3_T4_T5_mmT6_P12ihipStream_tbEUlT_E_NS1_11comp_targetILNS1_3genE2ELNS1_11target_archE906ELNS1_3gpuE6ELNS1_3repE0EEENS1_30default_config_static_selectorELNS0_4arch9wavefront6targetE0EEEvS11_
    .private_segment_fixed_size: 0
    .sgpr_count:     0
    .sgpr_spill_count: 0
    .symbol:         _ZN7rocprim17ROCPRIM_400000_NS6detail17trampoline_kernelINS0_14default_configENS1_21merge_config_selectorINS0_5tupleIJttEEENS0_10empty_typeEEEZNS1_10merge_implIS3_NS0_12zip_iteratorINS5_IJN6thrust23THRUST_200600_302600_NS6detail15normal_iteratorINSC_10device_ptrIKtEEEESI_EEEEESK_NSA_INS5_IJNSC_16discard_iteratorINSC_11use_defaultEEESN_EEEEEPS7_SQ_SQ_NSC_11hip_rocprim7__merge17predicate_wrapperIttNSC_4lessItEEEEEE10hipError_tPvRmT0_T1_T2_T3_T4_T5_mmT6_P12ihipStream_tbEUlT_E_NS1_11comp_targetILNS1_3genE2ELNS1_11target_archE906ELNS1_3gpuE6ELNS1_3repE0EEENS1_30default_config_static_selectorELNS0_4arch9wavefront6targetE0EEEvS11_.kd
    .uniform_work_group_size: 1
    .uses_dynamic_stack: false
    .vgpr_count:     0
    .vgpr_spill_count: 0
    .wavefront_size: 32
    .workgroup_processor_mode: 1
  - .args:
      - .offset:         0
        .size:           64
        .value_kind:     by_value
    .group_segment_fixed_size: 0
    .kernarg_segment_align: 8
    .kernarg_segment_size: 64
    .language:       OpenCL C
    .language_version:
      - 2
      - 0
    .max_flat_workgroup_size: 1024
    .name:           _ZN7rocprim17ROCPRIM_400000_NS6detail17trampoline_kernelINS0_14default_configENS1_21merge_config_selectorINS0_5tupleIJttEEENS0_10empty_typeEEEZNS1_10merge_implIS3_NS0_12zip_iteratorINS5_IJN6thrust23THRUST_200600_302600_NS6detail15normal_iteratorINSC_10device_ptrIKtEEEESI_EEEEESK_NSA_INS5_IJNSC_16discard_iteratorINSC_11use_defaultEEESN_EEEEEPS7_SQ_SQ_NSC_11hip_rocprim7__merge17predicate_wrapperIttNSC_4lessItEEEEEE10hipError_tPvRmT0_T1_T2_T3_T4_T5_mmT6_P12ihipStream_tbEUlT_E_NS1_11comp_targetILNS1_3genE10ELNS1_11target_archE1201ELNS1_3gpuE5ELNS1_3repE0EEENS1_30default_config_static_selectorELNS0_4arch9wavefront6targetE0EEEvS11_
    .private_segment_fixed_size: 0
    .sgpr_count:     0
    .sgpr_spill_count: 0
    .symbol:         _ZN7rocprim17ROCPRIM_400000_NS6detail17trampoline_kernelINS0_14default_configENS1_21merge_config_selectorINS0_5tupleIJttEEENS0_10empty_typeEEEZNS1_10merge_implIS3_NS0_12zip_iteratorINS5_IJN6thrust23THRUST_200600_302600_NS6detail15normal_iteratorINSC_10device_ptrIKtEEEESI_EEEEESK_NSA_INS5_IJNSC_16discard_iteratorINSC_11use_defaultEEESN_EEEEEPS7_SQ_SQ_NSC_11hip_rocprim7__merge17predicate_wrapperIttNSC_4lessItEEEEEE10hipError_tPvRmT0_T1_T2_T3_T4_T5_mmT6_P12ihipStream_tbEUlT_E_NS1_11comp_targetILNS1_3genE10ELNS1_11target_archE1201ELNS1_3gpuE5ELNS1_3repE0EEENS1_30default_config_static_selectorELNS0_4arch9wavefront6targetE0EEEvS11_.kd
    .uniform_work_group_size: 1
    .uses_dynamic_stack: false
    .vgpr_count:     0
    .vgpr_spill_count: 0
    .wavefront_size: 32
    .workgroup_processor_mode: 1
  - .args:
      - .offset:         0
        .size:           64
        .value_kind:     by_value
    .group_segment_fixed_size: 0
    .kernarg_segment_align: 8
    .kernarg_segment_size: 64
    .language:       OpenCL C
    .language_version:
      - 2
      - 0
    .max_flat_workgroup_size: 1024
    .name:           _ZN7rocprim17ROCPRIM_400000_NS6detail17trampoline_kernelINS0_14default_configENS1_21merge_config_selectorINS0_5tupleIJttEEENS0_10empty_typeEEEZNS1_10merge_implIS3_NS0_12zip_iteratorINS5_IJN6thrust23THRUST_200600_302600_NS6detail15normal_iteratorINSC_10device_ptrIKtEEEESI_EEEEESK_NSA_INS5_IJNSC_16discard_iteratorINSC_11use_defaultEEESN_EEEEEPS7_SQ_SQ_NSC_11hip_rocprim7__merge17predicate_wrapperIttNSC_4lessItEEEEEE10hipError_tPvRmT0_T1_T2_T3_T4_T5_mmT6_P12ihipStream_tbEUlT_E_NS1_11comp_targetILNS1_3genE10ELNS1_11target_archE1200ELNS1_3gpuE4ELNS1_3repE0EEENS1_30default_config_static_selectorELNS0_4arch9wavefront6targetE0EEEvS11_
    .private_segment_fixed_size: 0
    .sgpr_count:     0
    .sgpr_spill_count: 0
    .symbol:         _ZN7rocprim17ROCPRIM_400000_NS6detail17trampoline_kernelINS0_14default_configENS1_21merge_config_selectorINS0_5tupleIJttEEENS0_10empty_typeEEEZNS1_10merge_implIS3_NS0_12zip_iteratorINS5_IJN6thrust23THRUST_200600_302600_NS6detail15normal_iteratorINSC_10device_ptrIKtEEEESI_EEEEESK_NSA_INS5_IJNSC_16discard_iteratorINSC_11use_defaultEEESN_EEEEEPS7_SQ_SQ_NSC_11hip_rocprim7__merge17predicate_wrapperIttNSC_4lessItEEEEEE10hipError_tPvRmT0_T1_T2_T3_T4_T5_mmT6_P12ihipStream_tbEUlT_E_NS1_11comp_targetILNS1_3genE10ELNS1_11target_archE1200ELNS1_3gpuE4ELNS1_3repE0EEENS1_30default_config_static_selectorELNS0_4arch9wavefront6targetE0EEEvS11_.kd
    .uniform_work_group_size: 1
    .uses_dynamic_stack: false
    .vgpr_count:     0
    .vgpr_spill_count: 0
    .wavefront_size: 32
    .workgroup_processor_mode: 1
  - .args:
      - .offset:         0
        .size:           64
        .value_kind:     by_value
    .group_segment_fixed_size: 0
    .kernarg_segment_align: 8
    .kernarg_segment_size: 64
    .language:       OpenCL C
    .language_version:
      - 2
      - 0
    .max_flat_workgroup_size: 1024
    .name:           _ZN7rocprim17ROCPRIM_400000_NS6detail17trampoline_kernelINS0_14default_configENS1_21merge_config_selectorINS0_5tupleIJttEEENS0_10empty_typeEEEZNS1_10merge_implIS3_NS0_12zip_iteratorINS5_IJN6thrust23THRUST_200600_302600_NS6detail15normal_iteratorINSC_10device_ptrIKtEEEESI_EEEEESK_NSA_INS5_IJNSC_16discard_iteratorINSC_11use_defaultEEESN_EEEEEPS7_SQ_SQ_NSC_11hip_rocprim7__merge17predicate_wrapperIttNSC_4lessItEEEEEE10hipError_tPvRmT0_T1_T2_T3_T4_T5_mmT6_P12ihipStream_tbEUlT_E_NS1_11comp_targetILNS1_3genE9ELNS1_11target_archE1100ELNS1_3gpuE3ELNS1_3repE0EEENS1_30default_config_static_selectorELNS0_4arch9wavefront6targetE0EEEvS11_
    .private_segment_fixed_size: 0
    .sgpr_count:     0
    .sgpr_spill_count: 0
    .symbol:         _ZN7rocprim17ROCPRIM_400000_NS6detail17trampoline_kernelINS0_14default_configENS1_21merge_config_selectorINS0_5tupleIJttEEENS0_10empty_typeEEEZNS1_10merge_implIS3_NS0_12zip_iteratorINS5_IJN6thrust23THRUST_200600_302600_NS6detail15normal_iteratorINSC_10device_ptrIKtEEEESI_EEEEESK_NSA_INS5_IJNSC_16discard_iteratorINSC_11use_defaultEEESN_EEEEEPS7_SQ_SQ_NSC_11hip_rocprim7__merge17predicate_wrapperIttNSC_4lessItEEEEEE10hipError_tPvRmT0_T1_T2_T3_T4_T5_mmT6_P12ihipStream_tbEUlT_E_NS1_11comp_targetILNS1_3genE9ELNS1_11target_archE1100ELNS1_3gpuE3ELNS1_3repE0EEENS1_30default_config_static_selectorELNS0_4arch9wavefront6targetE0EEEvS11_.kd
    .uniform_work_group_size: 1
    .uses_dynamic_stack: false
    .vgpr_count:     0
    .vgpr_spill_count: 0
    .wavefront_size: 32
    .workgroup_processor_mode: 1
  - .args:
      - .offset:         0
        .size:           64
        .value_kind:     by_value
      - .offset:         64
        .size:           4
        .value_kind:     hidden_block_count_x
      - .offset:         68
        .size:           4
        .value_kind:     hidden_block_count_y
      - .offset:         72
        .size:           4
        .value_kind:     hidden_block_count_z
      - .offset:         76
        .size:           2
        .value_kind:     hidden_group_size_x
      - .offset:         78
        .size:           2
        .value_kind:     hidden_group_size_y
      - .offset:         80
        .size:           2
        .value_kind:     hidden_group_size_z
      - .offset:         82
        .size:           2
        .value_kind:     hidden_remainder_x
      - .offset:         84
        .size:           2
        .value_kind:     hidden_remainder_y
      - .offset:         86
        .size:           2
        .value_kind:     hidden_remainder_z
      - .offset:         104
        .size:           8
        .value_kind:     hidden_global_offset_x
      - .offset:         112
        .size:           8
        .value_kind:     hidden_global_offset_y
      - .offset:         120
        .size:           8
        .value_kind:     hidden_global_offset_z
      - .offset:         128
        .size:           2
        .value_kind:     hidden_grid_dims
    .group_segment_fixed_size: 0
    .kernarg_segment_align: 8
    .kernarg_segment_size: 320
    .language:       OpenCL C
    .language_version:
      - 2
      - 0
    .max_flat_workgroup_size: 1024
    .name:           _ZN7rocprim17ROCPRIM_400000_NS6detail17trampoline_kernelINS0_14default_configENS1_21merge_config_selectorINS0_5tupleIJttEEENS0_10empty_typeEEEZNS1_10merge_implIS3_NS0_12zip_iteratorINS5_IJN6thrust23THRUST_200600_302600_NS6detail15normal_iteratorINSC_10device_ptrIKtEEEESI_EEEEESK_NSA_INS5_IJNSC_16discard_iteratorINSC_11use_defaultEEESN_EEEEEPS7_SQ_SQ_NSC_11hip_rocprim7__merge17predicate_wrapperIttNSC_4lessItEEEEEE10hipError_tPvRmT0_T1_T2_T3_T4_T5_mmT6_P12ihipStream_tbEUlT_E_NS1_11comp_targetILNS1_3genE8ELNS1_11target_archE1030ELNS1_3gpuE2ELNS1_3repE0EEENS1_30default_config_static_selectorELNS0_4arch9wavefront6targetE0EEEvS11_
    .private_segment_fixed_size: 0
    .sgpr_count:     18
    .sgpr_spill_count: 0
    .symbol:         _ZN7rocprim17ROCPRIM_400000_NS6detail17trampoline_kernelINS0_14default_configENS1_21merge_config_selectorINS0_5tupleIJttEEENS0_10empty_typeEEEZNS1_10merge_implIS3_NS0_12zip_iteratorINS5_IJN6thrust23THRUST_200600_302600_NS6detail15normal_iteratorINSC_10device_ptrIKtEEEESI_EEEEESK_NSA_INS5_IJNSC_16discard_iteratorINSC_11use_defaultEEESN_EEEEEPS7_SQ_SQ_NSC_11hip_rocprim7__merge17predicate_wrapperIttNSC_4lessItEEEEEE10hipError_tPvRmT0_T1_T2_T3_T4_T5_mmT6_P12ihipStream_tbEUlT_E_NS1_11comp_targetILNS1_3genE8ELNS1_11target_archE1030ELNS1_3gpuE2ELNS1_3repE0EEENS1_30default_config_static_selectorELNS0_4arch9wavefront6targetE0EEEvS11_.kd
    .uniform_work_group_size: 1
    .uses_dynamic_stack: false
    .vgpr_count:     13
    .vgpr_spill_count: 0
    .wavefront_size: 32
    .workgroup_processor_mode: 1
  - .args:
      - .offset:         0
        .size:           128
        .value_kind:     by_value
    .group_segment_fixed_size: 0
    .kernarg_segment_align: 8
    .kernarg_segment_size: 128
    .language:       OpenCL C
    .language_version:
      - 2
      - 0
    .max_flat_workgroup_size: 256
    .name:           _ZN7rocprim17ROCPRIM_400000_NS6detail17trampoline_kernelINS0_14default_configENS1_21merge_config_selectorINS0_5tupleIJttEEENS0_10empty_typeEEEZNS1_10merge_implIS3_NS0_12zip_iteratorINS5_IJN6thrust23THRUST_200600_302600_NS6detail15normal_iteratorINSC_10device_ptrIKtEEEESI_EEEEESK_NSA_INS5_IJNSC_16discard_iteratorINSC_11use_defaultEEESN_EEEEEPS7_SQ_SQ_NSC_11hip_rocprim7__merge17predicate_wrapperIttNSC_4lessItEEEEEE10hipError_tPvRmT0_T1_T2_T3_T4_T5_mmT6_P12ihipStream_tbEUlT_E0_NS1_11comp_targetILNS1_3genE0ELNS1_11target_archE4294967295ELNS1_3gpuE0ELNS1_3repE0EEENS1_30default_config_static_selectorELNS0_4arch9wavefront6targetE0EEEvS11_
    .private_segment_fixed_size: 0
    .sgpr_count:     0
    .sgpr_spill_count: 0
    .symbol:         _ZN7rocprim17ROCPRIM_400000_NS6detail17trampoline_kernelINS0_14default_configENS1_21merge_config_selectorINS0_5tupleIJttEEENS0_10empty_typeEEEZNS1_10merge_implIS3_NS0_12zip_iteratorINS5_IJN6thrust23THRUST_200600_302600_NS6detail15normal_iteratorINSC_10device_ptrIKtEEEESI_EEEEESK_NSA_INS5_IJNSC_16discard_iteratorINSC_11use_defaultEEESN_EEEEEPS7_SQ_SQ_NSC_11hip_rocprim7__merge17predicate_wrapperIttNSC_4lessItEEEEEE10hipError_tPvRmT0_T1_T2_T3_T4_T5_mmT6_P12ihipStream_tbEUlT_E0_NS1_11comp_targetILNS1_3genE0ELNS1_11target_archE4294967295ELNS1_3gpuE0ELNS1_3repE0EEENS1_30default_config_static_selectorELNS0_4arch9wavefront6targetE0EEEvS11_.kd
    .uniform_work_group_size: 1
    .uses_dynamic_stack: false
    .vgpr_count:     0
    .vgpr_spill_count: 0
    .wavefront_size: 32
    .workgroup_processor_mode: 1
  - .args:
      - .offset:         0
        .size:           128
        .value_kind:     by_value
    .group_segment_fixed_size: 0
    .kernarg_segment_align: 8
    .kernarg_segment_size: 128
    .language:       OpenCL C
    .language_version:
      - 2
      - 0
    .max_flat_workgroup_size: 256
    .name:           _ZN7rocprim17ROCPRIM_400000_NS6detail17trampoline_kernelINS0_14default_configENS1_21merge_config_selectorINS0_5tupleIJttEEENS0_10empty_typeEEEZNS1_10merge_implIS3_NS0_12zip_iteratorINS5_IJN6thrust23THRUST_200600_302600_NS6detail15normal_iteratorINSC_10device_ptrIKtEEEESI_EEEEESK_NSA_INS5_IJNSC_16discard_iteratorINSC_11use_defaultEEESN_EEEEEPS7_SQ_SQ_NSC_11hip_rocprim7__merge17predicate_wrapperIttNSC_4lessItEEEEEE10hipError_tPvRmT0_T1_T2_T3_T4_T5_mmT6_P12ihipStream_tbEUlT_E0_NS1_11comp_targetILNS1_3genE5ELNS1_11target_archE942ELNS1_3gpuE9ELNS1_3repE0EEENS1_30default_config_static_selectorELNS0_4arch9wavefront6targetE0EEEvS11_
    .private_segment_fixed_size: 0
    .sgpr_count:     0
    .sgpr_spill_count: 0
    .symbol:         _ZN7rocprim17ROCPRIM_400000_NS6detail17trampoline_kernelINS0_14default_configENS1_21merge_config_selectorINS0_5tupleIJttEEENS0_10empty_typeEEEZNS1_10merge_implIS3_NS0_12zip_iteratorINS5_IJN6thrust23THRUST_200600_302600_NS6detail15normal_iteratorINSC_10device_ptrIKtEEEESI_EEEEESK_NSA_INS5_IJNSC_16discard_iteratorINSC_11use_defaultEEESN_EEEEEPS7_SQ_SQ_NSC_11hip_rocprim7__merge17predicate_wrapperIttNSC_4lessItEEEEEE10hipError_tPvRmT0_T1_T2_T3_T4_T5_mmT6_P12ihipStream_tbEUlT_E0_NS1_11comp_targetILNS1_3genE5ELNS1_11target_archE942ELNS1_3gpuE9ELNS1_3repE0EEENS1_30default_config_static_selectorELNS0_4arch9wavefront6targetE0EEEvS11_.kd
    .uniform_work_group_size: 1
    .uses_dynamic_stack: false
    .vgpr_count:     0
    .vgpr_spill_count: 0
    .wavefront_size: 32
    .workgroup_processor_mode: 1
  - .args:
      - .offset:         0
        .size:           128
        .value_kind:     by_value
    .group_segment_fixed_size: 0
    .kernarg_segment_align: 8
    .kernarg_segment_size: 128
    .language:       OpenCL C
    .language_version:
      - 2
      - 0
    .max_flat_workgroup_size: 256
    .name:           _ZN7rocprim17ROCPRIM_400000_NS6detail17trampoline_kernelINS0_14default_configENS1_21merge_config_selectorINS0_5tupleIJttEEENS0_10empty_typeEEEZNS1_10merge_implIS3_NS0_12zip_iteratorINS5_IJN6thrust23THRUST_200600_302600_NS6detail15normal_iteratorINSC_10device_ptrIKtEEEESI_EEEEESK_NSA_INS5_IJNSC_16discard_iteratorINSC_11use_defaultEEESN_EEEEEPS7_SQ_SQ_NSC_11hip_rocprim7__merge17predicate_wrapperIttNSC_4lessItEEEEEE10hipError_tPvRmT0_T1_T2_T3_T4_T5_mmT6_P12ihipStream_tbEUlT_E0_NS1_11comp_targetILNS1_3genE4ELNS1_11target_archE910ELNS1_3gpuE8ELNS1_3repE0EEENS1_30default_config_static_selectorELNS0_4arch9wavefront6targetE0EEEvS11_
    .private_segment_fixed_size: 0
    .sgpr_count:     0
    .sgpr_spill_count: 0
    .symbol:         _ZN7rocprim17ROCPRIM_400000_NS6detail17trampoline_kernelINS0_14default_configENS1_21merge_config_selectorINS0_5tupleIJttEEENS0_10empty_typeEEEZNS1_10merge_implIS3_NS0_12zip_iteratorINS5_IJN6thrust23THRUST_200600_302600_NS6detail15normal_iteratorINSC_10device_ptrIKtEEEESI_EEEEESK_NSA_INS5_IJNSC_16discard_iteratorINSC_11use_defaultEEESN_EEEEEPS7_SQ_SQ_NSC_11hip_rocprim7__merge17predicate_wrapperIttNSC_4lessItEEEEEE10hipError_tPvRmT0_T1_T2_T3_T4_T5_mmT6_P12ihipStream_tbEUlT_E0_NS1_11comp_targetILNS1_3genE4ELNS1_11target_archE910ELNS1_3gpuE8ELNS1_3repE0EEENS1_30default_config_static_selectorELNS0_4arch9wavefront6targetE0EEEvS11_.kd
    .uniform_work_group_size: 1
    .uses_dynamic_stack: false
    .vgpr_count:     0
    .vgpr_spill_count: 0
    .wavefront_size: 32
    .workgroup_processor_mode: 1
  - .args:
      - .offset:         0
        .size:           128
        .value_kind:     by_value
    .group_segment_fixed_size: 0
    .kernarg_segment_align: 8
    .kernarg_segment_size: 128
    .language:       OpenCL C
    .language_version:
      - 2
      - 0
    .max_flat_workgroup_size: 256
    .name:           _ZN7rocprim17ROCPRIM_400000_NS6detail17trampoline_kernelINS0_14default_configENS1_21merge_config_selectorINS0_5tupleIJttEEENS0_10empty_typeEEEZNS1_10merge_implIS3_NS0_12zip_iteratorINS5_IJN6thrust23THRUST_200600_302600_NS6detail15normal_iteratorINSC_10device_ptrIKtEEEESI_EEEEESK_NSA_INS5_IJNSC_16discard_iteratorINSC_11use_defaultEEESN_EEEEEPS7_SQ_SQ_NSC_11hip_rocprim7__merge17predicate_wrapperIttNSC_4lessItEEEEEE10hipError_tPvRmT0_T1_T2_T3_T4_T5_mmT6_P12ihipStream_tbEUlT_E0_NS1_11comp_targetILNS1_3genE3ELNS1_11target_archE908ELNS1_3gpuE7ELNS1_3repE0EEENS1_30default_config_static_selectorELNS0_4arch9wavefront6targetE0EEEvS11_
    .private_segment_fixed_size: 0
    .sgpr_count:     0
    .sgpr_spill_count: 0
    .symbol:         _ZN7rocprim17ROCPRIM_400000_NS6detail17trampoline_kernelINS0_14default_configENS1_21merge_config_selectorINS0_5tupleIJttEEENS0_10empty_typeEEEZNS1_10merge_implIS3_NS0_12zip_iteratorINS5_IJN6thrust23THRUST_200600_302600_NS6detail15normal_iteratorINSC_10device_ptrIKtEEEESI_EEEEESK_NSA_INS5_IJNSC_16discard_iteratorINSC_11use_defaultEEESN_EEEEEPS7_SQ_SQ_NSC_11hip_rocprim7__merge17predicate_wrapperIttNSC_4lessItEEEEEE10hipError_tPvRmT0_T1_T2_T3_T4_T5_mmT6_P12ihipStream_tbEUlT_E0_NS1_11comp_targetILNS1_3genE3ELNS1_11target_archE908ELNS1_3gpuE7ELNS1_3repE0EEENS1_30default_config_static_selectorELNS0_4arch9wavefront6targetE0EEEvS11_.kd
    .uniform_work_group_size: 1
    .uses_dynamic_stack: false
    .vgpr_count:     0
    .vgpr_spill_count: 0
    .wavefront_size: 32
    .workgroup_processor_mode: 1
  - .args:
      - .offset:         0
        .size:           128
        .value_kind:     by_value
    .group_segment_fixed_size: 0
    .kernarg_segment_align: 8
    .kernarg_segment_size: 128
    .language:       OpenCL C
    .language_version:
      - 2
      - 0
    .max_flat_workgroup_size: 256
    .name:           _ZN7rocprim17ROCPRIM_400000_NS6detail17trampoline_kernelINS0_14default_configENS1_21merge_config_selectorINS0_5tupleIJttEEENS0_10empty_typeEEEZNS1_10merge_implIS3_NS0_12zip_iteratorINS5_IJN6thrust23THRUST_200600_302600_NS6detail15normal_iteratorINSC_10device_ptrIKtEEEESI_EEEEESK_NSA_INS5_IJNSC_16discard_iteratorINSC_11use_defaultEEESN_EEEEEPS7_SQ_SQ_NSC_11hip_rocprim7__merge17predicate_wrapperIttNSC_4lessItEEEEEE10hipError_tPvRmT0_T1_T2_T3_T4_T5_mmT6_P12ihipStream_tbEUlT_E0_NS1_11comp_targetILNS1_3genE2ELNS1_11target_archE906ELNS1_3gpuE6ELNS1_3repE0EEENS1_30default_config_static_selectorELNS0_4arch9wavefront6targetE0EEEvS11_
    .private_segment_fixed_size: 0
    .sgpr_count:     0
    .sgpr_spill_count: 0
    .symbol:         _ZN7rocprim17ROCPRIM_400000_NS6detail17trampoline_kernelINS0_14default_configENS1_21merge_config_selectorINS0_5tupleIJttEEENS0_10empty_typeEEEZNS1_10merge_implIS3_NS0_12zip_iteratorINS5_IJN6thrust23THRUST_200600_302600_NS6detail15normal_iteratorINSC_10device_ptrIKtEEEESI_EEEEESK_NSA_INS5_IJNSC_16discard_iteratorINSC_11use_defaultEEESN_EEEEEPS7_SQ_SQ_NSC_11hip_rocprim7__merge17predicate_wrapperIttNSC_4lessItEEEEEE10hipError_tPvRmT0_T1_T2_T3_T4_T5_mmT6_P12ihipStream_tbEUlT_E0_NS1_11comp_targetILNS1_3genE2ELNS1_11target_archE906ELNS1_3gpuE6ELNS1_3repE0EEENS1_30default_config_static_selectorELNS0_4arch9wavefront6targetE0EEEvS11_.kd
    .uniform_work_group_size: 1
    .uses_dynamic_stack: false
    .vgpr_count:     0
    .vgpr_spill_count: 0
    .wavefront_size: 32
    .workgroup_processor_mode: 1
  - .args:
      - .offset:         0
        .size:           128
        .value_kind:     by_value
    .group_segment_fixed_size: 0
    .kernarg_segment_align: 8
    .kernarg_segment_size: 128
    .language:       OpenCL C
    .language_version:
      - 2
      - 0
    .max_flat_workgroup_size: 1024
    .name:           _ZN7rocprim17ROCPRIM_400000_NS6detail17trampoline_kernelINS0_14default_configENS1_21merge_config_selectorINS0_5tupleIJttEEENS0_10empty_typeEEEZNS1_10merge_implIS3_NS0_12zip_iteratorINS5_IJN6thrust23THRUST_200600_302600_NS6detail15normal_iteratorINSC_10device_ptrIKtEEEESI_EEEEESK_NSA_INS5_IJNSC_16discard_iteratorINSC_11use_defaultEEESN_EEEEEPS7_SQ_SQ_NSC_11hip_rocprim7__merge17predicate_wrapperIttNSC_4lessItEEEEEE10hipError_tPvRmT0_T1_T2_T3_T4_T5_mmT6_P12ihipStream_tbEUlT_E0_NS1_11comp_targetILNS1_3genE10ELNS1_11target_archE1201ELNS1_3gpuE5ELNS1_3repE0EEENS1_30default_config_static_selectorELNS0_4arch9wavefront6targetE0EEEvS11_
    .private_segment_fixed_size: 0
    .sgpr_count:     0
    .sgpr_spill_count: 0
    .symbol:         _ZN7rocprim17ROCPRIM_400000_NS6detail17trampoline_kernelINS0_14default_configENS1_21merge_config_selectorINS0_5tupleIJttEEENS0_10empty_typeEEEZNS1_10merge_implIS3_NS0_12zip_iteratorINS5_IJN6thrust23THRUST_200600_302600_NS6detail15normal_iteratorINSC_10device_ptrIKtEEEESI_EEEEESK_NSA_INS5_IJNSC_16discard_iteratorINSC_11use_defaultEEESN_EEEEEPS7_SQ_SQ_NSC_11hip_rocprim7__merge17predicate_wrapperIttNSC_4lessItEEEEEE10hipError_tPvRmT0_T1_T2_T3_T4_T5_mmT6_P12ihipStream_tbEUlT_E0_NS1_11comp_targetILNS1_3genE10ELNS1_11target_archE1201ELNS1_3gpuE5ELNS1_3repE0EEENS1_30default_config_static_selectorELNS0_4arch9wavefront6targetE0EEEvS11_.kd
    .uniform_work_group_size: 1
    .uses_dynamic_stack: false
    .vgpr_count:     0
    .vgpr_spill_count: 0
    .wavefront_size: 32
    .workgroup_processor_mode: 1
  - .args:
      - .offset:         0
        .size:           128
        .value_kind:     by_value
    .group_segment_fixed_size: 0
    .kernarg_segment_align: 8
    .kernarg_segment_size: 128
    .language:       OpenCL C
    .language_version:
      - 2
      - 0
    .max_flat_workgroup_size: 1024
    .name:           _ZN7rocprim17ROCPRIM_400000_NS6detail17trampoline_kernelINS0_14default_configENS1_21merge_config_selectorINS0_5tupleIJttEEENS0_10empty_typeEEEZNS1_10merge_implIS3_NS0_12zip_iteratorINS5_IJN6thrust23THRUST_200600_302600_NS6detail15normal_iteratorINSC_10device_ptrIKtEEEESI_EEEEESK_NSA_INS5_IJNSC_16discard_iteratorINSC_11use_defaultEEESN_EEEEEPS7_SQ_SQ_NSC_11hip_rocprim7__merge17predicate_wrapperIttNSC_4lessItEEEEEE10hipError_tPvRmT0_T1_T2_T3_T4_T5_mmT6_P12ihipStream_tbEUlT_E0_NS1_11comp_targetILNS1_3genE10ELNS1_11target_archE1200ELNS1_3gpuE4ELNS1_3repE0EEENS1_30default_config_static_selectorELNS0_4arch9wavefront6targetE0EEEvS11_
    .private_segment_fixed_size: 0
    .sgpr_count:     0
    .sgpr_spill_count: 0
    .symbol:         _ZN7rocprim17ROCPRIM_400000_NS6detail17trampoline_kernelINS0_14default_configENS1_21merge_config_selectorINS0_5tupleIJttEEENS0_10empty_typeEEEZNS1_10merge_implIS3_NS0_12zip_iteratorINS5_IJN6thrust23THRUST_200600_302600_NS6detail15normal_iteratorINSC_10device_ptrIKtEEEESI_EEEEESK_NSA_INS5_IJNSC_16discard_iteratorINSC_11use_defaultEEESN_EEEEEPS7_SQ_SQ_NSC_11hip_rocprim7__merge17predicate_wrapperIttNSC_4lessItEEEEEE10hipError_tPvRmT0_T1_T2_T3_T4_T5_mmT6_P12ihipStream_tbEUlT_E0_NS1_11comp_targetILNS1_3genE10ELNS1_11target_archE1200ELNS1_3gpuE4ELNS1_3repE0EEENS1_30default_config_static_selectorELNS0_4arch9wavefront6targetE0EEEvS11_.kd
    .uniform_work_group_size: 1
    .uses_dynamic_stack: false
    .vgpr_count:     0
    .vgpr_spill_count: 0
    .wavefront_size: 32
    .workgroup_processor_mode: 1
  - .args:
      - .offset:         0
        .size:           128
        .value_kind:     by_value
    .group_segment_fixed_size: 0
    .kernarg_segment_align: 8
    .kernarg_segment_size: 128
    .language:       OpenCL C
    .language_version:
      - 2
      - 0
    .max_flat_workgroup_size: 1024
    .name:           _ZN7rocprim17ROCPRIM_400000_NS6detail17trampoline_kernelINS0_14default_configENS1_21merge_config_selectorINS0_5tupleIJttEEENS0_10empty_typeEEEZNS1_10merge_implIS3_NS0_12zip_iteratorINS5_IJN6thrust23THRUST_200600_302600_NS6detail15normal_iteratorINSC_10device_ptrIKtEEEESI_EEEEESK_NSA_INS5_IJNSC_16discard_iteratorINSC_11use_defaultEEESN_EEEEEPS7_SQ_SQ_NSC_11hip_rocprim7__merge17predicate_wrapperIttNSC_4lessItEEEEEE10hipError_tPvRmT0_T1_T2_T3_T4_T5_mmT6_P12ihipStream_tbEUlT_E0_NS1_11comp_targetILNS1_3genE9ELNS1_11target_archE1100ELNS1_3gpuE3ELNS1_3repE0EEENS1_30default_config_static_selectorELNS0_4arch9wavefront6targetE0EEEvS11_
    .private_segment_fixed_size: 0
    .sgpr_count:     0
    .sgpr_spill_count: 0
    .symbol:         _ZN7rocprim17ROCPRIM_400000_NS6detail17trampoline_kernelINS0_14default_configENS1_21merge_config_selectorINS0_5tupleIJttEEENS0_10empty_typeEEEZNS1_10merge_implIS3_NS0_12zip_iteratorINS5_IJN6thrust23THRUST_200600_302600_NS6detail15normal_iteratorINSC_10device_ptrIKtEEEESI_EEEEESK_NSA_INS5_IJNSC_16discard_iteratorINSC_11use_defaultEEESN_EEEEEPS7_SQ_SQ_NSC_11hip_rocprim7__merge17predicate_wrapperIttNSC_4lessItEEEEEE10hipError_tPvRmT0_T1_T2_T3_T4_T5_mmT6_P12ihipStream_tbEUlT_E0_NS1_11comp_targetILNS1_3genE9ELNS1_11target_archE1100ELNS1_3gpuE3ELNS1_3repE0EEENS1_30default_config_static_selectorELNS0_4arch9wavefront6targetE0EEEvS11_.kd
    .uniform_work_group_size: 1
    .uses_dynamic_stack: false
    .vgpr_count:     0
    .vgpr_spill_count: 0
    .wavefront_size: 32
    .workgroup_processor_mode: 1
  - .args:
      - .offset:         0
        .size:           128
        .value_kind:     by_value
    .group_segment_fixed_size: 33792
    .kernarg_segment_align: 8
    .kernarg_segment_size: 128
    .language:       OpenCL C
    .language_version:
      - 2
      - 0
    .max_flat_workgroup_size: 1024
    .name:           _ZN7rocprim17ROCPRIM_400000_NS6detail17trampoline_kernelINS0_14default_configENS1_21merge_config_selectorINS0_5tupleIJttEEENS0_10empty_typeEEEZNS1_10merge_implIS3_NS0_12zip_iteratorINS5_IJN6thrust23THRUST_200600_302600_NS6detail15normal_iteratorINSC_10device_ptrIKtEEEESI_EEEEESK_NSA_INS5_IJNSC_16discard_iteratorINSC_11use_defaultEEESN_EEEEEPS7_SQ_SQ_NSC_11hip_rocprim7__merge17predicate_wrapperIttNSC_4lessItEEEEEE10hipError_tPvRmT0_T1_T2_T3_T4_T5_mmT6_P12ihipStream_tbEUlT_E0_NS1_11comp_targetILNS1_3genE8ELNS1_11target_archE1030ELNS1_3gpuE2ELNS1_3repE0EEENS1_30default_config_static_selectorELNS0_4arch9wavefront6targetE0EEEvS11_
    .private_segment_fixed_size: 0
    .sgpr_count:     26
    .sgpr_spill_count: 0
    .symbol:         _ZN7rocprim17ROCPRIM_400000_NS6detail17trampoline_kernelINS0_14default_configENS1_21merge_config_selectorINS0_5tupleIJttEEENS0_10empty_typeEEEZNS1_10merge_implIS3_NS0_12zip_iteratorINS5_IJN6thrust23THRUST_200600_302600_NS6detail15normal_iteratorINSC_10device_ptrIKtEEEESI_EEEEESK_NSA_INS5_IJNSC_16discard_iteratorINSC_11use_defaultEEESN_EEEEEPS7_SQ_SQ_NSC_11hip_rocprim7__merge17predicate_wrapperIttNSC_4lessItEEEEEE10hipError_tPvRmT0_T1_T2_T3_T4_T5_mmT6_P12ihipStream_tbEUlT_E0_NS1_11comp_targetILNS1_3genE8ELNS1_11target_archE1030ELNS1_3gpuE2ELNS1_3repE0EEENS1_30default_config_static_selectorELNS0_4arch9wavefront6targetE0EEEvS11_.kd
    .uniform_work_group_size: 1
    .uses_dynamic_stack: false
    .vgpr_count:     28
    .vgpr_spill_count: 0
    .wavefront_size: 32
    .workgroup_processor_mode: 1
  - .args:
      - .offset:         0
        .size:           64
        .value_kind:     by_value
    .group_segment_fixed_size: 0
    .kernarg_segment_align: 8
    .kernarg_segment_size: 64
    .language:       OpenCL C
    .language_version:
      - 2
      - 0
    .max_flat_workgroup_size: 512
    .name:           _ZN7rocprim17ROCPRIM_400000_NS6detail17trampoline_kernelINS0_14default_configENS1_21merge_config_selectorINS0_5tupleIJxxEEENS0_10empty_typeEEEZNS1_10merge_implIS3_NS0_12zip_iteratorINS5_IJN6thrust23THRUST_200600_302600_NS6detail15normal_iteratorINSC_10device_ptrIKxEEEESI_EEEEESK_NSA_INS5_IJNSC_16discard_iteratorINSC_11use_defaultEEESN_EEEEEPS7_SQ_SQ_NSC_11hip_rocprim7__merge17predicate_wrapperIxxNSC_4lessIxEEEEEE10hipError_tPvRmT0_T1_T2_T3_T4_T5_mmT6_P12ihipStream_tbEUlT_E_NS1_11comp_targetILNS1_3genE0ELNS1_11target_archE4294967295ELNS1_3gpuE0ELNS1_3repE0EEENS1_30default_config_static_selectorELNS0_4arch9wavefront6targetE0EEEvS11_
    .private_segment_fixed_size: 0
    .sgpr_count:     0
    .sgpr_spill_count: 0
    .symbol:         _ZN7rocprim17ROCPRIM_400000_NS6detail17trampoline_kernelINS0_14default_configENS1_21merge_config_selectorINS0_5tupleIJxxEEENS0_10empty_typeEEEZNS1_10merge_implIS3_NS0_12zip_iteratorINS5_IJN6thrust23THRUST_200600_302600_NS6detail15normal_iteratorINSC_10device_ptrIKxEEEESI_EEEEESK_NSA_INS5_IJNSC_16discard_iteratorINSC_11use_defaultEEESN_EEEEEPS7_SQ_SQ_NSC_11hip_rocprim7__merge17predicate_wrapperIxxNSC_4lessIxEEEEEE10hipError_tPvRmT0_T1_T2_T3_T4_T5_mmT6_P12ihipStream_tbEUlT_E_NS1_11comp_targetILNS1_3genE0ELNS1_11target_archE4294967295ELNS1_3gpuE0ELNS1_3repE0EEENS1_30default_config_static_selectorELNS0_4arch9wavefront6targetE0EEEvS11_.kd
    .uniform_work_group_size: 1
    .uses_dynamic_stack: false
    .vgpr_count:     0
    .vgpr_spill_count: 0
    .wavefront_size: 32
    .workgroup_processor_mode: 1
  - .args:
      - .offset:         0
        .size:           64
        .value_kind:     by_value
    .group_segment_fixed_size: 0
    .kernarg_segment_align: 8
    .kernarg_segment_size: 64
    .language:       OpenCL C
    .language_version:
      - 2
      - 0
    .max_flat_workgroup_size: 256
    .name:           _ZN7rocprim17ROCPRIM_400000_NS6detail17trampoline_kernelINS0_14default_configENS1_21merge_config_selectorINS0_5tupleIJxxEEENS0_10empty_typeEEEZNS1_10merge_implIS3_NS0_12zip_iteratorINS5_IJN6thrust23THRUST_200600_302600_NS6detail15normal_iteratorINSC_10device_ptrIKxEEEESI_EEEEESK_NSA_INS5_IJNSC_16discard_iteratorINSC_11use_defaultEEESN_EEEEEPS7_SQ_SQ_NSC_11hip_rocprim7__merge17predicate_wrapperIxxNSC_4lessIxEEEEEE10hipError_tPvRmT0_T1_T2_T3_T4_T5_mmT6_P12ihipStream_tbEUlT_E_NS1_11comp_targetILNS1_3genE5ELNS1_11target_archE942ELNS1_3gpuE9ELNS1_3repE0EEENS1_30default_config_static_selectorELNS0_4arch9wavefront6targetE0EEEvS11_
    .private_segment_fixed_size: 0
    .sgpr_count:     0
    .sgpr_spill_count: 0
    .symbol:         _ZN7rocprim17ROCPRIM_400000_NS6detail17trampoline_kernelINS0_14default_configENS1_21merge_config_selectorINS0_5tupleIJxxEEENS0_10empty_typeEEEZNS1_10merge_implIS3_NS0_12zip_iteratorINS5_IJN6thrust23THRUST_200600_302600_NS6detail15normal_iteratorINSC_10device_ptrIKxEEEESI_EEEEESK_NSA_INS5_IJNSC_16discard_iteratorINSC_11use_defaultEEESN_EEEEEPS7_SQ_SQ_NSC_11hip_rocprim7__merge17predicate_wrapperIxxNSC_4lessIxEEEEEE10hipError_tPvRmT0_T1_T2_T3_T4_T5_mmT6_P12ihipStream_tbEUlT_E_NS1_11comp_targetILNS1_3genE5ELNS1_11target_archE942ELNS1_3gpuE9ELNS1_3repE0EEENS1_30default_config_static_selectorELNS0_4arch9wavefront6targetE0EEEvS11_.kd
    .uniform_work_group_size: 1
    .uses_dynamic_stack: false
    .vgpr_count:     0
    .vgpr_spill_count: 0
    .wavefront_size: 32
    .workgroup_processor_mode: 1
  - .args:
      - .offset:         0
        .size:           64
        .value_kind:     by_value
    .group_segment_fixed_size: 0
    .kernarg_segment_align: 8
    .kernarg_segment_size: 64
    .language:       OpenCL C
    .language_version:
      - 2
      - 0
    .max_flat_workgroup_size: 512
    .name:           _ZN7rocprim17ROCPRIM_400000_NS6detail17trampoline_kernelINS0_14default_configENS1_21merge_config_selectorINS0_5tupleIJxxEEENS0_10empty_typeEEEZNS1_10merge_implIS3_NS0_12zip_iteratorINS5_IJN6thrust23THRUST_200600_302600_NS6detail15normal_iteratorINSC_10device_ptrIKxEEEESI_EEEEESK_NSA_INS5_IJNSC_16discard_iteratorINSC_11use_defaultEEESN_EEEEEPS7_SQ_SQ_NSC_11hip_rocprim7__merge17predicate_wrapperIxxNSC_4lessIxEEEEEE10hipError_tPvRmT0_T1_T2_T3_T4_T5_mmT6_P12ihipStream_tbEUlT_E_NS1_11comp_targetILNS1_3genE4ELNS1_11target_archE910ELNS1_3gpuE8ELNS1_3repE0EEENS1_30default_config_static_selectorELNS0_4arch9wavefront6targetE0EEEvS11_
    .private_segment_fixed_size: 0
    .sgpr_count:     0
    .sgpr_spill_count: 0
    .symbol:         _ZN7rocprim17ROCPRIM_400000_NS6detail17trampoline_kernelINS0_14default_configENS1_21merge_config_selectorINS0_5tupleIJxxEEENS0_10empty_typeEEEZNS1_10merge_implIS3_NS0_12zip_iteratorINS5_IJN6thrust23THRUST_200600_302600_NS6detail15normal_iteratorINSC_10device_ptrIKxEEEESI_EEEEESK_NSA_INS5_IJNSC_16discard_iteratorINSC_11use_defaultEEESN_EEEEEPS7_SQ_SQ_NSC_11hip_rocprim7__merge17predicate_wrapperIxxNSC_4lessIxEEEEEE10hipError_tPvRmT0_T1_T2_T3_T4_T5_mmT6_P12ihipStream_tbEUlT_E_NS1_11comp_targetILNS1_3genE4ELNS1_11target_archE910ELNS1_3gpuE8ELNS1_3repE0EEENS1_30default_config_static_selectorELNS0_4arch9wavefront6targetE0EEEvS11_.kd
    .uniform_work_group_size: 1
    .uses_dynamic_stack: false
    .vgpr_count:     0
    .vgpr_spill_count: 0
    .wavefront_size: 32
    .workgroup_processor_mode: 1
  - .args:
      - .offset:         0
        .size:           64
        .value_kind:     by_value
    .group_segment_fixed_size: 0
    .kernarg_segment_align: 8
    .kernarg_segment_size: 64
    .language:       OpenCL C
    .language_version:
      - 2
      - 0
    .max_flat_workgroup_size: 512
    .name:           _ZN7rocprim17ROCPRIM_400000_NS6detail17trampoline_kernelINS0_14default_configENS1_21merge_config_selectorINS0_5tupleIJxxEEENS0_10empty_typeEEEZNS1_10merge_implIS3_NS0_12zip_iteratorINS5_IJN6thrust23THRUST_200600_302600_NS6detail15normal_iteratorINSC_10device_ptrIKxEEEESI_EEEEESK_NSA_INS5_IJNSC_16discard_iteratorINSC_11use_defaultEEESN_EEEEEPS7_SQ_SQ_NSC_11hip_rocprim7__merge17predicate_wrapperIxxNSC_4lessIxEEEEEE10hipError_tPvRmT0_T1_T2_T3_T4_T5_mmT6_P12ihipStream_tbEUlT_E_NS1_11comp_targetILNS1_3genE3ELNS1_11target_archE908ELNS1_3gpuE7ELNS1_3repE0EEENS1_30default_config_static_selectorELNS0_4arch9wavefront6targetE0EEEvS11_
    .private_segment_fixed_size: 0
    .sgpr_count:     0
    .sgpr_spill_count: 0
    .symbol:         _ZN7rocprim17ROCPRIM_400000_NS6detail17trampoline_kernelINS0_14default_configENS1_21merge_config_selectorINS0_5tupleIJxxEEENS0_10empty_typeEEEZNS1_10merge_implIS3_NS0_12zip_iteratorINS5_IJN6thrust23THRUST_200600_302600_NS6detail15normal_iteratorINSC_10device_ptrIKxEEEESI_EEEEESK_NSA_INS5_IJNSC_16discard_iteratorINSC_11use_defaultEEESN_EEEEEPS7_SQ_SQ_NSC_11hip_rocprim7__merge17predicate_wrapperIxxNSC_4lessIxEEEEEE10hipError_tPvRmT0_T1_T2_T3_T4_T5_mmT6_P12ihipStream_tbEUlT_E_NS1_11comp_targetILNS1_3genE3ELNS1_11target_archE908ELNS1_3gpuE7ELNS1_3repE0EEENS1_30default_config_static_selectorELNS0_4arch9wavefront6targetE0EEEvS11_.kd
    .uniform_work_group_size: 1
    .uses_dynamic_stack: false
    .vgpr_count:     0
    .vgpr_spill_count: 0
    .wavefront_size: 32
    .workgroup_processor_mode: 1
  - .args:
      - .offset:         0
        .size:           64
        .value_kind:     by_value
    .group_segment_fixed_size: 0
    .kernarg_segment_align: 8
    .kernarg_segment_size: 64
    .language:       OpenCL C
    .language_version:
      - 2
      - 0
    .max_flat_workgroup_size: 512
    .name:           _ZN7rocprim17ROCPRIM_400000_NS6detail17trampoline_kernelINS0_14default_configENS1_21merge_config_selectorINS0_5tupleIJxxEEENS0_10empty_typeEEEZNS1_10merge_implIS3_NS0_12zip_iteratorINS5_IJN6thrust23THRUST_200600_302600_NS6detail15normal_iteratorINSC_10device_ptrIKxEEEESI_EEEEESK_NSA_INS5_IJNSC_16discard_iteratorINSC_11use_defaultEEESN_EEEEEPS7_SQ_SQ_NSC_11hip_rocprim7__merge17predicate_wrapperIxxNSC_4lessIxEEEEEE10hipError_tPvRmT0_T1_T2_T3_T4_T5_mmT6_P12ihipStream_tbEUlT_E_NS1_11comp_targetILNS1_3genE2ELNS1_11target_archE906ELNS1_3gpuE6ELNS1_3repE0EEENS1_30default_config_static_selectorELNS0_4arch9wavefront6targetE0EEEvS11_
    .private_segment_fixed_size: 0
    .sgpr_count:     0
    .sgpr_spill_count: 0
    .symbol:         _ZN7rocprim17ROCPRIM_400000_NS6detail17trampoline_kernelINS0_14default_configENS1_21merge_config_selectorINS0_5tupleIJxxEEENS0_10empty_typeEEEZNS1_10merge_implIS3_NS0_12zip_iteratorINS5_IJN6thrust23THRUST_200600_302600_NS6detail15normal_iteratorINSC_10device_ptrIKxEEEESI_EEEEESK_NSA_INS5_IJNSC_16discard_iteratorINSC_11use_defaultEEESN_EEEEEPS7_SQ_SQ_NSC_11hip_rocprim7__merge17predicate_wrapperIxxNSC_4lessIxEEEEEE10hipError_tPvRmT0_T1_T2_T3_T4_T5_mmT6_P12ihipStream_tbEUlT_E_NS1_11comp_targetILNS1_3genE2ELNS1_11target_archE906ELNS1_3gpuE6ELNS1_3repE0EEENS1_30default_config_static_selectorELNS0_4arch9wavefront6targetE0EEEvS11_.kd
    .uniform_work_group_size: 1
    .uses_dynamic_stack: false
    .vgpr_count:     0
    .vgpr_spill_count: 0
    .wavefront_size: 32
    .workgroup_processor_mode: 1
  - .args:
      - .offset:         0
        .size:           64
        .value_kind:     by_value
    .group_segment_fixed_size: 0
    .kernarg_segment_align: 8
    .kernarg_segment_size: 64
    .language:       OpenCL C
    .language_version:
      - 2
      - 0
    .max_flat_workgroup_size: 512
    .name:           _ZN7rocprim17ROCPRIM_400000_NS6detail17trampoline_kernelINS0_14default_configENS1_21merge_config_selectorINS0_5tupleIJxxEEENS0_10empty_typeEEEZNS1_10merge_implIS3_NS0_12zip_iteratorINS5_IJN6thrust23THRUST_200600_302600_NS6detail15normal_iteratorINSC_10device_ptrIKxEEEESI_EEEEESK_NSA_INS5_IJNSC_16discard_iteratorINSC_11use_defaultEEESN_EEEEEPS7_SQ_SQ_NSC_11hip_rocprim7__merge17predicate_wrapperIxxNSC_4lessIxEEEEEE10hipError_tPvRmT0_T1_T2_T3_T4_T5_mmT6_P12ihipStream_tbEUlT_E_NS1_11comp_targetILNS1_3genE10ELNS1_11target_archE1201ELNS1_3gpuE5ELNS1_3repE0EEENS1_30default_config_static_selectorELNS0_4arch9wavefront6targetE0EEEvS11_
    .private_segment_fixed_size: 0
    .sgpr_count:     0
    .sgpr_spill_count: 0
    .symbol:         _ZN7rocprim17ROCPRIM_400000_NS6detail17trampoline_kernelINS0_14default_configENS1_21merge_config_selectorINS0_5tupleIJxxEEENS0_10empty_typeEEEZNS1_10merge_implIS3_NS0_12zip_iteratorINS5_IJN6thrust23THRUST_200600_302600_NS6detail15normal_iteratorINSC_10device_ptrIKxEEEESI_EEEEESK_NSA_INS5_IJNSC_16discard_iteratorINSC_11use_defaultEEESN_EEEEEPS7_SQ_SQ_NSC_11hip_rocprim7__merge17predicate_wrapperIxxNSC_4lessIxEEEEEE10hipError_tPvRmT0_T1_T2_T3_T4_T5_mmT6_P12ihipStream_tbEUlT_E_NS1_11comp_targetILNS1_3genE10ELNS1_11target_archE1201ELNS1_3gpuE5ELNS1_3repE0EEENS1_30default_config_static_selectorELNS0_4arch9wavefront6targetE0EEEvS11_.kd
    .uniform_work_group_size: 1
    .uses_dynamic_stack: false
    .vgpr_count:     0
    .vgpr_spill_count: 0
    .wavefront_size: 32
    .workgroup_processor_mode: 1
  - .args:
      - .offset:         0
        .size:           64
        .value_kind:     by_value
    .group_segment_fixed_size: 0
    .kernarg_segment_align: 8
    .kernarg_segment_size: 64
    .language:       OpenCL C
    .language_version:
      - 2
      - 0
    .max_flat_workgroup_size: 256
    .name:           _ZN7rocprim17ROCPRIM_400000_NS6detail17trampoline_kernelINS0_14default_configENS1_21merge_config_selectorINS0_5tupleIJxxEEENS0_10empty_typeEEEZNS1_10merge_implIS3_NS0_12zip_iteratorINS5_IJN6thrust23THRUST_200600_302600_NS6detail15normal_iteratorINSC_10device_ptrIKxEEEESI_EEEEESK_NSA_INS5_IJNSC_16discard_iteratorINSC_11use_defaultEEESN_EEEEEPS7_SQ_SQ_NSC_11hip_rocprim7__merge17predicate_wrapperIxxNSC_4lessIxEEEEEE10hipError_tPvRmT0_T1_T2_T3_T4_T5_mmT6_P12ihipStream_tbEUlT_E_NS1_11comp_targetILNS1_3genE10ELNS1_11target_archE1200ELNS1_3gpuE4ELNS1_3repE0EEENS1_30default_config_static_selectorELNS0_4arch9wavefront6targetE0EEEvS11_
    .private_segment_fixed_size: 0
    .sgpr_count:     0
    .sgpr_spill_count: 0
    .symbol:         _ZN7rocprim17ROCPRIM_400000_NS6detail17trampoline_kernelINS0_14default_configENS1_21merge_config_selectorINS0_5tupleIJxxEEENS0_10empty_typeEEEZNS1_10merge_implIS3_NS0_12zip_iteratorINS5_IJN6thrust23THRUST_200600_302600_NS6detail15normal_iteratorINSC_10device_ptrIKxEEEESI_EEEEESK_NSA_INS5_IJNSC_16discard_iteratorINSC_11use_defaultEEESN_EEEEEPS7_SQ_SQ_NSC_11hip_rocprim7__merge17predicate_wrapperIxxNSC_4lessIxEEEEEE10hipError_tPvRmT0_T1_T2_T3_T4_T5_mmT6_P12ihipStream_tbEUlT_E_NS1_11comp_targetILNS1_3genE10ELNS1_11target_archE1200ELNS1_3gpuE4ELNS1_3repE0EEENS1_30default_config_static_selectorELNS0_4arch9wavefront6targetE0EEEvS11_.kd
    .uniform_work_group_size: 1
    .uses_dynamic_stack: false
    .vgpr_count:     0
    .vgpr_spill_count: 0
    .wavefront_size: 32
    .workgroup_processor_mode: 1
  - .args:
      - .offset:         0
        .size:           64
        .value_kind:     by_value
    .group_segment_fixed_size: 0
    .kernarg_segment_align: 8
    .kernarg_segment_size: 64
    .language:       OpenCL C
    .language_version:
      - 2
      - 0
    .max_flat_workgroup_size: 1024
    .name:           _ZN7rocprim17ROCPRIM_400000_NS6detail17trampoline_kernelINS0_14default_configENS1_21merge_config_selectorINS0_5tupleIJxxEEENS0_10empty_typeEEEZNS1_10merge_implIS3_NS0_12zip_iteratorINS5_IJN6thrust23THRUST_200600_302600_NS6detail15normal_iteratorINSC_10device_ptrIKxEEEESI_EEEEESK_NSA_INS5_IJNSC_16discard_iteratorINSC_11use_defaultEEESN_EEEEEPS7_SQ_SQ_NSC_11hip_rocprim7__merge17predicate_wrapperIxxNSC_4lessIxEEEEEE10hipError_tPvRmT0_T1_T2_T3_T4_T5_mmT6_P12ihipStream_tbEUlT_E_NS1_11comp_targetILNS1_3genE9ELNS1_11target_archE1100ELNS1_3gpuE3ELNS1_3repE0EEENS1_30default_config_static_selectorELNS0_4arch9wavefront6targetE0EEEvS11_
    .private_segment_fixed_size: 0
    .sgpr_count:     0
    .sgpr_spill_count: 0
    .symbol:         _ZN7rocprim17ROCPRIM_400000_NS6detail17trampoline_kernelINS0_14default_configENS1_21merge_config_selectorINS0_5tupleIJxxEEENS0_10empty_typeEEEZNS1_10merge_implIS3_NS0_12zip_iteratorINS5_IJN6thrust23THRUST_200600_302600_NS6detail15normal_iteratorINSC_10device_ptrIKxEEEESI_EEEEESK_NSA_INS5_IJNSC_16discard_iteratorINSC_11use_defaultEEESN_EEEEEPS7_SQ_SQ_NSC_11hip_rocprim7__merge17predicate_wrapperIxxNSC_4lessIxEEEEEE10hipError_tPvRmT0_T1_T2_T3_T4_T5_mmT6_P12ihipStream_tbEUlT_E_NS1_11comp_targetILNS1_3genE9ELNS1_11target_archE1100ELNS1_3gpuE3ELNS1_3repE0EEENS1_30default_config_static_selectorELNS0_4arch9wavefront6targetE0EEEvS11_.kd
    .uniform_work_group_size: 1
    .uses_dynamic_stack: false
    .vgpr_count:     0
    .vgpr_spill_count: 0
    .wavefront_size: 32
    .workgroup_processor_mode: 1
  - .args:
      - .offset:         0
        .size:           64
        .value_kind:     by_value
      - .offset:         64
        .size:           4
        .value_kind:     hidden_block_count_x
      - .offset:         68
        .size:           4
        .value_kind:     hidden_block_count_y
      - .offset:         72
        .size:           4
        .value_kind:     hidden_block_count_z
      - .offset:         76
        .size:           2
        .value_kind:     hidden_group_size_x
      - .offset:         78
        .size:           2
        .value_kind:     hidden_group_size_y
      - .offset:         80
        .size:           2
        .value_kind:     hidden_group_size_z
      - .offset:         82
        .size:           2
        .value_kind:     hidden_remainder_x
      - .offset:         84
        .size:           2
        .value_kind:     hidden_remainder_y
      - .offset:         86
        .size:           2
        .value_kind:     hidden_remainder_z
      - .offset:         104
        .size:           8
        .value_kind:     hidden_global_offset_x
      - .offset:         112
        .size:           8
        .value_kind:     hidden_global_offset_y
      - .offset:         120
        .size:           8
        .value_kind:     hidden_global_offset_z
      - .offset:         128
        .size:           2
        .value_kind:     hidden_grid_dims
    .group_segment_fixed_size: 0
    .kernarg_segment_align: 8
    .kernarg_segment_size: 320
    .language:       OpenCL C
    .language_version:
      - 2
      - 0
    .max_flat_workgroup_size: 256
    .name:           _ZN7rocprim17ROCPRIM_400000_NS6detail17trampoline_kernelINS0_14default_configENS1_21merge_config_selectorINS0_5tupleIJxxEEENS0_10empty_typeEEEZNS1_10merge_implIS3_NS0_12zip_iteratorINS5_IJN6thrust23THRUST_200600_302600_NS6detail15normal_iteratorINSC_10device_ptrIKxEEEESI_EEEEESK_NSA_INS5_IJNSC_16discard_iteratorINSC_11use_defaultEEESN_EEEEEPS7_SQ_SQ_NSC_11hip_rocprim7__merge17predicate_wrapperIxxNSC_4lessIxEEEEEE10hipError_tPvRmT0_T1_T2_T3_T4_T5_mmT6_P12ihipStream_tbEUlT_E_NS1_11comp_targetILNS1_3genE8ELNS1_11target_archE1030ELNS1_3gpuE2ELNS1_3repE0EEENS1_30default_config_static_selectorELNS0_4arch9wavefront6targetE0EEEvS11_
    .private_segment_fixed_size: 0
    .sgpr_count:     18
    .sgpr_spill_count: 0
    .symbol:         _ZN7rocprim17ROCPRIM_400000_NS6detail17trampoline_kernelINS0_14default_configENS1_21merge_config_selectorINS0_5tupleIJxxEEENS0_10empty_typeEEEZNS1_10merge_implIS3_NS0_12zip_iteratorINS5_IJN6thrust23THRUST_200600_302600_NS6detail15normal_iteratorINSC_10device_ptrIKxEEEESI_EEEEESK_NSA_INS5_IJNSC_16discard_iteratorINSC_11use_defaultEEESN_EEEEEPS7_SQ_SQ_NSC_11hip_rocprim7__merge17predicate_wrapperIxxNSC_4lessIxEEEEEE10hipError_tPvRmT0_T1_T2_T3_T4_T5_mmT6_P12ihipStream_tbEUlT_E_NS1_11comp_targetILNS1_3genE8ELNS1_11target_archE1030ELNS1_3gpuE2ELNS1_3repE0EEENS1_30default_config_static_selectorELNS0_4arch9wavefront6targetE0EEEvS11_.kd
    .uniform_work_group_size: 1
    .uses_dynamic_stack: false
    .vgpr_count:     14
    .vgpr_spill_count: 0
    .wavefront_size: 32
    .workgroup_processor_mode: 1
  - .args:
      - .offset:         0
        .size:           128
        .value_kind:     by_value
    .group_segment_fixed_size: 0
    .kernarg_segment_align: 8
    .kernarg_segment_size: 128
    .language:       OpenCL C
    .language_version:
      - 2
      - 0
    .max_flat_workgroup_size: 512
    .name:           _ZN7rocprim17ROCPRIM_400000_NS6detail17trampoline_kernelINS0_14default_configENS1_21merge_config_selectorINS0_5tupleIJxxEEENS0_10empty_typeEEEZNS1_10merge_implIS3_NS0_12zip_iteratorINS5_IJN6thrust23THRUST_200600_302600_NS6detail15normal_iteratorINSC_10device_ptrIKxEEEESI_EEEEESK_NSA_INS5_IJNSC_16discard_iteratorINSC_11use_defaultEEESN_EEEEEPS7_SQ_SQ_NSC_11hip_rocprim7__merge17predicate_wrapperIxxNSC_4lessIxEEEEEE10hipError_tPvRmT0_T1_T2_T3_T4_T5_mmT6_P12ihipStream_tbEUlT_E0_NS1_11comp_targetILNS1_3genE0ELNS1_11target_archE4294967295ELNS1_3gpuE0ELNS1_3repE0EEENS1_30default_config_static_selectorELNS0_4arch9wavefront6targetE0EEEvS11_
    .private_segment_fixed_size: 0
    .sgpr_count:     0
    .sgpr_spill_count: 0
    .symbol:         _ZN7rocprim17ROCPRIM_400000_NS6detail17trampoline_kernelINS0_14default_configENS1_21merge_config_selectorINS0_5tupleIJxxEEENS0_10empty_typeEEEZNS1_10merge_implIS3_NS0_12zip_iteratorINS5_IJN6thrust23THRUST_200600_302600_NS6detail15normal_iteratorINSC_10device_ptrIKxEEEESI_EEEEESK_NSA_INS5_IJNSC_16discard_iteratorINSC_11use_defaultEEESN_EEEEEPS7_SQ_SQ_NSC_11hip_rocprim7__merge17predicate_wrapperIxxNSC_4lessIxEEEEEE10hipError_tPvRmT0_T1_T2_T3_T4_T5_mmT6_P12ihipStream_tbEUlT_E0_NS1_11comp_targetILNS1_3genE0ELNS1_11target_archE4294967295ELNS1_3gpuE0ELNS1_3repE0EEENS1_30default_config_static_selectorELNS0_4arch9wavefront6targetE0EEEvS11_.kd
    .uniform_work_group_size: 1
    .uses_dynamic_stack: false
    .vgpr_count:     0
    .vgpr_spill_count: 0
    .wavefront_size: 32
    .workgroup_processor_mode: 1
  - .args:
      - .offset:         0
        .size:           128
        .value_kind:     by_value
    .group_segment_fixed_size: 0
    .kernarg_segment_align: 8
    .kernarg_segment_size: 128
    .language:       OpenCL C
    .language_version:
      - 2
      - 0
    .max_flat_workgroup_size: 256
    .name:           _ZN7rocprim17ROCPRIM_400000_NS6detail17trampoline_kernelINS0_14default_configENS1_21merge_config_selectorINS0_5tupleIJxxEEENS0_10empty_typeEEEZNS1_10merge_implIS3_NS0_12zip_iteratorINS5_IJN6thrust23THRUST_200600_302600_NS6detail15normal_iteratorINSC_10device_ptrIKxEEEESI_EEEEESK_NSA_INS5_IJNSC_16discard_iteratorINSC_11use_defaultEEESN_EEEEEPS7_SQ_SQ_NSC_11hip_rocprim7__merge17predicate_wrapperIxxNSC_4lessIxEEEEEE10hipError_tPvRmT0_T1_T2_T3_T4_T5_mmT6_P12ihipStream_tbEUlT_E0_NS1_11comp_targetILNS1_3genE5ELNS1_11target_archE942ELNS1_3gpuE9ELNS1_3repE0EEENS1_30default_config_static_selectorELNS0_4arch9wavefront6targetE0EEEvS11_
    .private_segment_fixed_size: 0
    .sgpr_count:     0
    .sgpr_spill_count: 0
    .symbol:         _ZN7rocprim17ROCPRIM_400000_NS6detail17trampoline_kernelINS0_14default_configENS1_21merge_config_selectorINS0_5tupleIJxxEEENS0_10empty_typeEEEZNS1_10merge_implIS3_NS0_12zip_iteratorINS5_IJN6thrust23THRUST_200600_302600_NS6detail15normal_iteratorINSC_10device_ptrIKxEEEESI_EEEEESK_NSA_INS5_IJNSC_16discard_iteratorINSC_11use_defaultEEESN_EEEEEPS7_SQ_SQ_NSC_11hip_rocprim7__merge17predicate_wrapperIxxNSC_4lessIxEEEEEE10hipError_tPvRmT0_T1_T2_T3_T4_T5_mmT6_P12ihipStream_tbEUlT_E0_NS1_11comp_targetILNS1_3genE5ELNS1_11target_archE942ELNS1_3gpuE9ELNS1_3repE0EEENS1_30default_config_static_selectorELNS0_4arch9wavefront6targetE0EEEvS11_.kd
    .uniform_work_group_size: 1
    .uses_dynamic_stack: false
    .vgpr_count:     0
    .vgpr_spill_count: 0
    .wavefront_size: 32
    .workgroup_processor_mode: 1
  - .args:
      - .offset:         0
        .size:           128
        .value_kind:     by_value
    .group_segment_fixed_size: 0
    .kernarg_segment_align: 8
    .kernarg_segment_size: 128
    .language:       OpenCL C
    .language_version:
      - 2
      - 0
    .max_flat_workgroup_size: 512
    .name:           _ZN7rocprim17ROCPRIM_400000_NS6detail17trampoline_kernelINS0_14default_configENS1_21merge_config_selectorINS0_5tupleIJxxEEENS0_10empty_typeEEEZNS1_10merge_implIS3_NS0_12zip_iteratorINS5_IJN6thrust23THRUST_200600_302600_NS6detail15normal_iteratorINSC_10device_ptrIKxEEEESI_EEEEESK_NSA_INS5_IJNSC_16discard_iteratorINSC_11use_defaultEEESN_EEEEEPS7_SQ_SQ_NSC_11hip_rocprim7__merge17predicate_wrapperIxxNSC_4lessIxEEEEEE10hipError_tPvRmT0_T1_T2_T3_T4_T5_mmT6_P12ihipStream_tbEUlT_E0_NS1_11comp_targetILNS1_3genE4ELNS1_11target_archE910ELNS1_3gpuE8ELNS1_3repE0EEENS1_30default_config_static_selectorELNS0_4arch9wavefront6targetE0EEEvS11_
    .private_segment_fixed_size: 0
    .sgpr_count:     0
    .sgpr_spill_count: 0
    .symbol:         _ZN7rocprim17ROCPRIM_400000_NS6detail17trampoline_kernelINS0_14default_configENS1_21merge_config_selectorINS0_5tupleIJxxEEENS0_10empty_typeEEEZNS1_10merge_implIS3_NS0_12zip_iteratorINS5_IJN6thrust23THRUST_200600_302600_NS6detail15normal_iteratorINSC_10device_ptrIKxEEEESI_EEEEESK_NSA_INS5_IJNSC_16discard_iteratorINSC_11use_defaultEEESN_EEEEEPS7_SQ_SQ_NSC_11hip_rocprim7__merge17predicate_wrapperIxxNSC_4lessIxEEEEEE10hipError_tPvRmT0_T1_T2_T3_T4_T5_mmT6_P12ihipStream_tbEUlT_E0_NS1_11comp_targetILNS1_3genE4ELNS1_11target_archE910ELNS1_3gpuE8ELNS1_3repE0EEENS1_30default_config_static_selectorELNS0_4arch9wavefront6targetE0EEEvS11_.kd
    .uniform_work_group_size: 1
    .uses_dynamic_stack: false
    .vgpr_count:     0
    .vgpr_spill_count: 0
    .wavefront_size: 32
    .workgroup_processor_mode: 1
  - .args:
      - .offset:         0
        .size:           128
        .value_kind:     by_value
    .group_segment_fixed_size: 0
    .kernarg_segment_align: 8
    .kernarg_segment_size: 128
    .language:       OpenCL C
    .language_version:
      - 2
      - 0
    .max_flat_workgroup_size: 512
    .name:           _ZN7rocprim17ROCPRIM_400000_NS6detail17trampoline_kernelINS0_14default_configENS1_21merge_config_selectorINS0_5tupleIJxxEEENS0_10empty_typeEEEZNS1_10merge_implIS3_NS0_12zip_iteratorINS5_IJN6thrust23THRUST_200600_302600_NS6detail15normal_iteratorINSC_10device_ptrIKxEEEESI_EEEEESK_NSA_INS5_IJNSC_16discard_iteratorINSC_11use_defaultEEESN_EEEEEPS7_SQ_SQ_NSC_11hip_rocprim7__merge17predicate_wrapperIxxNSC_4lessIxEEEEEE10hipError_tPvRmT0_T1_T2_T3_T4_T5_mmT6_P12ihipStream_tbEUlT_E0_NS1_11comp_targetILNS1_3genE3ELNS1_11target_archE908ELNS1_3gpuE7ELNS1_3repE0EEENS1_30default_config_static_selectorELNS0_4arch9wavefront6targetE0EEEvS11_
    .private_segment_fixed_size: 0
    .sgpr_count:     0
    .sgpr_spill_count: 0
    .symbol:         _ZN7rocprim17ROCPRIM_400000_NS6detail17trampoline_kernelINS0_14default_configENS1_21merge_config_selectorINS0_5tupleIJxxEEENS0_10empty_typeEEEZNS1_10merge_implIS3_NS0_12zip_iteratorINS5_IJN6thrust23THRUST_200600_302600_NS6detail15normal_iteratorINSC_10device_ptrIKxEEEESI_EEEEESK_NSA_INS5_IJNSC_16discard_iteratorINSC_11use_defaultEEESN_EEEEEPS7_SQ_SQ_NSC_11hip_rocprim7__merge17predicate_wrapperIxxNSC_4lessIxEEEEEE10hipError_tPvRmT0_T1_T2_T3_T4_T5_mmT6_P12ihipStream_tbEUlT_E0_NS1_11comp_targetILNS1_3genE3ELNS1_11target_archE908ELNS1_3gpuE7ELNS1_3repE0EEENS1_30default_config_static_selectorELNS0_4arch9wavefront6targetE0EEEvS11_.kd
    .uniform_work_group_size: 1
    .uses_dynamic_stack: false
    .vgpr_count:     0
    .vgpr_spill_count: 0
    .wavefront_size: 32
    .workgroup_processor_mode: 1
  - .args:
      - .offset:         0
        .size:           128
        .value_kind:     by_value
    .group_segment_fixed_size: 0
    .kernarg_segment_align: 8
    .kernarg_segment_size: 128
    .language:       OpenCL C
    .language_version:
      - 2
      - 0
    .max_flat_workgroup_size: 512
    .name:           _ZN7rocprim17ROCPRIM_400000_NS6detail17trampoline_kernelINS0_14default_configENS1_21merge_config_selectorINS0_5tupleIJxxEEENS0_10empty_typeEEEZNS1_10merge_implIS3_NS0_12zip_iteratorINS5_IJN6thrust23THRUST_200600_302600_NS6detail15normal_iteratorINSC_10device_ptrIKxEEEESI_EEEEESK_NSA_INS5_IJNSC_16discard_iteratorINSC_11use_defaultEEESN_EEEEEPS7_SQ_SQ_NSC_11hip_rocprim7__merge17predicate_wrapperIxxNSC_4lessIxEEEEEE10hipError_tPvRmT0_T1_T2_T3_T4_T5_mmT6_P12ihipStream_tbEUlT_E0_NS1_11comp_targetILNS1_3genE2ELNS1_11target_archE906ELNS1_3gpuE6ELNS1_3repE0EEENS1_30default_config_static_selectorELNS0_4arch9wavefront6targetE0EEEvS11_
    .private_segment_fixed_size: 0
    .sgpr_count:     0
    .sgpr_spill_count: 0
    .symbol:         _ZN7rocprim17ROCPRIM_400000_NS6detail17trampoline_kernelINS0_14default_configENS1_21merge_config_selectorINS0_5tupleIJxxEEENS0_10empty_typeEEEZNS1_10merge_implIS3_NS0_12zip_iteratorINS5_IJN6thrust23THRUST_200600_302600_NS6detail15normal_iteratorINSC_10device_ptrIKxEEEESI_EEEEESK_NSA_INS5_IJNSC_16discard_iteratorINSC_11use_defaultEEESN_EEEEEPS7_SQ_SQ_NSC_11hip_rocprim7__merge17predicate_wrapperIxxNSC_4lessIxEEEEEE10hipError_tPvRmT0_T1_T2_T3_T4_T5_mmT6_P12ihipStream_tbEUlT_E0_NS1_11comp_targetILNS1_3genE2ELNS1_11target_archE906ELNS1_3gpuE6ELNS1_3repE0EEENS1_30default_config_static_selectorELNS0_4arch9wavefront6targetE0EEEvS11_.kd
    .uniform_work_group_size: 1
    .uses_dynamic_stack: false
    .vgpr_count:     0
    .vgpr_spill_count: 0
    .wavefront_size: 32
    .workgroup_processor_mode: 1
  - .args:
      - .offset:         0
        .size:           128
        .value_kind:     by_value
    .group_segment_fixed_size: 0
    .kernarg_segment_align: 8
    .kernarg_segment_size: 128
    .language:       OpenCL C
    .language_version:
      - 2
      - 0
    .max_flat_workgroup_size: 512
    .name:           _ZN7rocprim17ROCPRIM_400000_NS6detail17trampoline_kernelINS0_14default_configENS1_21merge_config_selectorINS0_5tupleIJxxEEENS0_10empty_typeEEEZNS1_10merge_implIS3_NS0_12zip_iteratorINS5_IJN6thrust23THRUST_200600_302600_NS6detail15normal_iteratorINSC_10device_ptrIKxEEEESI_EEEEESK_NSA_INS5_IJNSC_16discard_iteratorINSC_11use_defaultEEESN_EEEEEPS7_SQ_SQ_NSC_11hip_rocprim7__merge17predicate_wrapperIxxNSC_4lessIxEEEEEE10hipError_tPvRmT0_T1_T2_T3_T4_T5_mmT6_P12ihipStream_tbEUlT_E0_NS1_11comp_targetILNS1_3genE10ELNS1_11target_archE1201ELNS1_3gpuE5ELNS1_3repE0EEENS1_30default_config_static_selectorELNS0_4arch9wavefront6targetE0EEEvS11_
    .private_segment_fixed_size: 0
    .sgpr_count:     0
    .sgpr_spill_count: 0
    .symbol:         _ZN7rocprim17ROCPRIM_400000_NS6detail17trampoline_kernelINS0_14default_configENS1_21merge_config_selectorINS0_5tupleIJxxEEENS0_10empty_typeEEEZNS1_10merge_implIS3_NS0_12zip_iteratorINS5_IJN6thrust23THRUST_200600_302600_NS6detail15normal_iteratorINSC_10device_ptrIKxEEEESI_EEEEESK_NSA_INS5_IJNSC_16discard_iteratorINSC_11use_defaultEEESN_EEEEEPS7_SQ_SQ_NSC_11hip_rocprim7__merge17predicate_wrapperIxxNSC_4lessIxEEEEEE10hipError_tPvRmT0_T1_T2_T3_T4_T5_mmT6_P12ihipStream_tbEUlT_E0_NS1_11comp_targetILNS1_3genE10ELNS1_11target_archE1201ELNS1_3gpuE5ELNS1_3repE0EEENS1_30default_config_static_selectorELNS0_4arch9wavefront6targetE0EEEvS11_.kd
    .uniform_work_group_size: 1
    .uses_dynamic_stack: false
    .vgpr_count:     0
    .vgpr_spill_count: 0
    .wavefront_size: 32
    .workgroup_processor_mode: 1
  - .args:
      - .offset:         0
        .size:           128
        .value_kind:     by_value
    .group_segment_fixed_size: 0
    .kernarg_segment_align: 8
    .kernarg_segment_size: 128
    .language:       OpenCL C
    .language_version:
      - 2
      - 0
    .max_flat_workgroup_size: 256
    .name:           _ZN7rocprim17ROCPRIM_400000_NS6detail17trampoline_kernelINS0_14default_configENS1_21merge_config_selectorINS0_5tupleIJxxEEENS0_10empty_typeEEEZNS1_10merge_implIS3_NS0_12zip_iteratorINS5_IJN6thrust23THRUST_200600_302600_NS6detail15normal_iteratorINSC_10device_ptrIKxEEEESI_EEEEESK_NSA_INS5_IJNSC_16discard_iteratorINSC_11use_defaultEEESN_EEEEEPS7_SQ_SQ_NSC_11hip_rocprim7__merge17predicate_wrapperIxxNSC_4lessIxEEEEEE10hipError_tPvRmT0_T1_T2_T3_T4_T5_mmT6_P12ihipStream_tbEUlT_E0_NS1_11comp_targetILNS1_3genE10ELNS1_11target_archE1200ELNS1_3gpuE4ELNS1_3repE0EEENS1_30default_config_static_selectorELNS0_4arch9wavefront6targetE0EEEvS11_
    .private_segment_fixed_size: 0
    .sgpr_count:     0
    .sgpr_spill_count: 0
    .symbol:         _ZN7rocprim17ROCPRIM_400000_NS6detail17trampoline_kernelINS0_14default_configENS1_21merge_config_selectorINS0_5tupleIJxxEEENS0_10empty_typeEEEZNS1_10merge_implIS3_NS0_12zip_iteratorINS5_IJN6thrust23THRUST_200600_302600_NS6detail15normal_iteratorINSC_10device_ptrIKxEEEESI_EEEEESK_NSA_INS5_IJNSC_16discard_iteratorINSC_11use_defaultEEESN_EEEEEPS7_SQ_SQ_NSC_11hip_rocprim7__merge17predicate_wrapperIxxNSC_4lessIxEEEEEE10hipError_tPvRmT0_T1_T2_T3_T4_T5_mmT6_P12ihipStream_tbEUlT_E0_NS1_11comp_targetILNS1_3genE10ELNS1_11target_archE1200ELNS1_3gpuE4ELNS1_3repE0EEENS1_30default_config_static_selectorELNS0_4arch9wavefront6targetE0EEEvS11_.kd
    .uniform_work_group_size: 1
    .uses_dynamic_stack: false
    .vgpr_count:     0
    .vgpr_spill_count: 0
    .wavefront_size: 32
    .workgroup_processor_mode: 1
  - .args:
      - .offset:         0
        .size:           128
        .value_kind:     by_value
    .group_segment_fixed_size: 0
    .kernarg_segment_align: 8
    .kernarg_segment_size: 128
    .language:       OpenCL C
    .language_version:
      - 2
      - 0
    .max_flat_workgroup_size: 1024
    .name:           _ZN7rocprim17ROCPRIM_400000_NS6detail17trampoline_kernelINS0_14default_configENS1_21merge_config_selectorINS0_5tupleIJxxEEENS0_10empty_typeEEEZNS1_10merge_implIS3_NS0_12zip_iteratorINS5_IJN6thrust23THRUST_200600_302600_NS6detail15normal_iteratorINSC_10device_ptrIKxEEEESI_EEEEESK_NSA_INS5_IJNSC_16discard_iteratorINSC_11use_defaultEEESN_EEEEEPS7_SQ_SQ_NSC_11hip_rocprim7__merge17predicate_wrapperIxxNSC_4lessIxEEEEEE10hipError_tPvRmT0_T1_T2_T3_T4_T5_mmT6_P12ihipStream_tbEUlT_E0_NS1_11comp_targetILNS1_3genE9ELNS1_11target_archE1100ELNS1_3gpuE3ELNS1_3repE0EEENS1_30default_config_static_selectorELNS0_4arch9wavefront6targetE0EEEvS11_
    .private_segment_fixed_size: 0
    .sgpr_count:     0
    .sgpr_spill_count: 0
    .symbol:         _ZN7rocprim17ROCPRIM_400000_NS6detail17trampoline_kernelINS0_14default_configENS1_21merge_config_selectorINS0_5tupleIJxxEEENS0_10empty_typeEEEZNS1_10merge_implIS3_NS0_12zip_iteratorINS5_IJN6thrust23THRUST_200600_302600_NS6detail15normal_iteratorINSC_10device_ptrIKxEEEESI_EEEEESK_NSA_INS5_IJNSC_16discard_iteratorINSC_11use_defaultEEESN_EEEEEPS7_SQ_SQ_NSC_11hip_rocprim7__merge17predicate_wrapperIxxNSC_4lessIxEEEEEE10hipError_tPvRmT0_T1_T2_T3_T4_T5_mmT6_P12ihipStream_tbEUlT_E0_NS1_11comp_targetILNS1_3genE9ELNS1_11target_archE1100ELNS1_3gpuE3ELNS1_3repE0EEENS1_30default_config_static_selectorELNS0_4arch9wavefront6targetE0EEEvS11_.kd
    .uniform_work_group_size: 1
    .uses_dynamic_stack: false
    .vgpr_count:     0
    .vgpr_spill_count: 0
    .wavefront_size: 32
    .workgroup_processor_mode: 1
  - .args:
      - .offset:         0
        .size:           128
        .value_kind:     by_value
    .group_segment_fixed_size: 33792
    .kernarg_segment_align: 8
    .kernarg_segment_size: 128
    .language:       OpenCL C
    .language_version:
      - 2
      - 0
    .max_flat_workgroup_size: 256
    .name:           _ZN7rocprim17ROCPRIM_400000_NS6detail17trampoline_kernelINS0_14default_configENS1_21merge_config_selectorINS0_5tupleIJxxEEENS0_10empty_typeEEEZNS1_10merge_implIS3_NS0_12zip_iteratorINS5_IJN6thrust23THRUST_200600_302600_NS6detail15normal_iteratorINSC_10device_ptrIKxEEEESI_EEEEESK_NSA_INS5_IJNSC_16discard_iteratorINSC_11use_defaultEEESN_EEEEEPS7_SQ_SQ_NSC_11hip_rocprim7__merge17predicate_wrapperIxxNSC_4lessIxEEEEEE10hipError_tPvRmT0_T1_T2_T3_T4_T5_mmT6_P12ihipStream_tbEUlT_E0_NS1_11comp_targetILNS1_3genE8ELNS1_11target_archE1030ELNS1_3gpuE2ELNS1_3repE0EEENS1_30default_config_static_selectorELNS0_4arch9wavefront6targetE0EEEvS11_
    .private_segment_fixed_size: 0
    .sgpr_count:     26
    .sgpr_spill_count: 0
    .symbol:         _ZN7rocprim17ROCPRIM_400000_NS6detail17trampoline_kernelINS0_14default_configENS1_21merge_config_selectorINS0_5tupleIJxxEEENS0_10empty_typeEEEZNS1_10merge_implIS3_NS0_12zip_iteratorINS5_IJN6thrust23THRUST_200600_302600_NS6detail15normal_iteratorINSC_10device_ptrIKxEEEESI_EEEEESK_NSA_INS5_IJNSC_16discard_iteratorINSC_11use_defaultEEESN_EEEEEPS7_SQ_SQ_NSC_11hip_rocprim7__merge17predicate_wrapperIxxNSC_4lessIxEEEEEE10hipError_tPvRmT0_T1_T2_T3_T4_T5_mmT6_P12ihipStream_tbEUlT_E0_NS1_11comp_targetILNS1_3genE8ELNS1_11target_archE1030ELNS1_3gpuE2ELNS1_3repE0EEENS1_30default_config_static_selectorELNS0_4arch9wavefront6targetE0EEEvS11_.kd
    .uniform_work_group_size: 1
    .uses_dynamic_stack: false
    .vgpr_count:     52
    .vgpr_spill_count: 0
    .wavefront_size: 32
    .workgroup_processor_mode: 1
  - .args:
      - .offset:         0
        .size:           64
        .value_kind:     by_value
    .group_segment_fixed_size: 0
    .kernarg_segment_align: 8
    .kernarg_segment_size: 64
    .language:       OpenCL C
    .language_version:
      - 2
      - 0
    .max_flat_workgroup_size: 256
    .name:           _ZN7rocprim17ROCPRIM_400000_NS6detail17trampoline_kernelINS0_14default_configENS1_21merge_config_selectorINS0_5tupleIJiiEEENS0_10empty_typeEEEZNS1_10merge_implIS3_NS0_12zip_iteratorINS5_IJN6thrust23THRUST_200600_302600_NS6detail15normal_iteratorINSC_10device_ptrIKiEEEESI_EEEEESK_NSA_INS5_IJNSC_16discard_iteratorINSC_11use_defaultEEESN_EEEEEPS7_SQ_SQ_NSC_11hip_rocprim7__merge17predicate_wrapperIiiNSC_4lessIiEEEEEE10hipError_tPvRmT0_T1_T2_T3_T4_T5_mmT6_P12ihipStream_tbEUlT_E_NS1_11comp_targetILNS1_3genE0ELNS1_11target_archE4294967295ELNS1_3gpuE0ELNS1_3repE0EEENS1_30default_config_static_selectorELNS0_4arch9wavefront6targetE0EEEvS11_
    .private_segment_fixed_size: 0
    .sgpr_count:     0
    .sgpr_spill_count: 0
    .symbol:         _ZN7rocprim17ROCPRIM_400000_NS6detail17trampoline_kernelINS0_14default_configENS1_21merge_config_selectorINS0_5tupleIJiiEEENS0_10empty_typeEEEZNS1_10merge_implIS3_NS0_12zip_iteratorINS5_IJN6thrust23THRUST_200600_302600_NS6detail15normal_iteratorINSC_10device_ptrIKiEEEESI_EEEEESK_NSA_INS5_IJNSC_16discard_iteratorINSC_11use_defaultEEESN_EEEEEPS7_SQ_SQ_NSC_11hip_rocprim7__merge17predicate_wrapperIiiNSC_4lessIiEEEEEE10hipError_tPvRmT0_T1_T2_T3_T4_T5_mmT6_P12ihipStream_tbEUlT_E_NS1_11comp_targetILNS1_3genE0ELNS1_11target_archE4294967295ELNS1_3gpuE0ELNS1_3repE0EEENS1_30default_config_static_selectorELNS0_4arch9wavefront6targetE0EEEvS11_.kd
    .uniform_work_group_size: 1
    .uses_dynamic_stack: false
    .vgpr_count:     0
    .vgpr_spill_count: 0
    .wavefront_size: 32
    .workgroup_processor_mode: 1
  - .args:
      - .offset:         0
        .size:           64
        .value_kind:     by_value
    .group_segment_fixed_size: 0
    .kernarg_segment_align: 8
    .kernarg_segment_size: 64
    .language:       OpenCL C
    .language_version:
      - 2
      - 0
    .max_flat_workgroup_size: 256
    .name:           _ZN7rocprim17ROCPRIM_400000_NS6detail17trampoline_kernelINS0_14default_configENS1_21merge_config_selectorINS0_5tupleIJiiEEENS0_10empty_typeEEEZNS1_10merge_implIS3_NS0_12zip_iteratorINS5_IJN6thrust23THRUST_200600_302600_NS6detail15normal_iteratorINSC_10device_ptrIKiEEEESI_EEEEESK_NSA_INS5_IJNSC_16discard_iteratorINSC_11use_defaultEEESN_EEEEEPS7_SQ_SQ_NSC_11hip_rocprim7__merge17predicate_wrapperIiiNSC_4lessIiEEEEEE10hipError_tPvRmT0_T1_T2_T3_T4_T5_mmT6_P12ihipStream_tbEUlT_E_NS1_11comp_targetILNS1_3genE5ELNS1_11target_archE942ELNS1_3gpuE9ELNS1_3repE0EEENS1_30default_config_static_selectorELNS0_4arch9wavefront6targetE0EEEvS11_
    .private_segment_fixed_size: 0
    .sgpr_count:     0
    .sgpr_spill_count: 0
    .symbol:         _ZN7rocprim17ROCPRIM_400000_NS6detail17trampoline_kernelINS0_14default_configENS1_21merge_config_selectorINS0_5tupleIJiiEEENS0_10empty_typeEEEZNS1_10merge_implIS3_NS0_12zip_iteratorINS5_IJN6thrust23THRUST_200600_302600_NS6detail15normal_iteratorINSC_10device_ptrIKiEEEESI_EEEEESK_NSA_INS5_IJNSC_16discard_iteratorINSC_11use_defaultEEESN_EEEEEPS7_SQ_SQ_NSC_11hip_rocprim7__merge17predicate_wrapperIiiNSC_4lessIiEEEEEE10hipError_tPvRmT0_T1_T2_T3_T4_T5_mmT6_P12ihipStream_tbEUlT_E_NS1_11comp_targetILNS1_3genE5ELNS1_11target_archE942ELNS1_3gpuE9ELNS1_3repE0EEENS1_30default_config_static_selectorELNS0_4arch9wavefront6targetE0EEEvS11_.kd
    .uniform_work_group_size: 1
    .uses_dynamic_stack: false
    .vgpr_count:     0
    .vgpr_spill_count: 0
    .wavefront_size: 32
    .workgroup_processor_mode: 1
  - .args:
      - .offset:         0
        .size:           64
        .value_kind:     by_value
    .group_segment_fixed_size: 0
    .kernarg_segment_align: 8
    .kernarg_segment_size: 64
    .language:       OpenCL C
    .language_version:
      - 2
      - 0
    .max_flat_workgroup_size: 256
    .name:           _ZN7rocprim17ROCPRIM_400000_NS6detail17trampoline_kernelINS0_14default_configENS1_21merge_config_selectorINS0_5tupleIJiiEEENS0_10empty_typeEEEZNS1_10merge_implIS3_NS0_12zip_iteratorINS5_IJN6thrust23THRUST_200600_302600_NS6detail15normal_iteratorINSC_10device_ptrIKiEEEESI_EEEEESK_NSA_INS5_IJNSC_16discard_iteratorINSC_11use_defaultEEESN_EEEEEPS7_SQ_SQ_NSC_11hip_rocprim7__merge17predicate_wrapperIiiNSC_4lessIiEEEEEE10hipError_tPvRmT0_T1_T2_T3_T4_T5_mmT6_P12ihipStream_tbEUlT_E_NS1_11comp_targetILNS1_3genE4ELNS1_11target_archE910ELNS1_3gpuE8ELNS1_3repE0EEENS1_30default_config_static_selectorELNS0_4arch9wavefront6targetE0EEEvS11_
    .private_segment_fixed_size: 0
    .sgpr_count:     0
    .sgpr_spill_count: 0
    .symbol:         _ZN7rocprim17ROCPRIM_400000_NS6detail17trampoline_kernelINS0_14default_configENS1_21merge_config_selectorINS0_5tupleIJiiEEENS0_10empty_typeEEEZNS1_10merge_implIS3_NS0_12zip_iteratorINS5_IJN6thrust23THRUST_200600_302600_NS6detail15normal_iteratorINSC_10device_ptrIKiEEEESI_EEEEESK_NSA_INS5_IJNSC_16discard_iteratorINSC_11use_defaultEEESN_EEEEEPS7_SQ_SQ_NSC_11hip_rocprim7__merge17predicate_wrapperIiiNSC_4lessIiEEEEEE10hipError_tPvRmT0_T1_T2_T3_T4_T5_mmT6_P12ihipStream_tbEUlT_E_NS1_11comp_targetILNS1_3genE4ELNS1_11target_archE910ELNS1_3gpuE8ELNS1_3repE0EEENS1_30default_config_static_selectorELNS0_4arch9wavefront6targetE0EEEvS11_.kd
    .uniform_work_group_size: 1
    .uses_dynamic_stack: false
    .vgpr_count:     0
    .vgpr_spill_count: 0
    .wavefront_size: 32
    .workgroup_processor_mode: 1
  - .args:
      - .offset:         0
        .size:           64
        .value_kind:     by_value
    .group_segment_fixed_size: 0
    .kernarg_segment_align: 8
    .kernarg_segment_size: 64
    .language:       OpenCL C
    .language_version:
      - 2
      - 0
    .max_flat_workgroup_size: 256
    .name:           _ZN7rocprim17ROCPRIM_400000_NS6detail17trampoline_kernelINS0_14default_configENS1_21merge_config_selectorINS0_5tupleIJiiEEENS0_10empty_typeEEEZNS1_10merge_implIS3_NS0_12zip_iteratorINS5_IJN6thrust23THRUST_200600_302600_NS6detail15normal_iteratorINSC_10device_ptrIKiEEEESI_EEEEESK_NSA_INS5_IJNSC_16discard_iteratorINSC_11use_defaultEEESN_EEEEEPS7_SQ_SQ_NSC_11hip_rocprim7__merge17predicate_wrapperIiiNSC_4lessIiEEEEEE10hipError_tPvRmT0_T1_T2_T3_T4_T5_mmT6_P12ihipStream_tbEUlT_E_NS1_11comp_targetILNS1_3genE3ELNS1_11target_archE908ELNS1_3gpuE7ELNS1_3repE0EEENS1_30default_config_static_selectorELNS0_4arch9wavefront6targetE0EEEvS11_
    .private_segment_fixed_size: 0
    .sgpr_count:     0
    .sgpr_spill_count: 0
    .symbol:         _ZN7rocprim17ROCPRIM_400000_NS6detail17trampoline_kernelINS0_14default_configENS1_21merge_config_selectorINS0_5tupleIJiiEEENS0_10empty_typeEEEZNS1_10merge_implIS3_NS0_12zip_iteratorINS5_IJN6thrust23THRUST_200600_302600_NS6detail15normal_iteratorINSC_10device_ptrIKiEEEESI_EEEEESK_NSA_INS5_IJNSC_16discard_iteratorINSC_11use_defaultEEESN_EEEEEPS7_SQ_SQ_NSC_11hip_rocprim7__merge17predicate_wrapperIiiNSC_4lessIiEEEEEE10hipError_tPvRmT0_T1_T2_T3_T4_T5_mmT6_P12ihipStream_tbEUlT_E_NS1_11comp_targetILNS1_3genE3ELNS1_11target_archE908ELNS1_3gpuE7ELNS1_3repE0EEENS1_30default_config_static_selectorELNS0_4arch9wavefront6targetE0EEEvS11_.kd
    .uniform_work_group_size: 1
    .uses_dynamic_stack: false
    .vgpr_count:     0
    .vgpr_spill_count: 0
    .wavefront_size: 32
    .workgroup_processor_mode: 1
  - .args:
      - .offset:         0
        .size:           64
        .value_kind:     by_value
    .group_segment_fixed_size: 0
    .kernarg_segment_align: 8
    .kernarg_segment_size: 64
    .language:       OpenCL C
    .language_version:
      - 2
      - 0
    .max_flat_workgroup_size: 256
    .name:           _ZN7rocprim17ROCPRIM_400000_NS6detail17trampoline_kernelINS0_14default_configENS1_21merge_config_selectorINS0_5tupleIJiiEEENS0_10empty_typeEEEZNS1_10merge_implIS3_NS0_12zip_iteratorINS5_IJN6thrust23THRUST_200600_302600_NS6detail15normal_iteratorINSC_10device_ptrIKiEEEESI_EEEEESK_NSA_INS5_IJNSC_16discard_iteratorINSC_11use_defaultEEESN_EEEEEPS7_SQ_SQ_NSC_11hip_rocprim7__merge17predicate_wrapperIiiNSC_4lessIiEEEEEE10hipError_tPvRmT0_T1_T2_T3_T4_T5_mmT6_P12ihipStream_tbEUlT_E_NS1_11comp_targetILNS1_3genE2ELNS1_11target_archE906ELNS1_3gpuE6ELNS1_3repE0EEENS1_30default_config_static_selectorELNS0_4arch9wavefront6targetE0EEEvS11_
    .private_segment_fixed_size: 0
    .sgpr_count:     0
    .sgpr_spill_count: 0
    .symbol:         _ZN7rocprim17ROCPRIM_400000_NS6detail17trampoline_kernelINS0_14default_configENS1_21merge_config_selectorINS0_5tupleIJiiEEENS0_10empty_typeEEEZNS1_10merge_implIS3_NS0_12zip_iteratorINS5_IJN6thrust23THRUST_200600_302600_NS6detail15normal_iteratorINSC_10device_ptrIKiEEEESI_EEEEESK_NSA_INS5_IJNSC_16discard_iteratorINSC_11use_defaultEEESN_EEEEEPS7_SQ_SQ_NSC_11hip_rocprim7__merge17predicate_wrapperIiiNSC_4lessIiEEEEEE10hipError_tPvRmT0_T1_T2_T3_T4_T5_mmT6_P12ihipStream_tbEUlT_E_NS1_11comp_targetILNS1_3genE2ELNS1_11target_archE906ELNS1_3gpuE6ELNS1_3repE0EEENS1_30default_config_static_selectorELNS0_4arch9wavefront6targetE0EEEvS11_.kd
    .uniform_work_group_size: 1
    .uses_dynamic_stack: false
    .vgpr_count:     0
    .vgpr_spill_count: 0
    .wavefront_size: 32
    .workgroup_processor_mode: 1
  - .args:
      - .offset:         0
        .size:           64
        .value_kind:     by_value
    .group_segment_fixed_size: 0
    .kernarg_segment_align: 8
    .kernarg_segment_size: 64
    .language:       OpenCL C
    .language_version:
      - 2
      - 0
    .max_flat_workgroup_size: 512
    .name:           _ZN7rocprim17ROCPRIM_400000_NS6detail17trampoline_kernelINS0_14default_configENS1_21merge_config_selectorINS0_5tupleIJiiEEENS0_10empty_typeEEEZNS1_10merge_implIS3_NS0_12zip_iteratorINS5_IJN6thrust23THRUST_200600_302600_NS6detail15normal_iteratorINSC_10device_ptrIKiEEEESI_EEEEESK_NSA_INS5_IJNSC_16discard_iteratorINSC_11use_defaultEEESN_EEEEEPS7_SQ_SQ_NSC_11hip_rocprim7__merge17predicate_wrapperIiiNSC_4lessIiEEEEEE10hipError_tPvRmT0_T1_T2_T3_T4_T5_mmT6_P12ihipStream_tbEUlT_E_NS1_11comp_targetILNS1_3genE10ELNS1_11target_archE1201ELNS1_3gpuE5ELNS1_3repE0EEENS1_30default_config_static_selectorELNS0_4arch9wavefront6targetE0EEEvS11_
    .private_segment_fixed_size: 0
    .sgpr_count:     0
    .sgpr_spill_count: 0
    .symbol:         _ZN7rocprim17ROCPRIM_400000_NS6detail17trampoline_kernelINS0_14default_configENS1_21merge_config_selectorINS0_5tupleIJiiEEENS0_10empty_typeEEEZNS1_10merge_implIS3_NS0_12zip_iteratorINS5_IJN6thrust23THRUST_200600_302600_NS6detail15normal_iteratorINSC_10device_ptrIKiEEEESI_EEEEESK_NSA_INS5_IJNSC_16discard_iteratorINSC_11use_defaultEEESN_EEEEEPS7_SQ_SQ_NSC_11hip_rocprim7__merge17predicate_wrapperIiiNSC_4lessIiEEEEEE10hipError_tPvRmT0_T1_T2_T3_T4_T5_mmT6_P12ihipStream_tbEUlT_E_NS1_11comp_targetILNS1_3genE10ELNS1_11target_archE1201ELNS1_3gpuE5ELNS1_3repE0EEENS1_30default_config_static_selectorELNS0_4arch9wavefront6targetE0EEEvS11_.kd
    .uniform_work_group_size: 1
    .uses_dynamic_stack: false
    .vgpr_count:     0
    .vgpr_spill_count: 0
    .wavefront_size: 32
    .workgroup_processor_mode: 1
  - .args:
      - .offset:         0
        .size:           64
        .value_kind:     by_value
    .group_segment_fixed_size: 0
    .kernarg_segment_align: 8
    .kernarg_segment_size: 64
    .language:       OpenCL C
    .language_version:
      - 2
      - 0
    .max_flat_workgroup_size: 1024
    .name:           _ZN7rocprim17ROCPRIM_400000_NS6detail17trampoline_kernelINS0_14default_configENS1_21merge_config_selectorINS0_5tupleIJiiEEENS0_10empty_typeEEEZNS1_10merge_implIS3_NS0_12zip_iteratorINS5_IJN6thrust23THRUST_200600_302600_NS6detail15normal_iteratorINSC_10device_ptrIKiEEEESI_EEEEESK_NSA_INS5_IJNSC_16discard_iteratorINSC_11use_defaultEEESN_EEEEEPS7_SQ_SQ_NSC_11hip_rocprim7__merge17predicate_wrapperIiiNSC_4lessIiEEEEEE10hipError_tPvRmT0_T1_T2_T3_T4_T5_mmT6_P12ihipStream_tbEUlT_E_NS1_11comp_targetILNS1_3genE10ELNS1_11target_archE1200ELNS1_3gpuE4ELNS1_3repE0EEENS1_30default_config_static_selectorELNS0_4arch9wavefront6targetE0EEEvS11_
    .private_segment_fixed_size: 0
    .sgpr_count:     0
    .sgpr_spill_count: 0
    .symbol:         _ZN7rocprim17ROCPRIM_400000_NS6detail17trampoline_kernelINS0_14default_configENS1_21merge_config_selectorINS0_5tupleIJiiEEENS0_10empty_typeEEEZNS1_10merge_implIS3_NS0_12zip_iteratorINS5_IJN6thrust23THRUST_200600_302600_NS6detail15normal_iteratorINSC_10device_ptrIKiEEEESI_EEEEESK_NSA_INS5_IJNSC_16discard_iteratorINSC_11use_defaultEEESN_EEEEEPS7_SQ_SQ_NSC_11hip_rocprim7__merge17predicate_wrapperIiiNSC_4lessIiEEEEEE10hipError_tPvRmT0_T1_T2_T3_T4_T5_mmT6_P12ihipStream_tbEUlT_E_NS1_11comp_targetILNS1_3genE10ELNS1_11target_archE1200ELNS1_3gpuE4ELNS1_3repE0EEENS1_30default_config_static_selectorELNS0_4arch9wavefront6targetE0EEEvS11_.kd
    .uniform_work_group_size: 1
    .uses_dynamic_stack: false
    .vgpr_count:     0
    .vgpr_spill_count: 0
    .wavefront_size: 32
    .workgroup_processor_mode: 1
  - .args:
      - .offset:         0
        .size:           64
        .value_kind:     by_value
    .group_segment_fixed_size: 0
    .kernarg_segment_align: 8
    .kernarg_segment_size: 64
    .language:       OpenCL C
    .language_version:
      - 2
      - 0
    .max_flat_workgroup_size: 1024
    .name:           _ZN7rocprim17ROCPRIM_400000_NS6detail17trampoline_kernelINS0_14default_configENS1_21merge_config_selectorINS0_5tupleIJiiEEENS0_10empty_typeEEEZNS1_10merge_implIS3_NS0_12zip_iteratorINS5_IJN6thrust23THRUST_200600_302600_NS6detail15normal_iteratorINSC_10device_ptrIKiEEEESI_EEEEESK_NSA_INS5_IJNSC_16discard_iteratorINSC_11use_defaultEEESN_EEEEEPS7_SQ_SQ_NSC_11hip_rocprim7__merge17predicate_wrapperIiiNSC_4lessIiEEEEEE10hipError_tPvRmT0_T1_T2_T3_T4_T5_mmT6_P12ihipStream_tbEUlT_E_NS1_11comp_targetILNS1_3genE9ELNS1_11target_archE1100ELNS1_3gpuE3ELNS1_3repE0EEENS1_30default_config_static_selectorELNS0_4arch9wavefront6targetE0EEEvS11_
    .private_segment_fixed_size: 0
    .sgpr_count:     0
    .sgpr_spill_count: 0
    .symbol:         _ZN7rocprim17ROCPRIM_400000_NS6detail17trampoline_kernelINS0_14default_configENS1_21merge_config_selectorINS0_5tupleIJiiEEENS0_10empty_typeEEEZNS1_10merge_implIS3_NS0_12zip_iteratorINS5_IJN6thrust23THRUST_200600_302600_NS6detail15normal_iteratorINSC_10device_ptrIKiEEEESI_EEEEESK_NSA_INS5_IJNSC_16discard_iteratorINSC_11use_defaultEEESN_EEEEEPS7_SQ_SQ_NSC_11hip_rocprim7__merge17predicate_wrapperIiiNSC_4lessIiEEEEEE10hipError_tPvRmT0_T1_T2_T3_T4_T5_mmT6_P12ihipStream_tbEUlT_E_NS1_11comp_targetILNS1_3genE9ELNS1_11target_archE1100ELNS1_3gpuE3ELNS1_3repE0EEENS1_30default_config_static_selectorELNS0_4arch9wavefront6targetE0EEEvS11_.kd
    .uniform_work_group_size: 1
    .uses_dynamic_stack: false
    .vgpr_count:     0
    .vgpr_spill_count: 0
    .wavefront_size: 32
    .workgroup_processor_mode: 1
  - .args:
      - .offset:         0
        .size:           64
        .value_kind:     by_value
      - .offset:         64
        .size:           4
        .value_kind:     hidden_block_count_x
      - .offset:         68
        .size:           4
        .value_kind:     hidden_block_count_y
      - .offset:         72
        .size:           4
        .value_kind:     hidden_block_count_z
      - .offset:         76
        .size:           2
        .value_kind:     hidden_group_size_x
      - .offset:         78
        .size:           2
        .value_kind:     hidden_group_size_y
      - .offset:         80
        .size:           2
        .value_kind:     hidden_group_size_z
      - .offset:         82
        .size:           2
        .value_kind:     hidden_remainder_x
      - .offset:         84
        .size:           2
        .value_kind:     hidden_remainder_y
      - .offset:         86
        .size:           2
        .value_kind:     hidden_remainder_z
      - .offset:         104
        .size:           8
        .value_kind:     hidden_global_offset_x
      - .offset:         112
        .size:           8
        .value_kind:     hidden_global_offset_y
      - .offset:         120
        .size:           8
        .value_kind:     hidden_global_offset_z
      - .offset:         128
        .size:           2
        .value_kind:     hidden_grid_dims
    .group_segment_fixed_size: 0
    .kernarg_segment_align: 8
    .kernarg_segment_size: 320
    .language:       OpenCL C
    .language_version:
      - 2
      - 0
    .max_flat_workgroup_size: 256
    .name:           _ZN7rocprim17ROCPRIM_400000_NS6detail17trampoline_kernelINS0_14default_configENS1_21merge_config_selectorINS0_5tupleIJiiEEENS0_10empty_typeEEEZNS1_10merge_implIS3_NS0_12zip_iteratorINS5_IJN6thrust23THRUST_200600_302600_NS6detail15normal_iteratorINSC_10device_ptrIKiEEEESI_EEEEESK_NSA_INS5_IJNSC_16discard_iteratorINSC_11use_defaultEEESN_EEEEEPS7_SQ_SQ_NSC_11hip_rocprim7__merge17predicate_wrapperIiiNSC_4lessIiEEEEEE10hipError_tPvRmT0_T1_T2_T3_T4_T5_mmT6_P12ihipStream_tbEUlT_E_NS1_11comp_targetILNS1_3genE8ELNS1_11target_archE1030ELNS1_3gpuE2ELNS1_3repE0EEENS1_30default_config_static_selectorELNS0_4arch9wavefront6targetE0EEEvS11_
    .private_segment_fixed_size: 0
    .sgpr_count:     18
    .sgpr_spill_count: 0
    .symbol:         _ZN7rocprim17ROCPRIM_400000_NS6detail17trampoline_kernelINS0_14default_configENS1_21merge_config_selectorINS0_5tupleIJiiEEENS0_10empty_typeEEEZNS1_10merge_implIS3_NS0_12zip_iteratorINS5_IJN6thrust23THRUST_200600_302600_NS6detail15normal_iteratorINSC_10device_ptrIKiEEEESI_EEEEESK_NSA_INS5_IJNSC_16discard_iteratorINSC_11use_defaultEEESN_EEEEEPS7_SQ_SQ_NSC_11hip_rocprim7__merge17predicate_wrapperIiiNSC_4lessIiEEEEEE10hipError_tPvRmT0_T1_T2_T3_T4_T5_mmT6_P12ihipStream_tbEUlT_E_NS1_11comp_targetILNS1_3genE8ELNS1_11target_archE1030ELNS1_3gpuE2ELNS1_3repE0EEENS1_30default_config_static_selectorELNS0_4arch9wavefront6targetE0EEEvS11_.kd
    .uniform_work_group_size: 1
    .uses_dynamic_stack: false
    .vgpr_count:     13
    .vgpr_spill_count: 0
    .wavefront_size: 32
    .workgroup_processor_mode: 1
  - .args:
      - .offset:         0
        .size:           128
        .value_kind:     by_value
    .group_segment_fixed_size: 0
    .kernarg_segment_align: 8
    .kernarg_segment_size: 128
    .language:       OpenCL C
    .language_version:
      - 2
      - 0
    .max_flat_workgroup_size: 256
    .name:           _ZN7rocprim17ROCPRIM_400000_NS6detail17trampoline_kernelINS0_14default_configENS1_21merge_config_selectorINS0_5tupleIJiiEEENS0_10empty_typeEEEZNS1_10merge_implIS3_NS0_12zip_iteratorINS5_IJN6thrust23THRUST_200600_302600_NS6detail15normal_iteratorINSC_10device_ptrIKiEEEESI_EEEEESK_NSA_INS5_IJNSC_16discard_iteratorINSC_11use_defaultEEESN_EEEEEPS7_SQ_SQ_NSC_11hip_rocprim7__merge17predicate_wrapperIiiNSC_4lessIiEEEEEE10hipError_tPvRmT0_T1_T2_T3_T4_T5_mmT6_P12ihipStream_tbEUlT_E0_NS1_11comp_targetILNS1_3genE0ELNS1_11target_archE4294967295ELNS1_3gpuE0ELNS1_3repE0EEENS1_30default_config_static_selectorELNS0_4arch9wavefront6targetE0EEEvS11_
    .private_segment_fixed_size: 0
    .sgpr_count:     0
    .sgpr_spill_count: 0
    .symbol:         _ZN7rocprim17ROCPRIM_400000_NS6detail17trampoline_kernelINS0_14default_configENS1_21merge_config_selectorINS0_5tupleIJiiEEENS0_10empty_typeEEEZNS1_10merge_implIS3_NS0_12zip_iteratorINS5_IJN6thrust23THRUST_200600_302600_NS6detail15normal_iteratorINSC_10device_ptrIKiEEEESI_EEEEESK_NSA_INS5_IJNSC_16discard_iteratorINSC_11use_defaultEEESN_EEEEEPS7_SQ_SQ_NSC_11hip_rocprim7__merge17predicate_wrapperIiiNSC_4lessIiEEEEEE10hipError_tPvRmT0_T1_T2_T3_T4_T5_mmT6_P12ihipStream_tbEUlT_E0_NS1_11comp_targetILNS1_3genE0ELNS1_11target_archE4294967295ELNS1_3gpuE0ELNS1_3repE0EEENS1_30default_config_static_selectorELNS0_4arch9wavefront6targetE0EEEvS11_.kd
    .uniform_work_group_size: 1
    .uses_dynamic_stack: false
    .vgpr_count:     0
    .vgpr_spill_count: 0
    .wavefront_size: 32
    .workgroup_processor_mode: 1
  - .args:
      - .offset:         0
        .size:           128
        .value_kind:     by_value
    .group_segment_fixed_size: 0
    .kernarg_segment_align: 8
    .kernarg_segment_size: 128
    .language:       OpenCL C
    .language_version:
      - 2
      - 0
    .max_flat_workgroup_size: 256
    .name:           _ZN7rocprim17ROCPRIM_400000_NS6detail17trampoline_kernelINS0_14default_configENS1_21merge_config_selectorINS0_5tupleIJiiEEENS0_10empty_typeEEEZNS1_10merge_implIS3_NS0_12zip_iteratorINS5_IJN6thrust23THRUST_200600_302600_NS6detail15normal_iteratorINSC_10device_ptrIKiEEEESI_EEEEESK_NSA_INS5_IJNSC_16discard_iteratorINSC_11use_defaultEEESN_EEEEEPS7_SQ_SQ_NSC_11hip_rocprim7__merge17predicate_wrapperIiiNSC_4lessIiEEEEEE10hipError_tPvRmT0_T1_T2_T3_T4_T5_mmT6_P12ihipStream_tbEUlT_E0_NS1_11comp_targetILNS1_3genE5ELNS1_11target_archE942ELNS1_3gpuE9ELNS1_3repE0EEENS1_30default_config_static_selectorELNS0_4arch9wavefront6targetE0EEEvS11_
    .private_segment_fixed_size: 0
    .sgpr_count:     0
    .sgpr_spill_count: 0
    .symbol:         _ZN7rocprim17ROCPRIM_400000_NS6detail17trampoline_kernelINS0_14default_configENS1_21merge_config_selectorINS0_5tupleIJiiEEENS0_10empty_typeEEEZNS1_10merge_implIS3_NS0_12zip_iteratorINS5_IJN6thrust23THRUST_200600_302600_NS6detail15normal_iteratorINSC_10device_ptrIKiEEEESI_EEEEESK_NSA_INS5_IJNSC_16discard_iteratorINSC_11use_defaultEEESN_EEEEEPS7_SQ_SQ_NSC_11hip_rocprim7__merge17predicate_wrapperIiiNSC_4lessIiEEEEEE10hipError_tPvRmT0_T1_T2_T3_T4_T5_mmT6_P12ihipStream_tbEUlT_E0_NS1_11comp_targetILNS1_3genE5ELNS1_11target_archE942ELNS1_3gpuE9ELNS1_3repE0EEENS1_30default_config_static_selectorELNS0_4arch9wavefront6targetE0EEEvS11_.kd
    .uniform_work_group_size: 1
    .uses_dynamic_stack: false
    .vgpr_count:     0
    .vgpr_spill_count: 0
    .wavefront_size: 32
    .workgroup_processor_mode: 1
  - .args:
      - .offset:         0
        .size:           128
        .value_kind:     by_value
    .group_segment_fixed_size: 0
    .kernarg_segment_align: 8
    .kernarg_segment_size: 128
    .language:       OpenCL C
    .language_version:
      - 2
      - 0
    .max_flat_workgroup_size: 256
    .name:           _ZN7rocprim17ROCPRIM_400000_NS6detail17trampoline_kernelINS0_14default_configENS1_21merge_config_selectorINS0_5tupleIJiiEEENS0_10empty_typeEEEZNS1_10merge_implIS3_NS0_12zip_iteratorINS5_IJN6thrust23THRUST_200600_302600_NS6detail15normal_iteratorINSC_10device_ptrIKiEEEESI_EEEEESK_NSA_INS5_IJNSC_16discard_iteratorINSC_11use_defaultEEESN_EEEEEPS7_SQ_SQ_NSC_11hip_rocprim7__merge17predicate_wrapperIiiNSC_4lessIiEEEEEE10hipError_tPvRmT0_T1_T2_T3_T4_T5_mmT6_P12ihipStream_tbEUlT_E0_NS1_11comp_targetILNS1_3genE4ELNS1_11target_archE910ELNS1_3gpuE8ELNS1_3repE0EEENS1_30default_config_static_selectorELNS0_4arch9wavefront6targetE0EEEvS11_
    .private_segment_fixed_size: 0
    .sgpr_count:     0
    .sgpr_spill_count: 0
    .symbol:         _ZN7rocprim17ROCPRIM_400000_NS6detail17trampoline_kernelINS0_14default_configENS1_21merge_config_selectorINS0_5tupleIJiiEEENS0_10empty_typeEEEZNS1_10merge_implIS3_NS0_12zip_iteratorINS5_IJN6thrust23THRUST_200600_302600_NS6detail15normal_iteratorINSC_10device_ptrIKiEEEESI_EEEEESK_NSA_INS5_IJNSC_16discard_iteratorINSC_11use_defaultEEESN_EEEEEPS7_SQ_SQ_NSC_11hip_rocprim7__merge17predicate_wrapperIiiNSC_4lessIiEEEEEE10hipError_tPvRmT0_T1_T2_T3_T4_T5_mmT6_P12ihipStream_tbEUlT_E0_NS1_11comp_targetILNS1_3genE4ELNS1_11target_archE910ELNS1_3gpuE8ELNS1_3repE0EEENS1_30default_config_static_selectorELNS0_4arch9wavefront6targetE0EEEvS11_.kd
    .uniform_work_group_size: 1
    .uses_dynamic_stack: false
    .vgpr_count:     0
    .vgpr_spill_count: 0
    .wavefront_size: 32
    .workgroup_processor_mode: 1
  - .args:
      - .offset:         0
        .size:           128
        .value_kind:     by_value
    .group_segment_fixed_size: 0
    .kernarg_segment_align: 8
    .kernarg_segment_size: 128
    .language:       OpenCL C
    .language_version:
      - 2
      - 0
    .max_flat_workgroup_size: 256
    .name:           _ZN7rocprim17ROCPRIM_400000_NS6detail17trampoline_kernelINS0_14default_configENS1_21merge_config_selectorINS0_5tupleIJiiEEENS0_10empty_typeEEEZNS1_10merge_implIS3_NS0_12zip_iteratorINS5_IJN6thrust23THRUST_200600_302600_NS6detail15normal_iteratorINSC_10device_ptrIKiEEEESI_EEEEESK_NSA_INS5_IJNSC_16discard_iteratorINSC_11use_defaultEEESN_EEEEEPS7_SQ_SQ_NSC_11hip_rocprim7__merge17predicate_wrapperIiiNSC_4lessIiEEEEEE10hipError_tPvRmT0_T1_T2_T3_T4_T5_mmT6_P12ihipStream_tbEUlT_E0_NS1_11comp_targetILNS1_3genE3ELNS1_11target_archE908ELNS1_3gpuE7ELNS1_3repE0EEENS1_30default_config_static_selectorELNS0_4arch9wavefront6targetE0EEEvS11_
    .private_segment_fixed_size: 0
    .sgpr_count:     0
    .sgpr_spill_count: 0
    .symbol:         _ZN7rocprim17ROCPRIM_400000_NS6detail17trampoline_kernelINS0_14default_configENS1_21merge_config_selectorINS0_5tupleIJiiEEENS0_10empty_typeEEEZNS1_10merge_implIS3_NS0_12zip_iteratorINS5_IJN6thrust23THRUST_200600_302600_NS6detail15normal_iteratorINSC_10device_ptrIKiEEEESI_EEEEESK_NSA_INS5_IJNSC_16discard_iteratorINSC_11use_defaultEEESN_EEEEEPS7_SQ_SQ_NSC_11hip_rocprim7__merge17predicate_wrapperIiiNSC_4lessIiEEEEEE10hipError_tPvRmT0_T1_T2_T3_T4_T5_mmT6_P12ihipStream_tbEUlT_E0_NS1_11comp_targetILNS1_3genE3ELNS1_11target_archE908ELNS1_3gpuE7ELNS1_3repE0EEENS1_30default_config_static_selectorELNS0_4arch9wavefront6targetE0EEEvS11_.kd
    .uniform_work_group_size: 1
    .uses_dynamic_stack: false
    .vgpr_count:     0
    .vgpr_spill_count: 0
    .wavefront_size: 32
    .workgroup_processor_mode: 1
  - .args:
      - .offset:         0
        .size:           128
        .value_kind:     by_value
    .group_segment_fixed_size: 0
    .kernarg_segment_align: 8
    .kernarg_segment_size: 128
    .language:       OpenCL C
    .language_version:
      - 2
      - 0
    .max_flat_workgroup_size: 256
    .name:           _ZN7rocprim17ROCPRIM_400000_NS6detail17trampoline_kernelINS0_14default_configENS1_21merge_config_selectorINS0_5tupleIJiiEEENS0_10empty_typeEEEZNS1_10merge_implIS3_NS0_12zip_iteratorINS5_IJN6thrust23THRUST_200600_302600_NS6detail15normal_iteratorINSC_10device_ptrIKiEEEESI_EEEEESK_NSA_INS5_IJNSC_16discard_iteratorINSC_11use_defaultEEESN_EEEEEPS7_SQ_SQ_NSC_11hip_rocprim7__merge17predicate_wrapperIiiNSC_4lessIiEEEEEE10hipError_tPvRmT0_T1_T2_T3_T4_T5_mmT6_P12ihipStream_tbEUlT_E0_NS1_11comp_targetILNS1_3genE2ELNS1_11target_archE906ELNS1_3gpuE6ELNS1_3repE0EEENS1_30default_config_static_selectorELNS0_4arch9wavefront6targetE0EEEvS11_
    .private_segment_fixed_size: 0
    .sgpr_count:     0
    .sgpr_spill_count: 0
    .symbol:         _ZN7rocprim17ROCPRIM_400000_NS6detail17trampoline_kernelINS0_14default_configENS1_21merge_config_selectorINS0_5tupleIJiiEEENS0_10empty_typeEEEZNS1_10merge_implIS3_NS0_12zip_iteratorINS5_IJN6thrust23THRUST_200600_302600_NS6detail15normal_iteratorINSC_10device_ptrIKiEEEESI_EEEEESK_NSA_INS5_IJNSC_16discard_iteratorINSC_11use_defaultEEESN_EEEEEPS7_SQ_SQ_NSC_11hip_rocprim7__merge17predicate_wrapperIiiNSC_4lessIiEEEEEE10hipError_tPvRmT0_T1_T2_T3_T4_T5_mmT6_P12ihipStream_tbEUlT_E0_NS1_11comp_targetILNS1_3genE2ELNS1_11target_archE906ELNS1_3gpuE6ELNS1_3repE0EEENS1_30default_config_static_selectorELNS0_4arch9wavefront6targetE0EEEvS11_.kd
    .uniform_work_group_size: 1
    .uses_dynamic_stack: false
    .vgpr_count:     0
    .vgpr_spill_count: 0
    .wavefront_size: 32
    .workgroup_processor_mode: 1
  - .args:
      - .offset:         0
        .size:           128
        .value_kind:     by_value
    .group_segment_fixed_size: 0
    .kernarg_segment_align: 8
    .kernarg_segment_size: 128
    .language:       OpenCL C
    .language_version:
      - 2
      - 0
    .max_flat_workgroup_size: 512
    .name:           _ZN7rocprim17ROCPRIM_400000_NS6detail17trampoline_kernelINS0_14default_configENS1_21merge_config_selectorINS0_5tupleIJiiEEENS0_10empty_typeEEEZNS1_10merge_implIS3_NS0_12zip_iteratorINS5_IJN6thrust23THRUST_200600_302600_NS6detail15normal_iteratorINSC_10device_ptrIKiEEEESI_EEEEESK_NSA_INS5_IJNSC_16discard_iteratorINSC_11use_defaultEEESN_EEEEEPS7_SQ_SQ_NSC_11hip_rocprim7__merge17predicate_wrapperIiiNSC_4lessIiEEEEEE10hipError_tPvRmT0_T1_T2_T3_T4_T5_mmT6_P12ihipStream_tbEUlT_E0_NS1_11comp_targetILNS1_3genE10ELNS1_11target_archE1201ELNS1_3gpuE5ELNS1_3repE0EEENS1_30default_config_static_selectorELNS0_4arch9wavefront6targetE0EEEvS11_
    .private_segment_fixed_size: 0
    .sgpr_count:     0
    .sgpr_spill_count: 0
    .symbol:         _ZN7rocprim17ROCPRIM_400000_NS6detail17trampoline_kernelINS0_14default_configENS1_21merge_config_selectorINS0_5tupleIJiiEEENS0_10empty_typeEEEZNS1_10merge_implIS3_NS0_12zip_iteratorINS5_IJN6thrust23THRUST_200600_302600_NS6detail15normal_iteratorINSC_10device_ptrIKiEEEESI_EEEEESK_NSA_INS5_IJNSC_16discard_iteratorINSC_11use_defaultEEESN_EEEEEPS7_SQ_SQ_NSC_11hip_rocprim7__merge17predicate_wrapperIiiNSC_4lessIiEEEEEE10hipError_tPvRmT0_T1_T2_T3_T4_T5_mmT6_P12ihipStream_tbEUlT_E0_NS1_11comp_targetILNS1_3genE10ELNS1_11target_archE1201ELNS1_3gpuE5ELNS1_3repE0EEENS1_30default_config_static_selectorELNS0_4arch9wavefront6targetE0EEEvS11_.kd
    .uniform_work_group_size: 1
    .uses_dynamic_stack: false
    .vgpr_count:     0
    .vgpr_spill_count: 0
    .wavefront_size: 32
    .workgroup_processor_mode: 1
  - .args:
      - .offset:         0
        .size:           128
        .value_kind:     by_value
    .group_segment_fixed_size: 0
    .kernarg_segment_align: 8
    .kernarg_segment_size: 128
    .language:       OpenCL C
    .language_version:
      - 2
      - 0
    .max_flat_workgroup_size: 1024
    .name:           _ZN7rocprim17ROCPRIM_400000_NS6detail17trampoline_kernelINS0_14default_configENS1_21merge_config_selectorINS0_5tupleIJiiEEENS0_10empty_typeEEEZNS1_10merge_implIS3_NS0_12zip_iteratorINS5_IJN6thrust23THRUST_200600_302600_NS6detail15normal_iteratorINSC_10device_ptrIKiEEEESI_EEEEESK_NSA_INS5_IJNSC_16discard_iteratorINSC_11use_defaultEEESN_EEEEEPS7_SQ_SQ_NSC_11hip_rocprim7__merge17predicate_wrapperIiiNSC_4lessIiEEEEEE10hipError_tPvRmT0_T1_T2_T3_T4_T5_mmT6_P12ihipStream_tbEUlT_E0_NS1_11comp_targetILNS1_3genE10ELNS1_11target_archE1200ELNS1_3gpuE4ELNS1_3repE0EEENS1_30default_config_static_selectorELNS0_4arch9wavefront6targetE0EEEvS11_
    .private_segment_fixed_size: 0
    .sgpr_count:     0
    .sgpr_spill_count: 0
    .symbol:         _ZN7rocprim17ROCPRIM_400000_NS6detail17trampoline_kernelINS0_14default_configENS1_21merge_config_selectorINS0_5tupleIJiiEEENS0_10empty_typeEEEZNS1_10merge_implIS3_NS0_12zip_iteratorINS5_IJN6thrust23THRUST_200600_302600_NS6detail15normal_iteratorINSC_10device_ptrIKiEEEESI_EEEEESK_NSA_INS5_IJNSC_16discard_iteratorINSC_11use_defaultEEESN_EEEEEPS7_SQ_SQ_NSC_11hip_rocprim7__merge17predicate_wrapperIiiNSC_4lessIiEEEEEE10hipError_tPvRmT0_T1_T2_T3_T4_T5_mmT6_P12ihipStream_tbEUlT_E0_NS1_11comp_targetILNS1_3genE10ELNS1_11target_archE1200ELNS1_3gpuE4ELNS1_3repE0EEENS1_30default_config_static_selectorELNS0_4arch9wavefront6targetE0EEEvS11_.kd
    .uniform_work_group_size: 1
    .uses_dynamic_stack: false
    .vgpr_count:     0
    .vgpr_spill_count: 0
    .wavefront_size: 32
    .workgroup_processor_mode: 1
  - .args:
      - .offset:         0
        .size:           128
        .value_kind:     by_value
    .group_segment_fixed_size: 0
    .kernarg_segment_align: 8
    .kernarg_segment_size: 128
    .language:       OpenCL C
    .language_version:
      - 2
      - 0
    .max_flat_workgroup_size: 1024
    .name:           _ZN7rocprim17ROCPRIM_400000_NS6detail17trampoline_kernelINS0_14default_configENS1_21merge_config_selectorINS0_5tupleIJiiEEENS0_10empty_typeEEEZNS1_10merge_implIS3_NS0_12zip_iteratorINS5_IJN6thrust23THRUST_200600_302600_NS6detail15normal_iteratorINSC_10device_ptrIKiEEEESI_EEEEESK_NSA_INS5_IJNSC_16discard_iteratorINSC_11use_defaultEEESN_EEEEEPS7_SQ_SQ_NSC_11hip_rocprim7__merge17predicate_wrapperIiiNSC_4lessIiEEEEEE10hipError_tPvRmT0_T1_T2_T3_T4_T5_mmT6_P12ihipStream_tbEUlT_E0_NS1_11comp_targetILNS1_3genE9ELNS1_11target_archE1100ELNS1_3gpuE3ELNS1_3repE0EEENS1_30default_config_static_selectorELNS0_4arch9wavefront6targetE0EEEvS11_
    .private_segment_fixed_size: 0
    .sgpr_count:     0
    .sgpr_spill_count: 0
    .symbol:         _ZN7rocprim17ROCPRIM_400000_NS6detail17trampoline_kernelINS0_14default_configENS1_21merge_config_selectorINS0_5tupleIJiiEEENS0_10empty_typeEEEZNS1_10merge_implIS3_NS0_12zip_iteratorINS5_IJN6thrust23THRUST_200600_302600_NS6detail15normal_iteratorINSC_10device_ptrIKiEEEESI_EEEEESK_NSA_INS5_IJNSC_16discard_iteratorINSC_11use_defaultEEESN_EEEEEPS7_SQ_SQ_NSC_11hip_rocprim7__merge17predicate_wrapperIiiNSC_4lessIiEEEEEE10hipError_tPvRmT0_T1_T2_T3_T4_T5_mmT6_P12ihipStream_tbEUlT_E0_NS1_11comp_targetILNS1_3genE9ELNS1_11target_archE1100ELNS1_3gpuE3ELNS1_3repE0EEENS1_30default_config_static_selectorELNS0_4arch9wavefront6targetE0EEEvS11_.kd
    .uniform_work_group_size: 1
    .uses_dynamic_stack: false
    .vgpr_count:     0
    .vgpr_spill_count: 0
    .wavefront_size: 32
    .workgroup_processor_mode: 1
  - .args:
      - .offset:         0
        .size:           128
        .value_kind:     by_value
    .group_segment_fixed_size: 33792
    .kernarg_segment_align: 8
    .kernarg_segment_size: 128
    .language:       OpenCL C
    .language_version:
      - 2
      - 0
    .max_flat_workgroup_size: 256
    .name:           _ZN7rocprim17ROCPRIM_400000_NS6detail17trampoline_kernelINS0_14default_configENS1_21merge_config_selectorINS0_5tupleIJiiEEENS0_10empty_typeEEEZNS1_10merge_implIS3_NS0_12zip_iteratorINS5_IJN6thrust23THRUST_200600_302600_NS6detail15normal_iteratorINSC_10device_ptrIKiEEEESI_EEEEESK_NSA_INS5_IJNSC_16discard_iteratorINSC_11use_defaultEEESN_EEEEEPS7_SQ_SQ_NSC_11hip_rocprim7__merge17predicate_wrapperIiiNSC_4lessIiEEEEEE10hipError_tPvRmT0_T1_T2_T3_T4_T5_mmT6_P12ihipStream_tbEUlT_E0_NS1_11comp_targetILNS1_3genE8ELNS1_11target_archE1030ELNS1_3gpuE2ELNS1_3repE0EEENS1_30default_config_static_selectorELNS0_4arch9wavefront6targetE0EEEvS11_
    .private_segment_fixed_size: 0
    .sgpr_count:     26
    .sgpr_spill_count: 0
    .symbol:         _ZN7rocprim17ROCPRIM_400000_NS6detail17trampoline_kernelINS0_14default_configENS1_21merge_config_selectorINS0_5tupleIJiiEEENS0_10empty_typeEEEZNS1_10merge_implIS3_NS0_12zip_iteratorINS5_IJN6thrust23THRUST_200600_302600_NS6detail15normal_iteratorINSC_10device_ptrIKiEEEESI_EEEEESK_NSA_INS5_IJNSC_16discard_iteratorINSC_11use_defaultEEESN_EEEEEPS7_SQ_SQ_NSC_11hip_rocprim7__merge17predicate_wrapperIiiNSC_4lessIiEEEEEE10hipError_tPvRmT0_T1_T2_T3_T4_T5_mmT6_P12ihipStream_tbEUlT_E0_NS1_11comp_targetILNS1_3genE8ELNS1_11target_archE1030ELNS1_3gpuE2ELNS1_3repE0EEENS1_30default_config_static_selectorELNS0_4arch9wavefront6targetE0EEEvS11_.kd
    .uniform_work_group_size: 1
    .uses_dynamic_stack: false
    .vgpr_count:     54
    .vgpr_spill_count: 0
    .wavefront_size: 32
    .workgroup_processor_mode: 1
  - .args:
      - .offset:         0
        .size:           64
        .value_kind:     by_value
    .group_segment_fixed_size: 0
    .kernarg_segment_align: 8
    .kernarg_segment_size: 64
    .language:       OpenCL C
    .language_version:
      - 2
      - 0
    .max_flat_workgroup_size: 256
    .name:           _ZN7rocprim17ROCPRIM_400000_NS6detail17trampoline_kernelINS0_14default_configENS1_21merge_config_selectorINS0_5tupleIJssEEENS0_10empty_typeEEEZNS1_10merge_implIS3_NS0_12zip_iteratorINS5_IJN6thrust23THRUST_200600_302600_NS6detail15normal_iteratorINSC_10device_ptrIKsEEEESI_EEEEESK_NSA_INS5_IJNSC_16discard_iteratorINSC_11use_defaultEEESN_EEEEEPS7_SQ_SQ_NSC_11hip_rocprim7__merge17predicate_wrapperIssNSC_4lessIsEEEEEE10hipError_tPvRmT0_T1_T2_T3_T4_T5_mmT6_P12ihipStream_tbEUlT_E_NS1_11comp_targetILNS1_3genE0ELNS1_11target_archE4294967295ELNS1_3gpuE0ELNS1_3repE0EEENS1_30default_config_static_selectorELNS0_4arch9wavefront6targetE0EEEvS11_
    .private_segment_fixed_size: 0
    .sgpr_count:     0
    .sgpr_spill_count: 0
    .symbol:         _ZN7rocprim17ROCPRIM_400000_NS6detail17trampoline_kernelINS0_14default_configENS1_21merge_config_selectorINS0_5tupleIJssEEENS0_10empty_typeEEEZNS1_10merge_implIS3_NS0_12zip_iteratorINS5_IJN6thrust23THRUST_200600_302600_NS6detail15normal_iteratorINSC_10device_ptrIKsEEEESI_EEEEESK_NSA_INS5_IJNSC_16discard_iteratorINSC_11use_defaultEEESN_EEEEEPS7_SQ_SQ_NSC_11hip_rocprim7__merge17predicate_wrapperIssNSC_4lessIsEEEEEE10hipError_tPvRmT0_T1_T2_T3_T4_T5_mmT6_P12ihipStream_tbEUlT_E_NS1_11comp_targetILNS1_3genE0ELNS1_11target_archE4294967295ELNS1_3gpuE0ELNS1_3repE0EEENS1_30default_config_static_selectorELNS0_4arch9wavefront6targetE0EEEvS11_.kd
    .uniform_work_group_size: 1
    .uses_dynamic_stack: false
    .vgpr_count:     0
    .vgpr_spill_count: 0
    .wavefront_size: 32
    .workgroup_processor_mode: 1
  - .args:
      - .offset:         0
        .size:           64
        .value_kind:     by_value
    .group_segment_fixed_size: 0
    .kernarg_segment_align: 8
    .kernarg_segment_size: 64
    .language:       OpenCL C
    .language_version:
      - 2
      - 0
    .max_flat_workgroup_size: 256
    .name:           _ZN7rocprim17ROCPRIM_400000_NS6detail17trampoline_kernelINS0_14default_configENS1_21merge_config_selectorINS0_5tupleIJssEEENS0_10empty_typeEEEZNS1_10merge_implIS3_NS0_12zip_iteratorINS5_IJN6thrust23THRUST_200600_302600_NS6detail15normal_iteratorINSC_10device_ptrIKsEEEESI_EEEEESK_NSA_INS5_IJNSC_16discard_iteratorINSC_11use_defaultEEESN_EEEEEPS7_SQ_SQ_NSC_11hip_rocprim7__merge17predicate_wrapperIssNSC_4lessIsEEEEEE10hipError_tPvRmT0_T1_T2_T3_T4_T5_mmT6_P12ihipStream_tbEUlT_E_NS1_11comp_targetILNS1_3genE5ELNS1_11target_archE942ELNS1_3gpuE9ELNS1_3repE0EEENS1_30default_config_static_selectorELNS0_4arch9wavefront6targetE0EEEvS11_
    .private_segment_fixed_size: 0
    .sgpr_count:     0
    .sgpr_spill_count: 0
    .symbol:         _ZN7rocprim17ROCPRIM_400000_NS6detail17trampoline_kernelINS0_14default_configENS1_21merge_config_selectorINS0_5tupleIJssEEENS0_10empty_typeEEEZNS1_10merge_implIS3_NS0_12zip_iteratorINS5_IJN6thrust23THRUST_200600_302600_NS6detail15normal_iteratorINSC_10device_ptrIKsEEEESI_EEEEESK_NSA_INS5_IJNSC_16discard_iteratorINSC_11use_defaultEEESN_EEEEEPS7_SQ_SQ_NSC_11hip_rocprim7__merge17predicate_wrapperIssNSC_4lessIsEEEEEE10hipError_tPvRmT0_T1_T2_T3_T4_T5_mmT6_P12ihipStream_tbEUlT_E_NS1_11comp_targetILNS1_3genE5ELNS1_11target_archE942ELNS1_3gpuE9ELNS1_3repE0EEENS1_30default_config_static_selectorELNS0_4arch9wavefront6targetE0EEEvS11_.kd
    .uniform_work_group_size: 1
    .uses_dynamic_stack: false
    .vgpr_count:     0
    .vgpr_spill_count: 0
    .wavefront_size: 32
    .workgroup_processor_mode: 1
  - .args:
      - .offset:         0
        .size:           64
        .value_kind:     by_value
    .group_segment_fixed_size: 0
    .kernarg_segment_align: 8
    .kernarg_segment_size: 64
    .language:       OpenCL C
    .language_version:
      - 2
      - 0
    .max_flat_workgroup_size: 256
    .name:           _ZN7rocprim17ROCPRIM_400000_NS6detail17trampoline_kernelINS0_14default_configENS1_21merge_config_selectorINS0_5tupleIJssEEENS0_10empty_typeEEEZNS1_10merge_implIS3_NS0_12zip_iteratorINS5_IJN6thrust23THRUST_200600_302600_NS6detail15normal_iteratorINSC_10device_ptrIKsEEEESI_EEEEESK_NSA_INS5_IJNSC_16discard_iteratorINSC_11use_defaultEEESN_EEEEEPS7_SQ_SQ_NSC_11hip_rocprim7__merge17predicate_wrapperIssNSC_4lessIsEEEEEE10hipError_tPvRmT0_T1_T2_T3_T4_T5_mmT6_P12ihipStream_tbEUlT_E_NS1_11comp_targetILNS1_3genE4ELNS1_11target_archE910ELNS1_3gpuE8ELNS1_3repE0EEENS1_30default_config_static_selectorELNS0_4arch9wavefront6targetE0EEEvS11_
    .private_segment_fixed_size: 0
    .sgpr_count:     0
    .sgpr_spill_count: 0
    .symbol:         _ZN7rocprim17ROCPRIM_400000_NS6detail17trampoline_kernelINS0_14default_configENS1_21merge_config_selectorINS0_5tupleIJssEEENS0_10empty_typeEEEZNS1_10merge_implIS3_NS0_12zip_iteratorINS5_IJN6thrust23THRUST_200600_302600_NS6detail15normal_iteratorINSC_10device_ptrIKsEEEESI_EEEEESK_NSA_INS5_IJNSC_16discard_iteratorINSC_11use_defaultEEESN_EEEEEPS7_SQ_SQ_NSC_11hip_rocprim7__merge17predicate_wrapperIssNSC_4lessIsEEEEEE10hipError_tPvRmT0_T1_T2_T3_T4_T5_mmT6_P12ihipStream_tbEUlT_E_NS1_11comp_targetILNS1_3genE4ELNS1_11target_archE910ELNS1_3gpuE8ELNS1_3repE0EEENS1_30default_config_static_selectorELNS0_4arch9wavefront6targetE0EEEvS11_.kd
    .uniform_work_group_size: 1
    .uses_dynamic_stack: false
    .vgpr_count:     0
    .vgpr_spill_count: 0
    .wavefront_size: 32
    .workgroup_processor_mode: 1
  - .args:
      - .offset:         0
        .size:           64
        .value_kind:     by_value
    .group_segment_fixed_size: 0
    .kernarg_segment_align: 8
    .kernarg_segment_size: 64
    .language:       OpenCL C
    .language_version:
      - 2
      - 0
    .max_flat_workgroup_size: 256
    .name:           _ZN7rocprim17ROCPRIM_400000_NS6detail17trampoline_kernelINS0_14default_configENS1_21merge_config_selectorINS0_5tupleIJssEEENS0_10empty_typeEEEZNS1_10merge_implIS3_NS0_12zip_iteratorINS5_IJN6thrust23THRUST_200600_302600_NS6detail15normal_iteratorINSC_10device_ptrIKsEEEESI_EEEEESK_NSA_INS5_IJNSC_16discard_iteratorINSC_11use_defaultEEESN_EEEEEPS7_SQ_SQ_NSC_11hip_rocprim7__merge17predicate_wrapperIssNSC_4lessIsEEEEEE10hipError_tPvRmT0_T1_T2_T3_T4_T5_mmT6_P12ihipStream_tbEUlT_E_NS1_11comp_targetILNS1_3genE3ELNS1_11target_archE908ELNS1_3gpuE7ELNS1_3repE0EEENS1_30default_config_static_selectorELNS0_4arch9wavefront6targetE0EEEvS11_
    .private_segment_fixed_size: 0
    .sgpr_count:     0
    .sgpr_spill_count: 0
    .symbol:         _ZN7rocprim17ROCPRIM_400000_NS6detail17trampoline_kernelINS0_14default_configENS1_21merge_config_selectorINS0_5tupleIJssEEENS0_10empty_typeEEEZNS1_10merge_implIS3_NS0_12zip_iteratorINS5_IJN6thrust23THRUST_200600_302600_NS6detail15normal_iteratorINSC_10device_ptrIKsEEEESI_EEEEESK_NSA_INS5_IJNSC_16discard_iteratorINSC_11use_defaultEEESN_EEEEEPS7_SQ_SQ_NSC_11hip_rocprim7__merge17predicate_wrapperIssNSC_4lessIsEEEEEE10hipError_tPvRmT0_T1_T2_T3_T4_T5_mmT6_P12ihipStream_tbEUlT_E_NS1_11comp_targetILNS1_3genE3ELNS1_11target_archE908ELNS1_3gpuE7ELNS1_3repE0EEENS1_30default_config_static_selectorELNS0_4arch9wavefront6targetE0EEEvS11_.kd
    .uniform_work_group_size: 1
    .uses_dynamic_stack: false
    .vgpr_count:     0
    .vgpr_spill_count: 0
    .wavefront_size: 32
    .workgroup_processor_mode: 1
  - .args:
      - .offset:         0
        .size:           64
        .value_kind:     by_value
    .group_segment_fixed_size: 0
    .kernarg_segment_align: 8
    .kernarg_segment_size: 64
    .language:       OpenCL C
    .language_version:
      - 2
      - 0
    .max_flat_workgroup_size: 256
    .name:           _ZN7rocprim17ROCPRIM_400000_NS6detail17trampoline_kernelINS0_14default_configENS1_21merge_config_selectorINS0_5tupleIJssEEENS0_10empty_typeEEEZNS1_10merge_implIS3_NS0_12zip_iteratorINS5_IJN6thrust23THRUST_200600_302600_NS6detail15normal_iteratorINSC_10device_ptrIKsEEEESI_EEEEESK_NSA_INS5_IJNSC_16discard_iteratorINSC_11use_defaultEEESN_EEEEEPS7_SQ_SQ_NSC_11hip_rocprim7__merge17predicate_wrapperIssNSC_4lessIsEEEEEE10hipError_tPvRmT0_T1_T2_T3_T4_T5_mmT6_P12ihipStream_tbEUlT_E_NS1_11comp_targetILNS1_3genE2ELNS1_11target_archE906ELNS1_3gpuE6ELNS1_3repE0EEENS1_30default_config_static_selectorELNS0_4arch9wavefront6targetE0EEEvS11_
    .private_segment_fixed_size: 0
    .sgpr_count:     0
    .sgpr_spill_count: 0
    .symbol:         _ZN7rocprim17ROCPRIM_400000_NS6detail17trampoline_kernelINS0_14default_configENS1_21merge_config_selectorINS0_5tupleIJssEEENS0_10empty_typeEEEZNS1_10merge_implIS3_NS0_12zip_iteratorINS5_IJN6thrust23THRUST_200600_302600_NS6detail15normal_iteratorINSC_10device_ptrIKsEEEESI_EEEEESK_NSA_INS5_IJNSC_16discard_iteratorINSC_11use_defaultEEESN_EEEEEPS7_SQ_SQ_NSC_11hip_rocprim7__merge17predicate_wrapperIssNSC_4lessIsEEEEEE10hipError_tPvRmT0_T1_T2_T3_T4_T5_mmT6_P12ihipStream_tbEUlT_E_NS1_11comp_targetILNS1_3genE2ELNS1_11target_archE906ELNS1_3gpuE6ELNS1_3repE0EEENS1_30default_config_static_selectorELNS0_4arch9wavefront6targetE0EEEvS11_.kd
    .uniform_work_group_size: 1
    .uses_dynamic_stack: false
    .vgpr_count:     0
    .vgpr_spill_count: 0
    .wavefront_size: 32
    .workgroup_processor_mode: 1
  - .args:
      - .offset:         0
        .size:           64
        .value_kind:     by_value
    .group_segment_fixed_size: 0
    .kernarg_segment_align: 8
    .kernarg_segment_size: 64
    .language:       OpenCL C
    .language_version:
      - 2
      - 0
    .max_flat_workgroup_size: 1024
    .name:           _ZN7rocprim17ROCPRIM_400000_NS6detail17trampoline_kernelINS0_14default_configENS1_21merge_config_selectorINS0_5tupleIJssEEENS0_10empty_typeEEEZNS1_10merge_implIS3_NS0_12zip_iteratorINS5_IJN6thrust23THRUST_200600_302600_NS6detail15normal_iteratorINSC_10device_ptrIKsEEEESI_EEEEESK_NSA_INS5_IJNSC_16discard_iteratorINSC_11use_defaultEEESN_EEEEEPS7_SQ_SQ_NSC_11hip_rocprim7__merge17predicate_wrapperIssNSC_4lessIsEEEEEE10hipError_tPvRmT0_T1_T2_T3_T4_T5_mmT6_P12ihipStream_tbEUlT_E_NS1_11comp_targetILNS1_3genE10ELNS1_11target_archE1201ELNS1_3gpuE5ELNS1_3repE0EEENS1_30default_config_static_selectorELNS0_4arch9wavefront6targetE0EEEvS11_
    .private_segment_fixed_size: 0
    .sgpr_count:     0
    .sgpr_spill_count: 0
    .symbol:         _ZN7rocprim17ROCPRIM_400000_NS6detail17trampoline_kernelINS0_14default_configENS1_21merge_config_selectorINS0_5tupleIJssEEENS0_10empty_typeEEEZNS1_10merge_implIS3_NS0_12zip_iteratorINS5_IJN6thrust23THRUST_200600_302600_NS6detail15normal_iteratorINSC_10device_ptrIKsEEEESI_EEEEESK_NSA_INS5_IJNSC_16discard_iteratorINSC_11use_defaultEEESN_EEEEEPS7_SQ_SQ_NSC_11hip_rocprim7__merge17predicate_wrapperIssNSC_4lessIsEEEEEE10hipError_tPvRmT0_T1_T2_T3_T4_T5_mmT6_P12ihipStream_tbEUlT_E_NS1_11comp_targetILNS1_3genE10ELNS1_11target_archE1201ELNS1_3gpuE5ELNS1_3repE0EEENS1_30default_config_static_selectorELNS0_4arch9wavefront6targetE0EEEvS11_.kd
    .uniform_work_group_size: 1
    .uses_dynamic_stack: false
    .vgpr_count:     0
    .vgpr_spill_count: 0
    .wavefront_size: 32
    .workgroup_processor_mode: 1
  - .args:
      - .offset:         0
        .size:           64
        .value_kind:     by_value
    .group_segment_fixed_size: 0
    .kernarg_segment_align: 8
    .kernarg_segment_size: 64
    .language:       OpenCL C
    .language_version:
      - 2
      - 0
    .max_flat_workgroup_size: 1024
    .name:           _ZN7rocprim17ROCPRIM_400000_NS6detail17trampoline_kernelINS0_14default_configENS1_21merge_config_selectorINS0_5tupleIJssEEENS0_10empty_typeEEEZNS1_10merge_implIS3_NS0_12zip_iteratorINS5_IJN6thrust23THRUST_200600_302600_NS6detail15normal_iteratorINSC_10device_ptrIKsEEEESI_EEEEESK_NSA_INS5_IJNSC_16discard_iteratorINSC_11use_defaultEEESN_EEEEEPS7_SQ_SQ_NSC_11hip_rocprim7__merge17predicate_wrapperIssNSC_4lessIsEEEEEE10hipError_tPvRmT0_T1_T2_T3_T4_T5_mmT6_P12ihipStream_tbEUlT_E_NS1_11comp_targetILNS1_3genE10ELNS1_11target_archE1200ELNS1_3gpuE4ELNS1_3repE0EEENS1_30default_config_static_selectorELNS0_4arch9wavefront6targetE0EEEvS11_
    .private_segment_fixed_size: 0
    .sgpr_count:     0
    .sgpr_spill_count: 0
    .symbol:         _ZN7rocprim17ROCPRIM_400000_NS6detail17trampoline_kernelINS0_14default_configENS1_21merge_config_selectorINS0_5tupleIJssEEENS0_10empty_typeEEEZNS1_10merge_implIS3_NS0_12zip_iteratorINS5_IJN6thrust23THRUST_200600_302600_NS6detail15normal_iteratorINSC_10device_ptrIKsEEEESI_EEEEESK_NSA_INS5_IJNSC_16discard_iteratorINSC_11use_defaultEEESN_EEEEEPS7_SQ_SQ_NSC_11hip_rocprim7__merge17predicate_wrapperIssNSC_4lessIsEEEEEE10hipError_tPvRmT0_T1_T2_T3_T4_T5_mmT6_P12ihipStream_tbEUlT_E_NS1_11comp_targetILNS1_3genE10ELNS1_11target_archE1200ELNS1_3gpuE4ELNS1_3repE0EEENS1_30default_config_static_selectorELNS0_4arch9wavefront6targetE0EEEvS11_.kd
    .uniform_work_group_size: 1
    .uses_dynamic_stack: false
    .vgpr_count:     0
    .vgpr_spill_count: 0
    .wavefront_size: 32
    .workgroup_processor_mode: 1
  - .args:
      - .offset:         0
        .size:           64
        .value_kind:     by_value
    .group_segment_fixed_size: 0
    .kernarg_segment_align: 8
    .kernarg_segment_size: 64
    .language:       OpenCL C
    .language_version:
      - 2
      - 0
    .max_flat_workgroup_size: 1024
    .name:           _ZN7rocprim17ROCPRIM_400000_NS6detail17trampoline_kernelINS0_14default_configENS1_21merge_config_selectorINS0_5tupleIJssEEENS0_10empty_typeEEEZNS1_10merge_implIS3_NS0_12zip_iteratorINS5_IJN6thrust23THRUST_200600_302600_NS6detail15normal_iteratorINSC_10device_ptrIKsEEEESI_EEEEESK_NSA_INS5_IJNSC_16discard_iteratorINSC_11use_defaultEEESN_EEEEEPS7_SQ_SQ_NSC_11hip_rocprim7__merge17predicate_wrapperIssNSC_4lessIsEEEEEE10hipError_tPvRmT0_T1_T2_T3_T4_T5_mmT6_P12ihipStream_tbEUlT_E_NS1_11comp_targetILNS1_3genE9ELNS1_11target_archE1100ELNS1_3gpuE3ELNS1_3repE0EEENS1_30default_config_static_selectorELNS0_4arch9wavefront6targetE0EEEvS11_
    .private_segment_fixed_size: 0
    .sgpr_count:     0
    .sgpr_spill_count: 0
    .symbol:         _ZN7rocprim17ROCPRIM_400000_NS6detail17trampoline_kernelINS0_14default_configENS1_21merge_config_selectorINS0_5tupleIJssEEENS0_10empty_typeEEEZNS1_10merge_implIS3_NS0_12zip_iteratorINS5_IJN6thrust23THRUST_200600_302600_NS6detail15normal_iteratorINSC_10device_ptrIKsEEEESI_EEEEESK_NSA_INS5_IJNSC_16discard_iteratorINSC_11use_defaultEEESN_EEEEEPS7_SQ_SQ_NSC_11hip_rocprim7__merge17predicate_wrapperIssNSC_4lessIsEEEEEE10hipError_tPvRmT0_T1_T2_T3_T4_T5_mmT6_P12ihipStream_tbEUlT_E_NS1_11comp_targetILNS1_3genE9ELNS1_11target_archE1100ELNS1_3gpuE3ELNS1_3repE0EEENS1_30default_config_static_selectorELNS0_4arch9wavefront6targetE0EEEvS11_.kd
    .uniform_work_group_size: 1
    .uses_dynamic_stack: false
    .vgpr_count:     0
    .vgpr_spill_count: 0
    .wavefront_size: 32
    .workgroup_processor_mode: 1
  - .args:
      - .offset:         0
        .size:           64
        .value_kind:     by_value
      - .offset:         64
        .size:           4
        .value_kind:     hidden_block_count_x
      - .offset:         68
        .size:           4
        .value_kind:     hidden_block_count_y
      - .offset:         72
        .size:           4
        .value_kind:     hidden_block_count_z
      - .offset:         76
        .size:           2
        .value_kind:     hidden_group_size_x
      - .offset:         78
        .size:           2
        .value_kind:     hidden_group_size_y
      - .offset:         80
        .size:           2
        .value_kind:     hidden_group_size_z
      - .offset:         82
        .size:           2
        .value_kind:     hidden_remainder_x
      - .offset:         84
        .size:           2
        .value_kind:     hidden_remainder_y
      - .offset:         86
        .size:           2
        .value_kind:     hidden_remainder_z
      - .offset:         104
        .size:           8
        .value_kind:     hidden_global_offset_x
      - .offset:         112
        .size:           8
        .value_kind:     hidden_global_offset_y
      - .offset:         120
        .size:           8
        .value_kind:     hidden_global_offset_z
      - .offset:         128
        .size:           2
        .value_kind:     hidden_grid_dims
    .group_segment_fixed_size: 0
    .kernarg_segment_align: 8
    .kernarg_segment_size: 320
    .language:       OpenCL C
    .language_version:
      - 2
      - 0
    .max_flat_workgroup_size: 1024
    .name:           _ZN7rocprim17ROCPRIM_400000_NS6detail17trampoline_kernelINS0_14default_configENS1_21merge_config_selectorINS0_5tupleIJssEEENS0_10empty_typeEEEZNS1_10merge_implIS3_NS0_12zip_iteratorINS5_IJN6thrust23THRUST_200600_302600_NS6detail15normal_iteratorINSC_10device_ptrIKsEEEESI_EEEEESK_NSA_INS5_IJNSC_16discard_iteratorINSC_11use_defaultEEESN_EEEEEPS7_SQ_SQ_NSC_11hip_rocprim7__merge17predicate_wrapperIssNSC_4lessIsEEEEEE10hipError_tPvRmT0_T1_T2_T3_T4_T5_mmT6_P12ihipStream_tbEUlT_E_NS1_11comp_targetILNS1_3genE8ELNS1_11target_archE1030ELNS1_3gpuE2ELNS1_3repE0EEENS1_30default_config_static_selectorELNS0_4arch9wavefront6targetE0EEEvS11_
    .private_segment_fixed_size: 0
    .sgpr_count:     18
    .sgpr_spill_count: 0
    .symbol:         _ZN7rocprim17ROCPRIM_400000_NS6detail17trampoline_kernelINS0_14default_configENS1_21merge_config_selectorINS0_5tupleIJssEEENS0_10empty_typeEEEZNS1_10merge_implIS3_NS0_12zip_iteratorINS5_IJN6thrust23THRUST_200600_302600_NS6detail15normal_iteratorINSC_10device_ptrIKsEEEESI_EEEEESK_NSA_INS5_IJNSC_16discard_iteratorINSC_11use_defaultEEESN_EEEEEPS7_SQ_SQ_NSC_11hip_rocprim7__merge17predicate_wrapperIssNSC_4lessIsEEEEEE10hipError_tPvRmT0_T1_T2_T3_T4_T5_mmT6_P12ihipStream_tbEUlT_E_NS1_11comp_targetILNS1_3genE8ELNS1_11target_archE1030ELNS1_3gpuE2ELNS1_3repE0EEENS1_30default_config_static_selectorELNS0_4arch9wavefront6targetE0EEEvS11_.kd
    .uniform_work_group_size: 1
    .uses_dynamic_stack: false
    .vgpr_count:     13
    .vgpr_spill_count: 0
    .wavefront_size: 32
    .workgroup_processor_mode: 1
  - .args:
      - .offset:         0
        .size:           128
        .value_kind:     by_value
    .group_segment_fixed_size: 0
    .kernarg_segment_align: 8
    .kernarg_segment_size: 128
    .language:       OpenCL C
    .language_version:
      - 2
      - 0
    .max_flat_workgroup_size: 256
    .name:           _ZN7rocprim17ROCPRIM_400000_NS6detail17trampoline_kernelINS0_14default_configENS1_21merge_config_selectorINS0_5tupleIJssEEENS0_10empty_typeEEEZNS1_10merge_implIS3_NS0_12zip_iteratorINS5_IJN6thrust23THRUST_200600_302600_NS6detail15normal_iteratorINSC_10device_ptrIKsEEEESI_EEEEESK_NSA_INS5_IJNSC_16discard_iteratorINSC_11use_defaultEEESN_EEEEEPS7_SQ_SQ_NSC_11hip_rocprim7__merge17predicate_wrapperIssNSC_4lessIsEEEEEE10hipError_tPvRmT0_T1_T2_T3_T4_T5_mmT6_P12ihipStream_tbEUlT_E0_NS1_11comp_targetILNS1_3genE0ELNS1_11target_archE4294967295ELNS1_3gpuE0ELNS1_3repE0EEENS1_30default_config_static_selectorELNS0_4arch9wavefront6targetE0EEEvS11_
    .private_segment_fixed_size: 0
    .sgpr_count:     0
    .sgpr_spill_count: 0
    .symbol:         _ZN7rocprim17ROCPRIM_400000_NS6detail17trampoline_kernelINS0_14default_configENS1_21merge_config_selectorINS0_5tupleIJssEEENS0_10empty_typeEEEZNS1_10merge_implIS3_NS0_12zip_iteratorINS5_IJN6thrust23THRUST_200600_302600_NS6detail15normal_iteratorINSC_10device_ptrIKsEEEESI_EEEEESK_NSA_INS5_IJNSC_16discard_iteratorINSC_11use_defaultEEESN_EEEEEPS7_SQ_SQ_NSC_11hip_rocprim7__merge17predicate_wrapperIssNSC_4lessIsEEEEEE10hipError_tPvRmT0_T1_T2_T3_T4_T5_mmT6_P12ihipStream_tbEUlT_E0_NS1_11comp_targetILNS1_3genE0ELNS1_11target_archE4294967295ELNS1_3gpuE0ELNS1_3repE0EEENS1_30default_config_static_selectorELNS0_4arch9wavefront6targetE0EEEvS11_.kd
    .uniform_work_group_size: 1
    .uses_dynamic_stack: false
    .vgpr_count:     0
    .vgpr_spill_count: 0
    .wavefront_size: 32
    .workgroup_processor_mode: 1
  - .args:
      - .offset:         0
        .size:           128
        .value_kind:     by_value
    .group_segment_fixed_size: 0
    .kernarg_segment_align: 8
    .kernarg_segment_size: 128
    .language:       OpenCL C
    .language_version:
      - 2
      - 0
    .max_flat_workgroup_size: 256
    .name:           _ZN7rocprim17ROCPRIM_400000_NS6detail17trampoline_kernelINS0_14default_configENS1_21merge_config_selectorINS0_5tupleIJssEEENS0_10empty_typeEEEZNS1_10merge_implIS3_NS0_12zip_iteratorINS5_IJN6thrust23THRUST_200600_302600_NS6detail15normal_iteratorINSC_10device_ptrIKsEEEESI_EEEEESK_NSA_INS5_IJNSC_16discard_iteratorINSC_11use_defaultEEESN_EEEEEPS7_SQ_SQ_NSC_11hip_rocprim7__merge17predicate_wrapperIssNSC_4lessIsEEEEEE10hipError_tPvRmT0_T1_T2_T3_T4_T5_mmT6_P12ihipStream_tbEUlT_E0_NS1_11comp_targetILNS1_3genE5ELNS1_11target_archE942ELNS1_3gpuE9ELNS1_3repE0EEENS1_30default_config_static_selectorELNS0_4arch9wavefront6targetE0EEEvS11_
    .private_segment_fixed_size: 0
    .sgpr_count:     0
    .sgpr_spill_count: 0
    .symbol:         _ZN7rocprim17ROCPRIM_400000_NS6detail17trampoline_kernelINS0_14default_configENS1_21merge_config_selectorINS0_5tupleIJssEEENS0_10empty_typeEEEZNS1_10merge_implIS3_NS0_12zip_iteratorINS5_IJN6thrust23THRUST_200600_302600_NS6detail15normal_iteratorINSC_10device_ptrIKsEEEESI_EEEEESK_NSA_INS5_IJNSC_16discard_iteratorINSC_11use_defaultEEESN_EEEEEPS7_SQ_SQ_NSC_11hip_rocprim7__merge17predicate_wrapperIssNSC_4lessIsEEEEEE10hipError_tPvRmT0_T1_T2_T3_T4_T5_mmT6_P12ihipStream_tbEUlT_E0_NS1_11comp_targetILNS1_3genE5ELNS1_11target_archE942ELNS1_3gpuE9ELNS1_3repE0EEENS1_30default_config_static_selectorELNS0_4arch9wavefront6targetE0EEEvS11_.kd
    .uniform_work_group_size: 1
    .uses_dynamic_stack: false
    .vgpr_count:     0
    .vgpr_spill_count: 0
    .wavefront_size: 32
    .workgroup_processor_mode: 1
  - .args:
      - .offset:         0
        .size:           128
        .value_kind:     by_value
    .group_segment_fixed_size: 0
    .kernarg_segment_align: 8
    .kernarg_segment_size: 128
    .language:       OpenCL C
    .language_version:
      - 2
      - 0
    .max_flat_workgroup_size: 256
    .name:           _ZN7rocprim17ROCPRIM_400000_NS6detail17trampoline_kernelINS0_14default_configENS1_21merge_config_selectorINS0_5tupleIJssEEENS0_10empty_typeEEEZNS1_10merge_implIS3_NS0_12zip_iteratorINS5_IJN6thrust23THRUST_200600_302600_NS6detail15normal_iteratorINSC_10device_ptrIKsEEEESI_EEEEESK_NSA_INS5_IJNSC_16discard_iteratorINSC_11use_defaultEEESN_EEEEEPS7_SQ_SQ_NSC_11hip_rocprim7__merge17predicate_wrapperIssNSC_4lessIsEEEEEE10hipError_tPvRmT0_T1_T2_T3_T4_T5_mmT6_P12ihipStream_tbEUlT_E0_NS1_11comp_targetILNS1_3genE4ELNS1_11target_archE910ELNS1_3gpuE8ELNS1_3repE0EEENS1_30default_config_static_selectorELNS0_4arch9wavefront6targetE0EEEvS11_
    .private_segment_fixed_size: 0
    .sgpr_count:     0
    .sgpr_spill_count: 0
    .symbol:         _ZN7rocprim17ROCPRIM_400000_NS6detail17trampoline_kernelINS0_14default_configENS1_21merge_config_selectorINS0_5tupleIJssEEENS0_10empty_typeEEEZNS1_10merge_implIS3_NS0_12zip_iteratorINS5_IJN6thrust23THRUST_200600_302600_NS6detail15normal_iteratorINSC_10device_ptrIKsEEEESI_EEEEESK_NSA_INS5_IJNSC_16discard_iteratorINSC_11use_defaultEEESN_EEEEEPS7_SQ_SQ_NSC_11hip_rocprim7__merge17predicate_wrapperIssNSC_4lessIsEEEEEE10hipError_tPvRmT0_T1_T2_T3_T4_T5_mmT6_P12ihipStream_tbEUlT_E0_NS1_11comp_targetILNS1_3genE4ELNS1_11target_archE910ELNS1_3gpuE8ELNS1_3repE0EEENS1_30default_config_static_selectorELNS0_4arch9wavefront6targetE0EEEvS11_.kd
    .uniform_work_group_size: 1
    .uses_dynamic_stack: false
    .vgpr_count:     0
    .vgpr_spill_count: 0
    .wavefront_size: 32
    .workgroup_processor_mode: 1
  - .args:
      - .offset:         0
        .size:           128
        .value_kind:     by_value
    .group_segment_fixed_size: 0
    .kernarg_segment_align: 8
    .kernarg_segment_size: 128
    .language:       OpenCL C
    .language_version:
      - 2
      - 0
    .max_flat_workgroup_size: 256
    .name:           _ZN7rocprim17ROCPRIM_400000_NS6detail17trampoline_kernelINS0_14default_configENS1_21merge_config_selectorINS0_5tupleIJssEEENS0_10empty_typeEEEZNS1_10merge_implIS3_NS0_12zip_iteratorINS5_IJN6thrust23THRUST_200600_302600_NS6detail15normal_iteratorINSC_10device_ptrIKsEEEESI_EEEEESK_NSA_INS5_IJNSC_16discard_iteratorINSC_11use_defaultEEESN_EEEEEPS7_SQ_SQ_NSC_11hip_rocprim7__merge17predicate_wrapperIssNSC_4lessIsEEEEEE10hipError_tPvRmT0_T1_T2_T3_T4_T5_mmT6_P12ihipStream_tbEUlT_E0_NS1_11comp_targetILNS1_3genE3ELNS1_11target_archE908ELNS1_3gpuE7ELNS1_3repE0EEENS1_30default_config_static_selectorELNS0_4arch9wavefront6targetE0EEEvS11_
    .private_segment_fixed_size: 0
    .sgpr_count:     0
    .sgpr_spill_count: 0
    .symbol:         _ZN7rocprim17ROCPRIM_400000_NS6detail17trampoline_kernelINS0_14default_configENS1_21merge_config_selectorINS0_5tupleIJssEEENS0_10empty_typeEEEZNS1_10merge_implIS3_NS0_12zip_iteratorINS5_IJN6thrust23THRUST_200600_302600_NS6detail15normal_iteratorINSC_10device_ptrIKsEEEESI_EEEEESK_NSA_INS5_IJNSC_16discard_iteratorINSC_11use_defaultEEESN_EEEEEPS7_SQ_SQ_NSC_11hip_rocprim7__merge17predicate_wrapperIssNSC_4lessIsEEEEEE10hipError_tPvRmT0_T1_T2_T3_T4_T5_mmT6_P12ihipStream_tbEUlT_E0_NS1_11comp_targetILNS1_3genE3ELNS1_11target_archE908ELNS1_3gpuE7ELNS1_3repE0EEENS1_30default_config_static_selectorELNS0_4arch9wavefront6targetE0EEEvS11_.kd
    .uniform_work_group_size: 1
    .uses_dynamic_stack: false
    .vgpr_count:     0
    .vgpr_spill_count: 0
    .wavefront_size: 32
    .workgroup_processor_mode: 1
  - .args:
      - .offset:         0
        .size:           128
        .value_kind:     by_value
    .group_segment_fixed_size: 0
    .kernarg_segment_align: 8
    .kernarg_segment_size: 128
    .language:       OpenCL C
    .language_version:
      - 2
      - 0
    .max_flat_workgroup_size: 256
    .name:           _ZN7rocprim17ROCPRIM_400000_NS6detail17trampoline_kernelINS0_14default_configENS1_21merge_config_selectorINS0_5tupleIJssEEENS0_10empty_typeEEEZNS1_10merge_implIS3_NS0_12zip_iteratorINS5_IJN6thrust23THRUST_200600_302600_NS6detail15normal_iteratorINSC_10device_ptrIKsEEEESI_EEEEESK_NSA_INS5_IJNSC_16discard_iteratorINSC_11use_defaultEEESN_EEEEEPS7_SQ_SQ_NSC_11hip_rocprim7__merge17predicate_wrapperIssNSC_4lessIsEEEEEE10hipError_tPvRmT0_T1_T2_T3_T4_T5_mmT6_P12ihipStream_tbEUlT_E0_NS1_11comp_targetILNS1_3genE2ELNS1_11target_archE906ELNS1_3gpuE6ELNS1_3repE0EEENS1_30default_config_static_selectorELNS0_4arch9wavefront6targetE0EEEvS11_
    .private_segment_fixed_size: 0
    .sgpr_count:     0
    .sgpr_spill_count: 0
    .symbol:         _ZN7rocprim17ROCPRIM_400000_NS6detail17trampoline_kernelINS0_14default_configENS1_21merge_config_selectorINS0_5tupleIJssEEENS0_10empty_typeEEEZNS1_10merge_implIS3_NS0_12zip_iteratorINS5_IJN6thrust23THRUST_200600_302600_NS6detail15normal_iteratorINSC_10device_ptrIKsEEEESI_EEEEESK_NSA_INS5_IJNSC_16discard_iteratorINSC_11use_defaultEEESN_EEEEEPS7_SQ_SQ_NSC_11hip_rocprim7__merge17predicate_wrapperIssNSC_4lessIsEEEEEE10hipError_tPvRmT0_T1_T2_T3_T4_T5_mmT6_P12ihipStream_tbEUlT_E0_NS1_11comp_targetILNS1_3genE2ELNS1_11target_archE906ELNS1_3gpuE6ELNS1_3repE0EEENS1_30default_config_static_selectorELNS0_4arch9wavefront6targetE0EEEvS11_.kd
    .uniform_work_group_size: 1
    .uses_dynamic_stack: false
    .vgpr_count:     0
    .vgpr_spill_count: 0
    .wavefront_size: 32
    .workgroup_processor_mode: 1
  - .args:
      - .offset:         0
        .size:           128
        .value_kind:     by_value
    .group_segment_fixed_size: 0
    .kernarg_segment_align: 8
    .kernarg_segment_size: 128
    .language:       OpenCL C
    .language_version:
      - 2
      - 0
    .max_flat_workgroup_size: 1024
    .name:           _ZN7rocprim17ROCPRIM_400000_NS6detail17trampoline_kernelINS0_14default_configENS1_21merge_config_selectorINS0_5tupleIJssEEENS0_10empty_typeEEEZNS1_10merge_implIS3_NS0_12zip_iteratorINS5_IJN6thrust23THRUST_200600_302600_NS6detail15normal_iteratorINSC_10device_ptrIKsEEEESI_EEEEESK_NSA_INS5_IJNSC_16discard_iteratorINSC_11use_defaultEEESN_EEEEEPS7_SQ_SQ_NSC_11hip_rocprim7__merge17predicate_wrapperIssNSC_4lessIsEEEEEE10hipError_tPvRmT0_T1_T2_T3_T4_T5_mmT6_P12ihipStream_tbEUlT_E0_NS1_11comp_targetILNS1_3genE10ELNS1_11target_archE1201ELNS1_3gpuE5ELNS1_3repE0EEENS1_30default_config_static_selectorELNS0_4arch9wavefront6targetE0EEEvS11_
    .private_segment_fixed_size: 0
    .sgpr_count:     0
    .sgpr_spill_count: 0
    .symbol:         _ZN7rocprim17ROCPRIM_400000_NS6detail17trampoline_kernelINS0_14default_configENS1_21merge_config_selectorINS0_5tupleIJssEEENS0_10empty_typeEEEZNS1_10merge_implIS3_NS0_12zip_iteratorINS5_IJN6thrust23THRUST_200600_302600_NS6detail15normal_iteratorINSC_10device_ptrIKsEEEESI_EEEEESK_NSA_INS5_IJNSC_16discard_iteratorINSC_11use_defaultEEESN_EEEEEPS7_SQ_SQ_NSC_11hip_rocprim7__merge17predicate_wrapperIssNSC_4lessIsEEEEEE10hipError_tPvRmT0_T1_T2_T3_T4_T5_mmT6_P12ihipStream_tbEUlT_E0_NS1_11comp_targetILNS1_3genE10ELNS1_11target_archE1201ELNS1_3gpuE5ELNS1_3repE0EEENS1_30default_config_static_selectorELNS0_4arch9wavefront6targetE0EEEvS11_.kd
    .uniform_work_group_size: 1
    .uses_dynamic_stack: false
    .vgpr_count:     0
    .vgpr_spill_count: 0
    .wavefront_size: 32
    .workgroup_processor_mode: 1
  - .args:
      - .offset:         0
        .size:           128
        .value_kind:     by_value
    .group_segment_fixed_size: 0
    .kernarg_segment_align: 8
    .kernarg_segment_size: 128
    .language:       OpenCL C
    .language_version:
      - 2
      - 0
    .max_flat_workgroup_size: 1024
    .name:           _ZN7rocprim17ROCPRIM_400000_NS6detail17trampoline_kernelINS0_14default_configENS1_21merge_config_selectorINS0_5tupleIJssEEENS0_10empty_typeEEEZNS1_10merge_implIS3_NS0_12zip_iteratorINS5_IJN6thrust23THRUST_200600_302600_NS6detail15normal_iteratorINSC_10device_ptrIKsEEEESI_EEEEESK_NSA_INS5_IJNSC_16discard_iteratorINSC_11use_defaultEEESN_EEEEEPS7_SQ_SQ_NSC_11hip_rocprim7__merge17predicate_wrapperIssNSC_4lessIsEEEEEE10hipError_tPvRmT0_T1_T2_T3_T4_T5_mmT6_P12ihipStream_tbEUlT_E0_NS1_11comp_targetILNS1_3genE10ELNS1_11target_archE1200ELNS1_3gpuE4ELNS1_3repE0EEENS1_30default_config_static_selectorELNS0_4arch9wavefront6targetE0EEEvS11_
    .private_segment_fixed_size: 0
    .sgpr_count:     0
    .sgpr_spill_count: 0
    .symbol:         _ZN7rocprim17ROCPRIM_400000_NS6detail17trampoline_kernelINS0_14default_configENS1_21merge_config_selectorINS0_5tupleIJssEEENS0_10empty_typeEEEZNS1_10merge_implIS3_NS0_12zip_iteratorINS5_IJN6thrust23THRUST_200600_302600_NS6detail15normal_iteratorINSC_10device_ptrIKsEEEESI_EEEEESK_NSA_INS5_IJNSC_16discard_iteratorINSC_11use_defaultEEESN_EEEEEPS7_SQ_SQ_NSC_11hip_rocprim7__merge17predicate_wrapperIssNSC_4lessIsEEEEEE10hipError_tPvRmT0_T1_T2_T3_T4_T5_mmT6_P12ihipStream_tbEUlT_E0_NS1_11comp_targetILNS1_3genE10ELNS1_11target_archE1200ELNS1_3gpuE4ELNS1_3repE0EEENS1_30default_config_static_selectorELNS0_4arch9wavefront6targetE0EEEvS11_.kd
    .uniform_work_group_size: 1
    .uses_dynamic_stack: false
    .vgpr_count:     0
    .vgpr_spill_count: 0
    .wavefront_size: 32
    .workgroup_processor_mode: 1
  - .args:
      - .offset:         0
        .size:           128
        .value_kind:     by_value
    .group_segment_fixed_size: 0
    .kernarg_segment_align: 8
    .kernarg_segment_size: 128
    .language:       OpenCL C
    .language_version:
      - 2
      - 0
    .max_flat_workgroup_size: 1024
    .name:           _ZN7rocprim17ROCPRIM_400000_NS6detail17trampoline_kernelINS0_14default_configENS1_21merge_config_selectorINS0_5tupleIJssEEENS0_10empty_typeEEEZNS1_10merge_implIS3_NS0_12zip_iteratorINS5_IJN6thrust23THRUST_200600_302600_NS6detail15normal_iteratorINSC_10device_ptrIKsEEEESI_EEEEESK_NSA_INS5_IJNSC_16discard_iteratorINSC_11use_defaultEEESN_EEEEEPS7_SQ_SQ_NSC_11hip_rocprim7__merge17predicate_wrapperIssNSC_4lessIsEEEEEE10hipError_tPvRmT0_T1_T2_T3_T4_T5_mmT6_P12ihipStream_tbEUlT_E0_NS1_11comp_targetILNS1_3genE9ELNS1_11target_archE1100ELNS1_3gpuE3ELNS1_3repE0EEENS1_30default_config_static_selectorELNS0_4arch9wavefront6targetE0EEEvS11_
    .private_segment_fixed_size: 0
    .sgpr_count:     0
    .sgpr_spill_count: 0
    .symbol:         _ZN7rocprim17ROCPRIM_400000_NS6detail17trampoline_kernelINS0_14default_configENS1_21merge_config_selectorINS0_5tupleIJssEEENS0_10empty_typeEEEZNS1_10merge_implIS3_NS0_12zip_iteratorINS5_IJN6thrust23THRUST_200600_302600_NS6detail15normal_iteratorINSC_10device_ptrIKsEEEESI_EEEEESK_NSA_INS5_IJNSC_16discard_iteratorINSC_11use_defaultEEESN_EEEEEPS7_SQ_SQ_NSC_11hip_rocprim7__merge17predicate_wrapperIssNSC_4lessIsEEEEEE10hipError_tPvRmT0_T1_T2_T3_T4_T5_mmT6_P12ihipStream_tbEUlT_E0_NS1_11comp_targetILNS1_3genE9ELNS1_11target_archE1100ELNS1_3gpuE3ELNS1_3repE0EEENS1_30default_config_static_selectorELNS0_4arch9wavefront6targetE0EEEvS11_.kd
    .uniform_work_group_size: 1
    .uses_dynamic_stack: false
    .vgpr_count:     0
    .vgpr_spill_count: 0
    .wavefront_size: 32
    .workgroup_processor_mode: 1
  - .args:
      - .offset:         0
        .size:           128
        .value_kind:     by_value
    .group_segment_fixed_size: 33792
    .kernarg_segment_align: 8
    .kernarg_segment_size: 128
    .language:       OpenCL C
    .language_version:
      - 2
      - 0
    .max_flat_workgroup_size: 1024
    .name:           _ZN7rocprim17ROCPRIM_400000_NS6detail17trampoline_kernelINS0_14default_configENS1_21merge_config_selectorINS0_5tupleIJssEEENS0_10empty_typeEEEZNS1_10merge_implIS3_NS0_12zip_iteratorINS5_IJN6thrust23THRUST_200600_302600_NS6detail15normal_iteratorINSC_10device_ptrIKsEEEESI_EEEEESK_NSA_INS5_IJNSC_16discard_iteratorINSC_11use_defaultEEESN_EEEEEPS7_SQ_SQ_NSC_11hip_rocprim7__merge17predicate_wrapperIssNSC_4lessIsEEEEEE10hipError_tPvRmT0_T1_T2_T3_T4_T5_mmT6_P12ihipStream_tbEUlT_E0_NS1_11comp_targetILNS1_3genE8ELNS1_11target_archE1030ELNS1_3gpuE2ELNS1_3repE0EEENS1_30default_config_static_selectorELNS0_4arch9wavefront6targetE0EEEvS11_
    .private_segment_fixed_size: 0
    .sgpr_count:     26
    .sgpr_spill_count: 0
    .symbol:         _ZN7rocprim17ROCPRIM_400000_NS6detail17trampoline_kernelINS0_14default_configENS1_21merge_config_selectorINS0_5tupleIJssEEENS0_10empty_typeEEEZNS1_10merge_implIS3_NS0_12zip_iteratorINS5_IJN6thrust23THRUST_200600_302600_NS6detail15normal_iteratorINSC_10device_ptrIKsEEEESI_EEEEESK_NSA_INS5_IJNSC_16discard_iteratorINSC_11use_defaultEEESN_EEEEEPS7_SQ_SQ_NSC_11hip_rocprim7__merge17predicate_wrapperIssNSC_4lessIsEEEEEE10hipError_tPvRmT0_T1_T2_T3_T4_T5_mmT6_P12ihipStream_tbEUlT_E0_NS1_11comp_targetILNS1_3genE8ELNS1_11target_archE1030ELNS1_3gpuE2ELNS1_3repE0EEENS1_30default_config_static_selectorELNS0_4arch9wavefront6targetE0EEEvS11_.kd
    .uniform_work_group_size: 1
    .uses_dynamic_stack: false
    .vgpr_count:     28
    .vgpr_spill_count: 0
    .wavefront_size: 32
    .workgroup_processor_mode: 1
  - .args:
      - .offset:         0
        .size:           4
        .value_kind:     by_value
      - .address_space:  global
        .offset:         8
        .size:           8
        .value_kind:     global_buffer
      - .address_space:  global
        .offset:         16
        .size:           8
        .value_kind:     global_buffer
      - .address_space:  global
        .offset:         24
        .size:           8
        .value_kind:     global_buffer
      - .address_space:  global
        .offset:         32
        .size:           8
        .value_kind:     global_buffer
      - .address_space:  global
        .offset:         40
        .size:           8
        .value_kind:     global_buffer
      - .address_space:  global
        .offset:         48
        .size:           8
        .value_kind:     global_buffer
    .group_segment_fixed_size: 0
    .kernarg_segment_align: 8
    .kernarg_segment_size: 56
    .language:       OpenCL C
    .language_version:
      - 2
      - 0
    .max_flat_workgroup_size: 256
    .name:           _Z16MergeByKeyKernelIiEviPT_S1_S1_S1_S1_S1_
    .private_segment_fixed_size: 0
    .sgpr_count:     24
    .sgpr_spill_count: 0
    .symbol:         _Z16MergeByKeyKernelIiEviPT_S1_S1_S1_S1_S1_.kd
    .uniform_work_group_size: 1
    .uses_dynamic_stack: false
    .vgpr_count:     3
    .vgpr_spill_count: 0
    .wavefront_size: 32
    .workgroup_processor_mode: 1
  - .args:
      - .offset:         0
        .size:           64
        .value_kind:     by_value
    .group_segment_fixed_size: 0
    .kernarg_segment_align: 8
    .kernarg_segment_size: 64
    .language:       OpenCL C
    .language_version:
      - 2
      - 0
    .max_flat_workgroup_size: 256
    .name:           _ZN7rocprim17ROCPRIM_400000_NS6detail17trampoline_kernelINS0_14default_configENS1_21merge_config_selectorINS0_5tupleIJiiEEENS0_10empty_typeEEEZNS1_10merge_implIS3_NS0_12zip_iteratorINS5_IJN6thrust23THRUST_200600_302600_NS10device_ptrIiEESE_EEEEESG_SG_PS7_SH_SH_NSC_11hip_rocprim7__merge17predicate_wrapperIiiNSC_4lessIiEEEEEE10hipError_tPvRmT0_T1_T2_T3_T4_T5_mmT6_P12ihipStream_tbEUlT_E_NS1_11comp_targetILNS1_3genE0ELNS1_11target_archE4294967295ELNS1_3gpuE0ELNS1_3repE0EEENS1_30default_config_static_selectorELNS0_4arch9wavefront6targetE0EEEvSS_
    .private_segment_fixed_size: 0
    .sgpr_count:     0
    .sgpr_spill_count: 0
    .symbol:         _ZN7rocprim17ROCPRIM_400000_NS6detail17trampoline_kernelINS0_14default_configENS1_21merge_config_selectorINS0_5tupleIJiiEEENS0_10empty_typeEEEZNS1_10merge_implIS3_NS0_12zip_iteratorINS5_IJN6thrust23THRUST_200600_302600_NS10device_ptrIiEESE_EEEEESG_SG_PS7_SH_SH_NSC_11hip_rocprim7__merge17predicate_wrapperIiiNSC_4lessIiEEEEEE10hipError_tPvRmT0_T1_T2_T3_T4_T5_mmT6_P12ihipStream_tbEUlT_E_NS1_11comp_targetILNS1_3genE0ELNS1_11target_archE4294967295ELNS1_3gpuE0ELNS1_3repE0EEENS1_30default_config_static_selectorELNS0_4arch9wavefront6targetE0EEEvSS_.kd
    .uniform_work_group_size: 1
    .uses_dynamic_stack: false
    .vgpr_count:     0
    .vgpr_spill_count: 0
    .wavefront_size: 32
    .workgroup_processor_mode: 1
  - .args:
      - .offset:         0
        .size:           64
        .value_kind:     by_value
    .group_segment_fixed_size: 0
    .kernarg_segment_align: 8
    .kernarg_segment_size: 64
    .language:       OpenCL C
    .language_version:
      - 2
      - 0
    .max_flat_workgroup_size: 256
    .name:           _ZN7rocprim17ROCPRIM_400000_NS6detail17trampoline_kernelINS0_14default_configENS1_21merge_config_selectorINS0_5tupleIJiiEEENS0_10empty_typeEEEZNS1_10merge_implIS3_NS0_12zip_iteratorINS5_IJN6thrust23THRUST_200600_302600_NS10device_ptrIiEESE_EEEEESG_SG_PS7_SH_SH_NSC_11hip_rocprim7__merge17predicate_wrapperIiiNSC_4lessIiEEEEEE10hipError_tPvRmT0_T1_T2_T3_T4_T5_mmT6_P12ihipStream_tbEUlT_E_NS1_11comp_targetILNS1_3genE5ELNS1_11target_archE942ELNS1_3gpuE9ELNS1_3repE0EEENS1_30default_config_static_selectorELNS0_4arch9wavefront6targetE0EEEvSS_
    .private_segment_fixed_size: 0
    .sgpr_count:     0
    .sgpr_spill_count: 0
    .symbol:         _ZN7rocprim17ROCPRIM_400000_NS6detail17trampoline_kernelINS0_14default_configENS1_21merge_config_selectorINS0_5tupleIJiiEEENS0_10empty_typeEEEZNS1_10merge_implIS3_NS0_12zip_iteratorINS5_IJN6thrust23THRUST_200600_302600_NS10device_ptrIiEESE_EEEEESG_SG_PS7_SH_SH_NSC_11hip_rocprim7__merge17predicate_wrapperIiiNSC_4lessIiEEEEEE10hipError_tPvRmT0_T1_T2_T3_T4_T5_mmT6_P12ihipStream_tbEUlT_E_NS1_11comp_targetILNS1_3genE5ELNS1_11target_archE942ELNS1_3gpuE9ELNS1_3repE0EEENS1_30default_config_static_selectorELNS0_4arch9wavefront6targetE0EEEvSS_.kd
    .uniform_work_group_size: 1
    .uses_dynamic_stack: false
    .vgpr_count:     0
    .vgpr_spill_count: 0
    .wavefront_size: 32
    .workgroup_processor_mode: 1
  - .args:
      - .offset:         0
        .size:           64
        .value_kind:     by_value
    .group_segment_fixed_size: 0
    .kernarg_segment_align: 8
    .kernarg_segment_size: 64
    .language:       OpenCL C
    .language_version:
      - 2
      - 0
    .max_flat_workgroup_size: 256
    .name:           _ZN7rocprim17ROCPRIM_400000_NS6detail17trampoline_kernelINS0_14default_configENS1_21merge_config_selectorINS0_5tupleIJiiEEENS0_10empty_typeEEEZNS1_10merge_implIS3_NS0_12zip_iteratorINS5_IJN6thrust23THRUST_200600_302600_NS10device_ptrIiEESE_EEEEESG_SG_PS7_SH_SH_NSC_11hip_rocprim7__merge17predicate_wrapperIiiNSC_4lessIiEEEEEE10hipError_tPvRmT0_T1_T2_T3_T4_T5_mmT6_P12ihipStream_tbEUlT_E_NS1_11comp_targetILNS1_3genE4ELNS1_11target_archE910ELNS1_3gpuE8ELNS1_3repE0EEENS1_30default_config_static_selectorELNS0_4arch9wavefront6targetE0EEEvSS_
    .private_segment_fixed_size: 0
    .sgpr_count:     0
    .sgpr_spill_count: 0
    .symbol:         _ZN7rocprim17ROCPRIM_400000_NS6detail17trampoline_kernelINS0_14default_configENS1_21merge_config_selectorINS0_5tupleIJiiEEENS0_10empty_typeEEEZNS1_10merge_implIS3_NS0_12zip_iteratorINS5_IJN6thrust23THRUST_200600_302600_NS10device_ptrIiEESE_EEEEESG_SG_PS7_SH_SH_NSC_11hip_rocprim7__merge17predicate_wrapperIiiNSC_4lessIiEEEEEE10hipError_tPvRmT0_T1_T2_T3_T4_T5_mmT6_P12ihipStream_tbEUlT_E_NS1_11comp_targetILNS1_3genE4ELNS1_11target_archE910ELNS1_3gpuE8ELNS1_3repE0EEENS1_30default_config_static_selectorELNS0_4arch9wavefront6targetE0EEEvSS_.kd
    .uniform_work_group_size: 1
    .uses_dynamic_stack: false
    .vgpr_count:     0
    .vgpr_spill_count: 0
    .wavefront_size: 32
    .workgroup_processor_mode: 1
  - .args:
      - .offset:         0
        .size:           64
        .value_kind:     by_value
    .group_segment_fixed_size: 0
    .kernarg_segment_align: 8
    .kernarg_segment_size: 64
    .language:       OpenCL C
    .language_version:
      - 2
      - 0
    .max_flat_workgroup_size: 256
    .name:           _ZN7rocprim17ROCPRIM_400000_NS6detail17trampoline_kernelINS0_14default_configENS1_21merge_config_selectorINS0_5tupleIJiiEEENS0_10empty_typeEEEZNS1_10merge_implIS3_NS0_12zip_iteratorINS5_IJN6thrust23THRUST_200600_302600_NS10device_ptrIiEESE_EEEEESG_SG_PS7_SH_SH_NSC_11hip_rocprim7__merge17predicate_wrapperIiiNSC_4lessIiEEEEEE10hipError_tPvRmT0_T1_T2_T3_T4_T5_mmT6_P12ihipStream_tbEUlT_E_NS1_11comp_targetILNS1_3genE3ELNS1_11target_archE908ELNS1_3gpuE7ELNS1_3repE0EEENS1_30default_config_static_selectorELNS0_4arch9wavefront6targetE0EEEvSS_
    .private_segment_fixed_size: 0
    .sgpr_count:     0
    .sgpr_spill_count: 0
    .symbol:         _ZN7rocprim17ROCPRIM_400000_NS6detail17trampoline_kernelINS0_14default_configENS1_21merge_config_selectorINS0_5tupleIJiiEEENS0_10empty_typeEEEZNS1_10merge_implIS3_NS0_12zip_iteratorINS5_IJN6thrust23THRUST_200600_302600_NS10device_ptrIiEESE_EEEEESG_SG_PS7_SH_SH_NSC_11hip_rocprim7__merge17predicate_wrapperIiiNSC_4lessIiEEEEEE10hipError_tPvRmT0_T1_T2_T3_T4_T5_mmT6_P12ihipStream_tbEUlT_E_NS1_11comp_targetILNS1_3genE3ELNS1_11target_archE908ELNS1_3gpuE7ELNS1_3repE0EEENS1_30default_config_static_selectorELNS0_4arch9wavefront6targetE0EEEvSS_.kd
    .uniform_work_group_size: 1
    .uses_dynamic_stack: false
    .vgpr_count:     0
    .vgpr_spill_count: 0
    .wavefront_size: 32
    .workgroup_processor_mode: 1
  - .args:
      - .offset:         0
        .size:           64
        .value_kind:     by_value
    .group_segment_fixed_size: 0
    .kernarg_segment_align: 8
    .kernarg_segment_size: 64
    .language:       OpenCL C
    .language_version:
      - 2
      - 0
    .max_flat_workgroup_size: 256
    .name:           _ZN7rocprim17ROCPRIM_400000_NS6detail17trampoline_kernelINS0_14default_configENS1_21merge_config_selectorINS0_5tupleIJiiEEENS0_10empty_typeEEEZNS1_10merge_implIS3_NS0_12zip_iteratorINS5_IJN6thrust23THRUST_200600_302600_NS10device_ptrIiEESE_EEEEESG_SG_PS7_SH_SH_NSC_11hip_rocprim7__merge17predicate_wrapperIiiNSC_4lessIiEEEEEE10hipError_tPvRmT0_T1_T2_T3_T4_T5_mmT6_P12ihipStream_tbEUlT_E_NS1_11comp_targetILNS1_3genE2ELNS1_11target_archE906ELNS1_3gpuE6ELNS1_3repE0EEENS1_30default_config_static_selectorELNS0_4arch9wavefront6targetE0EEEvSS_
    .private_segment_fixed_size: 0
    .sgpr_count:     0
    .sgpr_spill_count: 0
    .symbol:         _ZN7rocprim17ROCPRIM_400000_NS6detail17trampoline_kernelINS0_14default_configENS1_21merge_config_selectorINS0_5tupleIJiiEEENS0_10empty_typeEEEZNS1_10merge_implIS3_NS0_12zip_iteratorINS5_IJN6thrust23THRUST_200600_302600_NS10device_ptrIiEESE_EEEEESG_SG_PS7_SH_SH_NSC_11hip_rocprim7__merge17predicate_wrapperIiiNSC_4lessIiEEEEEE10hipError_tPvRmT0_T1_T2_T3_T4_T5_mmT6_P12ihipStream_tbEUlT_E_NS1_11comp_targetILNS1_3genE2ELNS1_11target_archE906ELNS1_3gpuE6ELNS1_3repE0EEENS1_30default_config_static_selectorELNS0_4arch9wavefront6targetE0EEEvSS_.kd
    .uniform_work_group_size: 1
    .uses_dynamic_stack: false
    .vgpr_count:     0
    .vgpr_spill_count: 0
    .wavefront_size: 32
    .workgroup_processor_mode: 1
  - .args:
      - .offset:         0
        .size:           64
        .value_kind:     by_value
    .group_segment_fixed_size: 0
    .kernarg_segment_align: 8
    .kernarg_segment_size: 64
    .language:       OpenCL C
    .language_version:
      - 2
      - 0
    .max_flat_workgroup_size: 512
    .name:           _ZN7rocprim17ROCPRIM_400000_NS6detail17trampoline_kernelINS0_14default_configENS1_21merge_config_selectorINS0_5tupleIJiiEEENS0_10empty_typeEEEZNS1_10merge_implIS3_NS0_12zip_iteratorINS5_IJN6thrust23THRUST_200600_302600_NS10device_ptrIiEESE_EEEEESG_SG_PS7_SH_SH_NSC_11hip_rocprim7__merge17predicate_wrapperIiiNSC_4lessIiEEEEEE10hipError_tPvRmT0_T1_T2_T3_T4_T5_mmT6_P12ihipStream_tbEUlT_E_NS1_11comp_targetILNS1_3genE10ELNS1_11target_archE1201ELNS1_3gpuE5ELNS1_3repE0EEENS1_30default_config_static_selectorELNS0_4arch9wavefront6targetE0EEEvSS_
    .private_segment_fixed_size: 0
    .sgpr_count:     0
    .sgpr_spill_count: 0
    .symbol:         _ZN7rocprim17ROCPRIM_400000_NS6detail17trampoline_kernelINS0_14default_configENS1_21merge_config_selectorINS0_5tupleIJiiEEENS0_10empty_typeEEEZNS1_10merge_implIS3_NS0_12zip_iteratorINS5_IJN6thrust23THRUST_200600_302600_NS10device_ptrIiEESE_EEEEESG_SG_PS7_SH_SH_NSC_11hip_rocprim7__merge17predicate_wrapperIiiNSC_4lessIiEEEEEE10hipError_tPvRmT0_T1_T2_T3_T4_T5_mmT6_P12ihipStream_tbEUlT_E_NS1_11comp_targetILNS1_3genE10ELNS1_11target_archE1201ELNS1_3gpuE5ELNS1_3repE0EEENS1_30default_config_static_selectorELNS0_4arch9wavefront6targetE0EEEvSS_.kd
    .uniform_work_group_size: 1
    .uses_dynamic_stack: false
    .vgpr_count:     0
    .vgpr_spill_count: 0
    .wavefront_size: 32
    .workgroup_processor_mode: 1
  - .args:
      - .offset:         0
        .size:           64
        .value_kind:     by_value
    .group_segment_fixed_size: 0
    .kernarg_segment_align: 8
    .kernarg_segment_size: 64
    .language:       OpenCL C
    .language_version:
      - 2
      - 0
    .max_flat_workgroup_size: 1024
    .name:           _ZN7rocprim17ROCPRIM_400000_NS6detail17trampoline_kernelINS0_14default_configENS1_21merge_config_selectorINS0_5tupleIJiiEEENS0_10empty_typeEEEZNS1_10merge_implIS3_NS0_12zip_iteratorINS5_IJN6thrust23THRUST_200600_302600_NS10device_ptrIiEESE_EEEEESG_SG_PS7_SH_SH_NSC_11hip_rocprim7__merge17predicate_wrapperIiiNSC_4lessIiEEEEEE10hipError_tPvRmT0_T1_T2_T3_T4_T5_mmT6_P12ihipStream_tbEUlT_E_NS1_11comp_targetILNS1_3genE10ELNS1_11target_archE1200ELNS1_3gpuE4ELNS1_3repE0EEENS1_30default_config_static_selectorELNS0_4arch9wavefront6targetE0EEEvSS_
    .private_segment_fixed_size: 0
    .sgpr_count:     0
    .sgpr_spill_count: 0
    .symbol:         _ZN7rocprim17ROCPRIM_400000_NS6detail17trampoline_kernelINS0_14default_configENS1_21merge_config_selectorINS0_5tupleIJiiEEENS0_10empty_typeEEEZNS1_10merge_implIS3_NS0_12zip_iteratorINS5_IJN6thrust23THRUST_200600_302600_NS10device_ptrIiEESE_EEEEESG_SG_PS7_SH_SH_NSC_11hip_rocprim7__merge17predicate_wrapperIiiNSC_4lessIiEEEEEE10hipError_tPvRmT0_T1_T2_T3_T4_T5_mmT6_P12ihipStream_tbEUlT_E_NS1_11comp_targetILNS1_3genE10ELNS1_11target_archE1200ELNS1_3gpuE4ELNS1_3repE0EEENS1_30default_config_static_selectorELNS0_4arch9wavefront6targetE0EEEvSS_.kd
    .uniform_work_group_size: 1
    .uses_dynamic_stack: false
    .vgpr_count:     0
    .vgpr_spill_count: 0
    .wavefront_size: 32
    .workgroup_processor_mode: 1
  - .args:
      - .offset:         0
        .size:           64
        .value_kind:     by_value
    .group_segment_fixed_size: 0
    .kernarg_segment_align: 8
    .kernarg_segment_size: 64
    .language:       OpenCL C
    .language_version:
      - 2
      - 0
    .max_flat_workgroup_size: 1024
    .name:           _ZN7rocprim17ROCPRIM_400000_NS6detail17trampoline_kernelINS0_14default_configENS1_21merge_config_selectorINS0_5tupleIJiiEEENS0_10empty_typeEEEZNS1_10merge_implIS3_NS0_12zip_iteratorINS5_IJN6thrust23THRUST_200600_302600_NS10device_ptrIiEESE_EEEEESG_SG_PS7_SH_SH_NSC_11hip_rocprim7__merge17predicate_wrapperIiiNSC_4lessIiEEEEEE10hipError_tPvRmT0_T1_T2_T3_T4_T5_mmT6_P12ihipStream_tbEUlT_E_NS1_11comp_targetILNS1_3genE9ELNS1_11target_archE1100ELNS1_3gpuE3ELNS1_3repE0EEENS1_30default_config_static_selectorELNS0_4arch9wavefront6targetE0EEEvSS_
    .private_segment_fixed_size: 0
    .sgpr_count:     0
    .sgpr_spill_count: 0
    .symbol:         _ZN7rocprim17ROCPRIM_400000_NS6detail17trampoline_kernelINS0_14default_configENS1_21merge_config_selectorINS0_5tupleIJiiEEENS0_10empty_typeEEEZNS1_10merge_implIS3_NS0_12zip_iteratorINS5_IJN6thrust23THRUST_200600_302600_NS10device_ptrIiEESE_EEEEESG_SG_PS7_SH_SH_NSC_11hip_rocprim7__merge17predicate_wrapperIiiNSC_4lessIiEEEEEE10hipError_tPvRmT0_T1_T2_T3_T4_T5_mmT6_P12ihipStream_tbEUlT_E_NS1_11comp_targetILNS1_3genE9ELNS1_11target_archE1100ELNS1_3gpuE3ELNS1_3repE0EEENS1_30default_config_static_selectorELNS0_4arch9wavefront6targetE0EEEvSS_.kd
    .uniform_work_group_size: 1
    .uses_dynamic_stack: false
    .vgpr_count:     0
    .vgpr_spill_count: 0
    .wavefront_size: 32
    .workgroup_processor_mode: 1
  - .args:
      - .offset:         0
        .size:           64
        .value_kind:     by_value
      - .offset:         64
        .size:           4
        .value_kind:     hidden_block_count_x
      - .offset:         68
        .size:           4
        .value_kind:     hidden_block_count_y
      - .offset:         72
        .size:           4
        .value_kind:     hidden_block_count_z
      - .offset:         76
        .size:           2
        .value_kind:     hidden_group_size_x
      - .offset:         78
        .size:           2
        .value_kind:     hidden_group_size_y
      - .offset:         80
        .size:           2
        .value_kind:     hidden_group_size_z
      - .offset:         82
        .size:           2
        .value_kind:     hidden_remainder_x
      - .offset:         84
        .size:           2
        .value_kind:     hidden_remainder_y
      - .offset:         86
        .size:           2
        .value_kind:     hidden_remainder_z
      - .offset:         104
        .size:           8
        .value_kind:     hidden_global_offset_x
      - .offset:         112
        .size:           8
        .value_kind:     hidden_global_offset_y
      - .offset:         120
        .size:           8
        .value_kind:     hidden_global_offset_z
      - .offset:         128
        .size:           2
        .value_kind:     hidden_grid_dims
    .group_segment_fixed_size: 0
    .kernarg_segment_align: 8
    .kernarg_segment_size: 320
    .language:       OpenCL C
    .language_version:
      - 2
      - 0
    .max_flat_workgroup_size: 256
    .name:           _ZN7rocprim17ROCPRIM_400000_NS6detail17trampoline_kernelINS0_14default_configENS1_21merge_config_selectorINS0_5tupleIJiiEEENS0_10empty_typeEEEZNS1_10merge_implIS3_NS0_12zip_iteratorINS5_IJN6thrust23THRUST_200600_302600_NS10device_ptrIiEESE_EEEEESG_SG_PS7_SH_SH_NSC_11hip_rocprim7__merge17predicate_wrapperIiiNSC_4lessIiEEEEEE10hipError_tPvRmT0_T1_T2_T3_T4_T5_mmT6_P12ihipStream_tbEUlT_E_NS1_11comp_targetILNS1_3genE8ELNS1_11target_archE1030ELNS1_3gpuE2ELNS1_3repE0EEENS1_30default_config_static_selectorELNS0_4arch9wavefront6targetE0EEEvSS_
    .private_segment_fixed_size: 0
    .sgpr_count:     18
    .sgpr_spill_count: 0
    .symbol:         _ZN7rocprim17ROCPRIM_400000_NS6detail17trampoline_kernelINS0_14default_configENS1_21merge_config_selectorINS0_5tupleIJiiEEENS0_10empty_typeEEEZNS1_10merge_implIS3_NS0_12zip_iteratorINS5_IJN6thrust23THRUST_200600_302600_NS10device_ptrIiEESE_EEEEESG_SG_PS7_SH_SH_NSC_11hip_rocprim7__merge17predicate_wrapperIiiNSC_4lessIiEEEEEE10hipError_tPvRmT0_T1_T2_T3_T4_T5_mmT6_P12ihipStream_tbEUlT_E_NS1_11comp_targetILNS1_3genE8ELNS1_11target_archE1030ELNS1_3gpuE2ELNS1_3repE0EEENS1_30default_config_static_selectorELNS0_4arch9wavefront6targetE0EEEvSS_.kd
    .uniform_work_group_size: 1
    .uses_dynamic_stack: false
    .vgpr_count:     13
    .vgpr_spill_count: 0
    .wavefront_size: 32
    .workgroup_processor_mode: 1
  - .args:
      - .offset:         0
        .size:           112
        .value_kind:     by_value
    .group_segment_fixed_size: 0
    .kernarg_segment_align: 8
    .kernarg_segment_size: 112
    .language:       OpenCL C
    .language_version:
      - 2
      - 0
    .max_flat_workgroup_size: 256
    .name:           _ZN7rocprim17ROCPRIM_400000_NS6detail17trampoline_kernelINS0_14default_configENS1_21merge_config_selectorINS0_5tupleIJiiEEENS0_10empty_typeEEEZNS1_10merge_implIS3_NS0_12zip_iteratorINS5_IJN6thrust23THRUST_200600_302600_NS10device_ptrIiEESE_EEEEESG_SG_PS7_SH_SH_NSC_11hip_rocprim7__merge17predicate_wrapperIiiNSC_4lessIiEEEEEE10hipError_tPvRmT0_T1_T2_T3_T4_T5_mmT6_P12ihipStream_tbEUlT_E0_NS1_11comp_targetILNS1_3genE0ELNS1_11target_archE4294967295ELNS1_3gpuE0ELNS1_3repE0EEENS1_30default_config_static_selectorELNS0_4arch9wavefront6targetE0EEEvSS_
    .private_segment_fixed_size: 0
    .sgpr_count:     0
    .sgpr_spill_count: 0
    .symbol:         _ZN7rocprim17ROCPRIM_400000_NS6detail17trampoline_kernelINS0_14default_configENS1_21merge_config_selectorINS0_5tupleIJiiEEENS0_10empty_typeEEEZNS1_10merge_implIS3_NS0_12zip_iteratorINS5_IJN6thrust23THRUST_200600_302600_NS10device_ptrIiEESE_EEEEESG_SG_PS7_SH_SH_NSC_11hip_rocprim7__merge17predicate_wrapperIiiNSC_4lessIiEEEEEE10hipError_tPvRmT0_T1_T2_T3_T4_T5_mmT6_P12ihipStream_tbEUlT_E0_NS1_11comp_targetILNS1_3genE0ELNS1_11target_archE4294967295ELNS1_3gpuE0ELNS1_3repE0EEENS1_30default_config_static_selectorELNS0_4arch9wavefront6targetE0EEEvSS_.kd
    .uniform_work_group_size: 1
    .uses_dynamic_stack: false
    .vgpr_count:     0
    .vgpr_spill_count: 0
    .wavefront_size: 32
    .workgroup_processor_mode: 1
  - .args:
      - .offset:         0
        .size:           112
        .value_kind:     by_value
    .group_segment_fixed_size: 0
    .kernarg_segment_align: 8
    .kernarg_segment_size: 112
    .language:       OpenCL C
    .language_version:
      - 2
      - 0
    .max_flat_workgroup_size: 256
    .name:           _ZN7rocprim17ROCPRIM_400000_NS6detail17trampoline_kernelINS0_14default_configENS1_21merge_config_selectorINS0_5tupleIJiiEEENS0_10empty_typeEEEZNS1_10merge_implIS3_NS0_12zip_iteratorINS5_IJN6thrust23THRUST_200600_302600_NS10device_ptrIiEESE_EEEEESG_SG_PS7_SH_SH_NSC_11hip_rocprim7__merge17predicate_wrapperIiiNSC_4lessIiEEEEEE10hipError_tPvRmT0_T1_T2_T3_T4_T5_mmT6_P12ihipStream_tbEUlT_E0_NS1_11comp_targetILNS1_3genE5ELNS1_11target_archE942ELNS1_3gpuE9ELNS1_3repE0EEENS1_30default_config_static_selectorELNS0_4arch9wavefront6targetE0EEEvSS_
    .private_segment_fixed_size: 0
    .sgpr_count:     0
    .sgpr_spill_count: 0
    .symbol:         _ZN7rocprim17ROCPRIM_400000_NS6detail17trampoline_kernelINS0_14default_configENS1_21merge_config_selectorINS0_5tupleIJiiEEENS0_10empty_typeEEEZNS1_10merge_implIS3_NS0_12zip_iteratorINS5_IJN6thrust23THRUST_200600_302600_NS10device_ptrIiEESE_EEEEESG_SG_PS7_SH_SH_NSC_11hip_rocprim7__merge17predicate_wrapperIiiNSC_4lessIiEEEEEE10hipError_tPvRmT0_T1_T2_T3_T4_T5_mmT6_P12ihipStream_tbEUlT_E0_NS1_11comp_targetILNS1_3genE5ELNS1_11target_archE942ELNS1_3gpuE9ELNS1_3repE0EEENS1_30default_config_static_selectorELNS0_4arch9wavefront6targetE0EEEvSS_.kd
    .uniform_work_group_size: 1
    .uses_dynamic_stack: false
    .vgpr_count:     0
    .vgpr_spill_count: 0
    .wavefront_size: 32
    .workgroup_processor_mode: 1
  - .args:
      - .offset:         0
        .size:           112
        .value_kind:     by_value
    .group_segment_fixed_size: 0
    .kernarg_segment_align: 8
    .kernarg_segment_size: 112
    .language:       OpenCL C
    .language_version:
      - 2
      - 0
    .max_flat_workgroup_size: 256
    .name:           _ZN7rocprim17ROCPRIM_400000_NS6detail17trampoline_kernelINS0_14default_configENS1_21merge_config_selectorINS0_5tupleIJiiEEENS0_10empty_typeEEEZNS1_10merge_implIS3_NS0_12zip_iteratorINS5_IJN6thrust23THRUST_200600_302600_NS10device_ptrIiEESE_EEEEESG_SG_PS7_SH_SH_NSC_11hip_rocprim7__merge17predicate_wrapperIiiNSC_4lessIiEEEEEE10hipError_tPvRmT0_T1_T2_T3_T4_T5_mmT6_P12ihipStream_tbEUlT_E0_NS1_11comp_targetILNS1_3genE4ELNS1_11target_archE910ELNS1_3gpuE8ELNS1_3repE0EEENS1_30default_config_static_selectorELNS0_4arch9wavefront6targetE0EEEvSS_
    .private_segment_fixed_size: 0
    .sgpr_count:     0
    .sgpr_spill_count: 0
    .symbol:         _ZN7rocprim17ROCPRIM_400000_NS6detail17trampoline_kernelINS0_14default_configENS1_21merge_config_selectorINS0_5tupleIJiiEEENS0_10empty_typeEEEZNS1_10merge_implIS3_NS0_12zip_iteratorINS5_IJN6thrust23THRUST_200600_302600_NS10device_ptrIiEESE_EEEEESG_SG_PS7_SH_SH_NSC_11hip_rocprim7__merge17predicate_wrapperIiiNSC_4lessIiEEEEEE10hipError_tPvRmT0_T1_T2_T3_T4_T5_mmT6_P12ihipStream_tbEUlT_E0_NS1_11comp_targetILNS1_3genE4ELNS1_11target_archE910ELNS1_3gpuE8ELNS1_3repE0EEENS1_30default_config_static_selectorELNS0_4arch9wavefront6targetE0EEEvSS_.kd
    .uniform_work_group_size: 1
    .uses_dynamic_stack: false
    .vgpr_count:     0
    .vgpr_spill_count: 0
    .wavefront_size: 32
    .workgroup_processor_mode: 1
  - .args:
      - .offset:         0
        .size:           112
        .value_kind:     by_value
    .group_segment_fixed_size: 0
    .kernarg_segment_align: 8
    .kernarg_segment_size: 112
    .language:       OpenCL C
    .language_version:
      - 2
      - 0
    .max_flat_workgroup_size: 256
    .name:           _ZN7rocprim17ROCPRIM_400000_NS6detail17trampoline_kernelINS0_14default_configENS1_21merge_config_selectorINS0_5tupleIJiiEEENS0_10empty_typeEEEZNS1_10merge_implIS3_NS0_12zip_iteratorINS5_IJN6thrust23THRUST_200600_302600_NS10device_ptrIiEESE_EEEEESG_SG_PS7_SH_SH_NSC_11hip_rocprim7__merge17predicate_wrapperIiiNSC_4lessIiEEEEEE10hipError_tPvRmT0_T1_T2_T3_T4_T5_mmT6_P12ihipStream_tbEUlT_E0_NS1_11comp_targetILNS1_3genE3ELNS1_11target_archE908ELNS1_3gpuE7ELNS1_3repE0EEENS1_30default_config_static_selectorELNS0_4arch9wavefront6targetE0EEEvSS_
    .private_segment_fixed_size: 0
    .sgpr_count:     0
    .sgpr_spill_count: 0
    .symbol:         _ZN7rocprim17ROCPRIM_400000_NS6detail17trampoline_kernelINS0_14default_configENS1_21merge_config_selectorINS0_5tupleIJiiEEENS0_10empty_typeEEEZNS1_10merge_implIS3_NS0_12zip_iteratorINS5_IJN6thrust23THRUST_200600_302600_NS10device_ptrIiEESE_EEEEESG_SG_PS7_SH_SH_NSC_11hip_rocprim7__merge17predicate_wrapperIiiNSC_4lessIiEEEEEE10hipError_tPvRmT0_T1_T2_T3_T4_T5_mmT6_P12ihipStream_tbEUlT_E0_NS1_11comp_targetILNS1_3genE3ELNS1_11target_archE908ELNS1_3gpuE7ELNS1_3repE0EEENS1_30default_config_static_selectorELNS0_4arch9wavefront6targetE0EEEvSS_.kd
    .uniform_work_group_size: 1
    .uses_dynamic_stack: false
    .vgpr_count:     0
    .vgpr_spill_count: 0
    .wavefront_size: 32
    .workgroup_processor_mode: 1
  - .args:
      - .offset:         0
        .size:           112
        .value_kind:     by_value
    .group_segment_fixed_size: 0
    .kernarg_segment_align: 8
    .kernarg_segment_size: 112
    .language:       OpenCL C
    .language_version:
      - 2
      - 0
    .max_flat_workgroup_size: 256
    .name:           _ZN7rocprim17ROCPRIM_400000_NS6detail17trampoline_kernelINS0_14default_configENS1_21merge_config_selectorINS0_5tupleIJiiEEENS0_10empty_typeEEEZNS1_10merge_implIS3_NS0_12zip_iteratorINS5_IJN6thrust23THRUST_200600_302600_NS10device_ptrIiEESE_EEEEESG_SG_PS7_SH_SH_NSC_11hip_rocprim7__merge17predicate_wrapperIiiNSC_4lessIiEEEEEE10hipError_tPvRmT0_T1_T2_T3_T4_T5_mmT6_P12ihipStream_tbEUlT_E0_NS1_11comp_targetILNS1_3genE2ELNS1_11target_archE906ELNS1_3gpuE6ELNS1_3repE0EEENS1_30default_config_static_selectorELNS0_4arch9wavefront6targetE0EEEvSS_
    .private_segment_fixed_size: 0
    .sgpr_count:     0
    .sgpr_spill_count: 0
    .symbol:         _ZN7rocprim17ROCPRIM_400000_NS6detail17trampoline_kernelINS0_14default_configENS1_21merge_config_selectorINS0_5tupleIJiiEEENS0_10empty_typeEEEZNS1_10merge_implIS3_NS0_12zip_iteratorINS5_IJN6thrust23THRUST_200600_302600_NS10device_ptrIiEESE_EEEEESG_SG_PS7_SH_SH_NSC_11hip_rocprim7__merge17predicate_wrapperIiiNSC_4lessIiEEEEEE10hipError_tPvRmT0_T1_T2_T3_T4_T5_mmT6_P12ihipStream_tbEUlT_E0_NS1_11comp_targetILNS1_3genE2ELNS1_11target_archE906ELNS1_3gpuE6ELNS1_3repE0EEENS1_30default_config_static_selectorELNS0_4arch9wavefront6targetE0EEEvSS_.kd
    .uniform_work_group_size: 1
    .uses_dynamic_stack: false
    .vgpr_count:     0
    .vgpr_spill_count: 0
    .wavefront_size: 32
    .workgroup_processor_mode: 1
  - .args:
      - .offset:         0
        .size:           112
        .value_kind:     by_value
    .group_segment_fixed_size: 0
    .kernarg_segment_align: 8
    .kernarg_segment_size: 112
    .language:       OpenCL C
    .language_version:
      - 2
      - 0
    .max_flat_workgroup_size: 512
    .name:           _ZN7rocprim17ROCPRIM_400000_NS6detail17trampoline_kernelINS0_14default_configENS1_21merge_config_selectorINS0_5tupleIJiiEEENS0_10empty_typeEEEZNS1_10merge_implIS3_NS0_12zip_iteratorINS5_IJN6thrust23THRUST_200600_302600_NS10device_ptrIiEESE_EEEEESG_SG_PS7_SH_SH_NSC_11hip_rocprim7__merge17predicate_wrapperIiiNSC_4lessIiEEEEEE10hipError_tPvRmT0_T1_T2_T3_T4_T5_mmT6_P12ihipStream_tbEUlT_E0_NS1_11comp_targetILNS1_3genE10ELNS1_11target_archE1201ELNS1_3gpuE5ELNS1_3repE0EEENS1_30default_config_static_selectorELNS0_4arch9wavefront6targetE0EEEvSS_
    .private_segment_fixed_size: 0
    .sgpr_count:     0
    .sgpr_spill_count: 0
    .symbol:         _ZN7rocprim17ROCPRIM_400000_NS6detail17trampoline_kernelINS0_14default_configENS1_21merge_config_selectorINS0_5tupleIJiiEEENS0_10empty_typeEEEZNS1_10merge_implIS3_NS0_12zip_iteratorINS5_IJN6thrust23THRUST_200600_302600_NS10device_ptrIiEESE_EEEEESG_SG_PS7_SH_SH_NSC_11hip_rocprim7__merge17predicate_wrapperIiiNSC_4lessIiEEEEEE10hipError_tPvRmT0_T1_T2_T3_T4_T5_mmT6_P12ihipStream_tbEUlT_E0_NS1_11comp_targetILNS1_3genE10ELNS1_11target_archE1201ELNS1_3gpuE5ELNS1_3repE0EEENS1_30default_config_static_selectorELNS0_4arch9wavefront6targetE0EEEvSS_.kd
    .uniform_work_group_size: 1
    .uses_dynamic_stack: false
    .vgpr_count:     0
    .vgpr_spill_count: 0
    .wavefront_size: 32
    .workgroup_processor_mode: 1
  - .args:
      - .offset:         0
        .size:           112
        .value_kind:     by_value
    .group_segment_fixed_size: 0
    .kernarg_segment_align: 8
    .kernarg_segment_size: 112
    .language:       OpenCL C
    .language_version:
      - 2
      - 0
    .max_flat_workgroup_size: 1024
    .name:           _ZN7rocprim17ROCPRIM_400000_NS6detail17trampoline_kernelINS0_14default_configENS1_21merge_config_selectorINS0_5tupleIJiiEEENS0_10empty_typeEEEZNS1_10merge_implIS3_NS0_12zip_iteratorINS5_IJN6thrust23THRUST_200600_302600_NS10device_ptrIiEESE_EEEEESG_SG_PS7_SH_SH_NSC_11hip_rocprim7__merge17predicate_wrapperIiiNSC_4lessIiEEEEEE10hipError_tPvRmT0_T1_T2_T3_T4_T5_mmT6_P12ihipStream_tbEUlT_E0_NS1_11comp_targetILNS1_3genE10ELNS1_11target_archE1200ELNS1_3gpuE4ELNS1_3repE0EEENS1_30default_config_static_selectorELNS0_4arch9wavefront6targetE0EEEvSS_
    .private_segment_fixed_size: 0
    .sgpr_count:     0
    .sgpr_spill_count: 0
    .symbol:         _ZN7rocprim17ROCPRIM_400000_NS6detail17trampoline_kernelINS0_14default_configENS1_21merge_config_selectorINS0_5tupleIJiiEEENS0_10empty_typeEEEZNS1_10merge_implIS3_NS0_12zip_iteratorINS5_IJN6thrust23THRUST_200600_302600_NS10device_ptrIiEESE_EEEEESG_SG_PS7_SH_SH_NSC_11hip_rocprim7__merge17predicate_wrapperIiiNSC_4lessIiEEEEEE10hipError_tPvRmT0_T1_T2_T3_T4_T5_mmT6_P12ihipStream_tbEUlT_E0_NS1_11comp_targetILNS1_3genE10ELNS1_11target_archE1200ELNS1_3gpuE4ELNS1_3repE0EEENS1_30default_config_static_selectorELNS0_4arch9wavefront6targetE0EEEvSS_.kd
    .uniform_work_group_size: 1
    .uses_dynamic_stack: false
    .vgpr_count:     0
    .vgpr_spill_count: 0
    .wavefront_size: 32
    .workgroup_processor_mode: 1
  - .args:
      - .offset:         0
        .size:           112
        .value_kind:     by_value
    .group_segment_fixed_size: 0
    .kernarg_segment_align: 8
    .kernarg_segment_size: 112
    .language:       OpenCL C
    .language_version:
      - 2
      - 0
    .max_flat_workgroup_size: 1024
    .name:           _ZN7rocprim17ROCPRIM_400000_NS6detail17trampoline_kernelINS0_14default_configENS1_21merge_config_selectorINS0_5tupleIJiiEEENS0_10empty_typeEEEZNS1_10merge_implIS3_NS0_12zip_iteratorINS5_IJN6thrust23THRUST_200600_302600_NS10device_ptrIiEESE_EEEEESG_SG_PS7_SH_SH_NSC_11hip_rocprim7__merge17predicate_wrapperIiiNSC_4lessIiEEEEEE10hipError_tPvRmT0_T1_T2_T3_T4_T5_mmT6_P12ihipStream_tbEUlT_E0_NS1_11comp_targetILNS1_3genE9ELNS1_11target_archE1100ELNS1_3gpuE3ELNS1_3repE0EEENS1_30default_config_static_selectorELNS0_4arch9wavefront6targetE0EEEvSS_
    .private_segment_fixed_size: 0
    .sgpr_count:     0
    .sgpr_spill_count: 0
    .symbol:         _ZN7rocprim17ROCPRIM_400000_NS6detail17trampoline_kernelINS0_14default_configENS1_21merge_config_selectorINS0_5tupleIJiiEEENS0_10empty_typeEEEZNS1_10merge_implIS3_NS0_12zip_iteratorINS5_IJN6thrust23THRUST_200600_302600_NS10device_ptrIiEESE_EEEEESG_SG_PS7_SH_SH_NSC_11hip_rocprim7__merge17predicate_wrapperIiiNSC_4lessIiEEEEEE10hipError_tPvRmT0_T1_T2_T3_T4_T5_mmT6_P12ihipStream_tbEUlT_E0_NS1_11comp_targetILNS1_3genE9ELNS1_11target_archE1100ELNS1_3gpuE3ELNS1_3repE0EEENS1_30default_config_static_selectorELNS0_4arch9wavefront6targetE0EEEvSS_.kd
    .uniform_work_group_size: 1
    .uses_dynamic_stack: false
    .vgpr_count:     0
    .vgpr_spill_count: 0
    .wavefront_size: 32
    .workgroup_processor_mode: 1
  - .args:
      - .offset:         0
        .size:           112
        .value_kind:     by_value
    .group_segment_fixed_size: 33792
    .kernarg_segment_align: 8
    .kernarg_segment_size: 112
    .language:       OpenCL C
    .language_version:
      - 2
      - 0
    .max_flat_workgroup_size: 256
    .name:           _ZN7rocprim17ROCPRIM_400000_NS6detail17trampoline_kernelINS0_14default_configENS1_21merge_config_selectorINS0_5tupleIJiiEEENS0_10empty_typeEEEZNS1_10merge_implIS3_NS0_12zip_iteratorINS5_IJN6thrust23THRUST_200600_302600_NS10device_ptrIiEESE_EEEEESG_SG_PS7_SH_SH_NSC_11hip_rocprim7__merge17predicate_wrapperIiiNSC_4lessIiEEEEEE10hipError_tPvRmT0_T1_T2_T3_T4_T5_mmT6_P12ihipStream_tbEUlT_E0_NS1_11comp_targetILNS1_3genE8ELNS1_11target_archE1030ELNS1_3gpuE2ELNS1_3repE0EEENS1_30default_config_static_selectorELNS0_4arch9wavefront6targetE0EEEvSS_
    .private_segment_fixed_size: 0
    .sgpr_count:     30
    .sgpr_spill_count: 0
    .symbol:         _ZN7rocprim17ROCPRIM_400000_NS6detail17trampoline_kernelINS0_14default_configENS1_21merge_config_selectorINS0_5tupleIJiiEEENS0_10empty_typeEEEZNS1_10merge_implIS3_NS0_12zip_iteratorINS5_IJN6thrust23THRUST_200600_302600_NS10device_ptrIiEESE_EEEEESG_SG_PS7_SH_SH_NSC_11hip_rocprim7__merge17predicate_wrapperIiiNSC_4lessIiEEEEEE10hipError_tPvRmT0_T1_T2_T3_T4_T5_mmT6_P12ihipStream_tbEUlT_E0_NS1_11comp_targetILNS1_3genE8ELNS1_11target_archE1030ELNS1_3gpuE2ELNS1_3repE0EEENS1_30default_config_static_selectorELNS0_4arch9wavefront6targetE0EEEvSS_.kd
    .uniform_work_group_size: 1
    .uses_dynamic_stack: false
    .vgpr_count:     73
    .vgpr_spill_count: 0
    .wavefront_size: 32
    .workgroup_processor_mode: 1
amdhsa.target:   amdgcn-amd-amdhsa--gfx1030
amdhsa.version:
  - 1
  - 2
...

	.end_amdgpu_metadata
